;; amdgpu-corpus repo=ROCm/rccl kind=compiled arch=gfx1100 opt=O3
	.text
	.amdgcn_target "amdgcn-amd-amdhsa--gfx1100"
	.amdhsa_code_object_version 6
	.p2align	2                               ; -- Begin function _ZN12_GLOBAL__N_17runRingIa7FuncSumIaE7ProtoLLLi0ELi1ELi0ELb0EEEviiP15ncclDevWorkColl
	.type	_ZN12_GLOBAL__N_17runRingIa7FuncSumIaE7ProtoLLLi0ELi1ELi0ELb0EEEviiP15ncclDevWorkColl,@function
_ZN12_GLOBAL__N_17runRingIa7FuncSumIaE7ProtoLLLi0ELi1ELi0ELb0EEEviiP15ncclDevWorkColl: ; @_ZN12_GLOBAL__N_17runRingIa7FuncSumIaE7ProtoLLLi0ELi1ELi0ELb0EEEviiP15ncclDevWorkColl
; %bb.0:
	s_waitcnt vmcnt(0) expcnt(0) lgkmcnt(0)
	s_cbranch_execnz .LBB0_15
; %bb.1:
	v_mov_b32_e32 v4, v0
	s_clause 0x2
	flat_load_b32 v0, v[2:3]
	flat_load_b128 v[5:8], v[2:3] offset:72
	flat_load_b64 v[13:14], v[2:3] offset:88
	s_mov_b32 s0, exec_lo
                                        ; implicit-def: $vgpr27_vgpr28
	s_waitcnt vmcnt(2) lgkmcnt(2)
	v_and_b32_e32 v11, 0xff, v0
	v_bfe_u32 v10, v0, 8, 8
	s_delay_alu instid0(VALU_DEP_2) | instskip(SKIP_3) | instid1(VALU_DEP_1)
	v_not_b32_e32 v0, v11
	ds_load_b32 v9, v0
	ds_load_b64 v[25:26], v0
	v_add_nc_u32_e32 v12, v10, v0
	v_ashrrev_i32_e32 v17, 31, v12
	s_waitcnt vmcnt(1) lgkmcnt(3)
	v_mul_lo_u32 v18, v8, v12
	v_mad_u64_u32 v[15:16], null, v7, v12, 0
	s_delay_alu instid0(VALU_DEP_3) | instskip(NEXT) | instid1(VALU_DEP_1)
	v_mul_lo_u32 v12, v7, v17
	v_add3_u32 v16, v16, v12, v18
	s_waitcnt lgkmcnt(1)
	v_readfirstlane_b32 s10, v9
                                        ; implicit-def: $vgpr17_vgpr18
	v_cmpx_ne_u32_e64 v11, v9
	s_xor_b32 s0, exec_lo, s0
	s_cbranch_execz .LBB0_7
; %bb.2:
	s_mov_b32 s1, exec_lo
                                        ; implicit-def: $vgpr17_vgpr18
                                        ; implicit-def: $vgpr27_vgpr28
	v_cmpx_ne_u32_e64 v10, v9
	s_xor_b32 s1, exec_lo, s1
	s_cbranch_execz .LBB0_4
; %bb.3:
	flat_load_b64 v[10:11], v[2:3] offset:96
	v_add_nc_u32_e32 v0, v9, v0
	s_delay_alu instid0(VALU_DEP_1) | instskip(SKIP_2) | instid1(VALU_DEP_3)
	v_ashrrev_i32_e32 v9, 31, v0
	v_mul_lo_u32 v12, v8, v0
	v_mad_u64_u32 v[27:28], null, v7, v0, v[5:6]
	v_mul_lo_u32 v9, v7, v9
	s_delay_alu instid0(VALU_DEP_1)
	v_add3_u32 v28, v12, v28, v9
	s_waitcnt vmcnt(0) lgkmcnt(0)
	v_lshrrev_b64 v[17:18], 21, v[10:11]
.LBB0_4:
	s_and_not1_saveexec_b32 s1, s1
	s_cbranch_execz .LBB0_6
; %bb.5:
	flat_load_b32 v0, v[2:3] offset:100
	v_add_co_u32 v27, vcc_lo, v15, v5
	v_add_co_ci_u32_e32 v28, vcc_lo, v16, v6, vcc_lo
	s_waitcnt vmcnt(1)
	v_dual_mov_b32 v7, v13 :: v_dual_mov_b32 v8, v14
	s_waitcnt vmcnt(0) lgkmcnt(0)
	v_lshrrev_b32_e32 v17, 10, v0
.LBB0_6:
	s_or_b32 exec_lo, exec_lo, s1
.LBB0_7:
	s_and_not1_saveexec_b32 s0, s0
	s_cbranch_execz .LBB0_9
; %bb.8:
	flat_load_b64 v[17:18], v[2:3] offset:96
	v_dual_mov_b32 v27, 0 :: v_dual_mov_b32 v8, v6
	v_dual_mov_b32 v28, 0 :: v_dual_mov_b32 v7, v5
.LBB0_9:
	s_or_b32 exec_lo, exec_lo, s0
	flat_load_b128 v[9:12], v[2:3] offset:16
	s_waitcnt vmcnt(1)
	v_add_co_u32 v0, vcc_lo, v13, v5
	v_add_co_ci_u32_e32 v5, vcc_lo, v14, v6, vcc_lo
	s_mov_b32 s0, exec_lo
	s_delay_alu instid0(VALU_DEP_2) | instskip(NEXT) | instid1(VALU_DEP_2)
	v_add_co_u32 v0, vcc_lo, v0, v15
	v_add_co_ci_u32_e32 v102, vcc_lo, v5, v16, vcc_lo
	v_cmpx_ge_i32_e64 v4, v1
	s_xor_b32 s1, exec_lo, s0
	s_cbranch_execz .LBB0_44
; %bb.10:
	s_waitcnt lgkmcnt(1)
	flat_load_b32 v5, v[25:26]
	s_mov_b32 s2, exec_lo
	s_waitcnt vmcnt(0) lgkmcnt(0)
	v_ashrrev_i32_e32 v2, 31, v5
	v_mul_lo_u32 v6, v102, v5
	s_delay_alu instid0(VALU_DEP_2) | instskip(SKIP_1) | instid1(VALU_DEP_1)
	v_mul_lo_u32 v13, v0, v2
	v_mad_u64_u32 v[2:3], null, v0, v5, 0
	v_add3_u32 v3, v3, v13, v6
	s_delay_alu instid0(VALU_DEP_2) | instskip(NEXT) | instid1(VALU_DEP_2)
	v_add_co_u32 v5, vcc_lo, v9, v2
	v_add_co_ci_u32_e32 v6, vcc_lo, v10, v3, vcc_lo
	s_delay_alu instid0(VALU_DEP_1)
	v_cmpx_ne_u64_e64 v[11:12], v[5:6]
	s_cbranch_execz .LBB0_43
; %bb.11:
	v_sub_nc_u32_e32 v1, v4, v1
	v_add_co_u32 v16, vcc_lo, v11, v27
	v_add_co_ci_u32_e32 v17, vcc_lo, v12, v28, vcc_lo
	s_delay_alu instid0(VALU_DEP_3) | instskip(SKIP_2) | instid1(VALU_DEP_3)
	v_ashrrev_i32_e32 v0, 31, v1
	v_add_co_u32 v5, vcc_lo, v9, v27
	v_add_co_ci_u32_e32 v6, vcc_lo, v10, v28, vcc_lo
	v_lshrrev_b32_e32 v0, 27, v0
	s_delay_alu instid0(VALU_DEP_3) | instskip(NEXT) | instid1(VALU_DEP_3)
	v_add_co_u32 v18, vcc_lo, v5, v2
	v_add_co_ci_u32_e32 v19, vcc_lo, v6, v3, vcc_lo
	s_delay_alu instid0(VALU_DEP_3) | instskip(SKIP_1) | instid1(VALU_DEP_1)
	v_add_nc_u32_e32 v0, v1, v0
	s_mov_b32 s0, exec_lo
	v_and_b32_e32 v4, 0xffffffe0, v0
	s_delay_alu instid0(VALU_DEP_1) | instskip(SKIP_1) | instid1(VALU_DEP_2)
	v_sub_nc_u32_e32 v20, v1, v4
	v_mov_b32_e32 v1, 0
	v_cmpx_gt_i32_e32 1, v20
; %bb.12:
	v_or_b32_e32 v1, v16, v18
	s_delay_alu instid0(VALU_DEP_1) | instskip(NEXT) | instid1(VALU_DEP_1)
	v_and_b32_e32 v1, 15, v1
	v_cmp_ne_u32_e32 vcc_lo, 0, v1
	v_cndmask_b32_e64 v1, 0, 1, vcc_lo
; %bb.13:
	s_or_b32 exec_lo, exec_lo, s0
	;;#ASMSTART
	;;#ASMEND
	s_delay_alu instid0(VALU_DEP_1)
	v_cmp_ne_u32_e32 vcc_lo, 0, v1
	v_ashrrev_i32_e32 v21, 5, v0
	s_mov_b32 s4, 0
	s_cbranch_vccz .LBB0_17
; %bb.14:
	s_delay_alu instid0(VALU_DEP_1)
	v_dual_mov_b32 v4, 0 :: v_dual_mov_b32 v15, v21
	v_dual_mov_b32 v5, 0 :: v_dual_mov_b32 v6, v20
	s_mov_b32 s5, -1
	s_mov_b32 s0, 0
                                        ; implicit-def: $vgpr2_vgpr3
                                        ; implicit-def: $vgpr0_vgpr1
	s_and_saveexec_b32 s3, s5
	s_cbranch_execnz .LBB0_28
	s_branch .LBB0_37
.LBB0_15:
	s_trap 2
	s_sendmsg_rtn_b32 s0, sendmsg(MSG_RTN_GET_DOORBELL)
	s_mov_b32 ttmp2, m0
	s_waitcnt lgkmcnt(0)
	s_and_b32 s0, s0, 0x3ff
	s_delay_alu instid0(SALU_CYCLE_1) | instskip(NEXT) | instid1(SALU_CYCLE_1)
	s_bitset1_b32 s0, 10
	s_mov_b32 m0, s0
	s_sendmsg sendmsg(MSG_INTERRUPT)
	s_mov_b32 m0, ttmp2
.LBB0_16:                               ; =>This Inner Loop Header: Depth=1
	s_sethalt 5
	s_branch .LBB0_16
.LBB0_17:
	v_ashrrev_i32_e32 v0, 31, v8
	v_mov_b32_e32 v4, 0
	v_mov_b32_e32 v5, 0
	s_mov_b32 s5, 0
	s_mov_b32 s0, -1
	v_lshrrev_b32_e32 v0, 22, v0
	s_mov_b32 s3, exec_lo
                                        ; implicit-def: $vgpr2_vgpr3
                                        ; implicit-def: $vgpr6
                                        ; implicit-def: $vgpr15
	s_delay_alu instid0(VALU_DEP_1) | instskip(SKIP_1) | instid1(VALU_DEP_1)
	v_add_co_u32 v0, vcc_lo, v7, v0
	v_add_co_ci_u32_e32 v1, vcc_lo, 0, v8, vcc_lo
	v_ashrrev_i64 v[9:10], 10, v[0:1]
	v_ashrrev_i32_e32 v0, 31, v21
	s_delay_alu instid0(VALU_DEP_2) | instskip(NEXT) | instid1(VALU_DEP_2)
	v_sub_co_u32 v11, vcc_lo, v9, v21
	v_sub_co_ci_u32_e32 v12, vcc_lo, v10, v0, vcc_lo
                                        ; implicit-def: $vgpr0_vgpr1
	s_delay_alu instid0(VALU_DEP_1)
	v_cmpx_gt_i64_e32 1, v[11:12]
	s_cbranch_execz .LBB0_27
; %bb.18:
	v_lshlrev_b64 v[0:1], 10, v[9:10]
	v_mov_b32_e32 v4, 0
	v_mov_b32_e32 v5, 0
	s_mov_b32 s6, 0
	s_mov_b32 s4, exec_lo
                                        ; implicit-def: $vgpr2_vgpr3
                                        ; implicit-def: $vgpr6
                                        ; implicit-def: $vgpr15
	s_delay_alu instid0(VALU_DEP_3)
	v_cmpx_ne_u64_e64 v[7:8], v[0:1]
	s_cbranch_execz .LBB0_26
; %bb.19:
	v_sub_co_u32 v4, vcc_lo, v7, v0
	v_sub_co_ci_u32_e32 v5, vcc_lo, v8, v1, vcc_lo
	v_mov_b32_e32 v3, 0
	s_delay_alu instid0(VALU_DEP_2) | instskip(NEXT) | instid1(VALU_DEP_1)
	v_ashrrev_i32_e32 v2, 31, v5
	v_lshrrev_b32_e32 v2, 23, v2
	s_delay_alu instid0(VALU_DEP_1) | instskip(SKIP_1) | instid1(VALU_DEP_2)
	v_add_co_u32 v12, vcc_lo, v4, v2
	v_add_co_ci_u32_e32 v13, vcc_lo, 0, v5, vcc_lo
	v_and_b32_e32 v2, 0xfffffe00, v12
	s_delay_alu instid0(VALU_DEP_2) | instskip(NEXT) | instid1(VALU_DEP_2)
	v_ashrrev_i64 v[14:15], 9, v[12:13]
	v_sub_co_u32 v9, vcc_lo, v4, v2
	v_add_co_u32 v12, s0, v2, v0
	v_sub_co_ci_u32_e32 v10, vcc_lo, v5, v13, vcc_lo
	v_add_co_ci_u32_e64 v13, s0, v13, v1, s0
	s_mov_b32 s0, exec_lo
	s_delay_alu instid0(VALU_DEP_2)
	v_cmpx_lt_i64_e32 15, v[9:10]
; %bb.20:
	v_and_b32_e32 v2, 15, v7
	s_delay_alu instid0(VALU_DEP_1) | instskip(SKIP_2) | instid1(VALU_DEP_3)
	v_sub_co_u32 v6, vcc_lo, v9, v2
	v_subrev_co_ci_u32_e32 v7, vcc_lo, 0, v10, vcc_lo
	v_add_co_u32 v14, vcc_lo, v14, 1
	v_add_co_u32 v12, vcc_lo, v6, v12
	s_delay_alu instid0(VALU_DEP_3)
	v_add_co_ci_u32_e32 v13, vcc_lo, v7, v13, vcc_lo
	v_dual_mov_b32 v10, v3 :: v_dual_mov_b32 v9, v2
; %bb.21:
	s_or_b32 exec_lo, exec_lo, s0
	v_lshlrev_b32_e32 v2, 5, v11
	s_mov_b32 s6, -1
                                        ; implicit-def: $vgpr7_vgpr8
                                        ; implicit-def: $vgpr15
	s_delay_alu instid0(VALU_DEP_1) | instskip(NEXT) | instid1(VALU_DEP_1)
	v_sub_nc_u32_e32 v2, v20, v2
	v_ashrrev_i32_e32 v3, 31, v2
	s_delay_alu instid0(VALU_DEP_1) | instskip(NEXT) | instid1(VALU_DEP_1)
	v_lshrrev_b32_e32 v3, 27, v3
	v_add_nc_u32_e32 v3, v2, v3
	s_delay_alu instid0(VALU_DEP_1) | instskip(SKIP_1) | instid1(VALU_DEP_2)
	v_and_b32_e32 v6, 0xffffffe0, v3
	v_ashrrev_i32_e32 v22, 5, v3
	v_sub_nc_u32_e32 v11, v2, v6
                                        ; implicit-def: $vgpr6
	s_delay_alu instid0(VALU_DEP_1) | instskip(NEXT) | instid1(VALU_DEP_1)
	v_lshlrev_b32_e32 v2, 4, v11
	v_lshl_add_u32 v2, v22, 9, v2
	s_delay_alu instid0(VALU_DEP_1) | instskip(SKIP_1) | instid1(VALU_DEP_2)
	v_ashrrev_i32_e32 v3, 31, v2
	v_sub_co_u32 v4, vcc_lo, v4, v2
	v_sub_co_ci_u32_e32 v5, vcc_lo, v5, v3, vcc_lo
	s_delay_alu instid0(VALU_DEP_1)
	v_cmp_gt_i64_e32 vcc_lo, 16, v[4:5]
	v_mov_b32_e32 v4, 0
	v_mov_b32_e32 v5, 0
	s_and_saveexec_b32 s0, vcc_lo
	s_cbranch_execz .LBB0_25
; %bb.22:
	v_mov_b32_e32 v4, 0
	v_mov_b32_e32 v5, 0
	s_mov_b32 s6, exec_lo
                                        ; implicit-def: $vgpr6
                                        ; implicit-def: $vgpr15
	v_cmpx_ne_u64_e32 0, v[9:10]
; %bb.23:
	v_sub_nc_u32_e32 v4, v22, v14
	s_mov_b32 s5, exec_lo
	s_delay_alu instid0(VALU_DEP_1) | instskip(NEXT) | instid1(VALU_DEP_1)
	v_lshl_add_u32 v4, v4, 5, v11
	v_ashrrev_i32_e32 v5, 31, v4
	s_delay_alu instid0(VALU_DEP_1) | instskip(NEXT) | instid1(VALU_DEP_1)
	v_lshrrev_b32_e32 v5, 27, v5
	v_add_nc_u32_e32 v5, v4, v5
	s_delay_alu instid0(VALU_DEP_1) | instskip(SKIP_1) | instid1(VALU_DEP_2)
	v_and_b32_e32 v6, 0xffffffe0, v5
	v_ashrrev_i32_e32 v15, 5, v5
	v_sub_nc_u32_e32 v6, v4, v6
	v_dual_mov_b32 v4, v12 :: v_dual_mov_b32 v5, v13
; %bb.24:
	s_or_b32 exec_lo, exec_lo, s6
	v_dual_mov_b32 v7, v9 :: v_dual_mov_b32 v8, v10
	s_xor_b32 s6, exec_lo, -1
	s_and_b32 s5, s5, exec_lo
.LBB0_25:
	s_or_b32 exec_lo, exec_lo, s0
	s_delay_alu instid0(SALU_CYCLE_1)
	s_and_b32 s6, s6, exec_lo
	s_and_b32 s5, s5, exec_lo
.LBB0_26:
	s_or_b32 exec_lo, exec_lo, s4
	s_delay_alu instid0(SALU_CYCLE_1)
	s_xor_b32 s0, exec_lo, -1
	s_and_b32 s4, s6, exec_lo
	s_and_b32 s5, s5, exec_lo
.LBB0_27:
	s_or_b32 exec_lo, exec_lo, s3
	s_and_saveexec_b32 s3, s5
	s_cbranch_execz .LBB0_37
.LBB0_28:
	v_ashrrev_i32_e32 v9, 31, v8
	s_mov_b32 s5, exec_lo
	s_delay_alu instid0(VALU_DEP_1) | instskip(NEXT) | instid1(VALU_DEP_1)
	v_lshrrev_b32_e32 v9, 24, v9
	v_add_co_u32 v9, vcc_lo, v7, v9
	v_add_co_ci_u32_e32 v10, vcc_lo, 0, v8, vcc_lo
	s_delay_alu instid0(VALU_DEP_1) | instskip(SKIP_1) | instid1(VALU_DEP_2)
	v_ashrrev_i64 v[11:12], 8, v[9:10]
	v_ashrrev_i32_e32 v10, 31, v15
	v_sub_co_u32 v9, vcc_lo, v11, v15
	s_delay_alu instid0(VALU_DEP_2) | instskip(NEXT) | instid1(VALU_DEP_1)
	v_sub_co_ci_u32_e32 v10, vcc_lo, v12, v10, vcc_lo
	v_cmpx_gt_i64_e32 1, v[9:10]
	s_xor_b32 s5, exec_lo, s5
	s_cbranch_execz .LBB0_34
; %bb.29:
	v_lshlrev_b64 v[10:11], 8, v[11:12]
	s_mov_b32 s6, exec_lo
	s_delay_alu instid0(VALU_DEP_1)
	v_cmpx_ne_u64_e64 v[7:8], v[10:11]
	s_cbranch_execz .LBB0_33
; %bb.30:
	v_lshlrev_b32_e32 v9, 5, v9
	v_sub_co_u32 v12, vcc_lo, v7, v10
	v_sub_co_ci_u32_e32 v13, vcc_lo, v8, v11, vcc_lo
	s_delay_alu instid0(VALU_DEP_3) | instskip(NEXT) | instid1(VALU_DEP_1)
	v_sub_nc_u32_e32 v6, v6, v9
	v_ashrrev_i32_e32 v7, 31, v6
	s_delay_alu instid0(VALU_DEP_1)
	v_cmp_gt_i64_e32 vcc_lo, v[12:13], v[6:7]
	s_and_b32 exec_lo, exec_lo, vcc_lo
	s_cbranch_execz .LBB0_33
; %bb.31:
	v_add_co_u32 v4, vcc_lo, v10, v4
	v_add_co_ci_u32_e32 v5, vcc_lo, v11, v5, vcc_lo
	s_delay_alu instid0(VALU_DEP_2) | instskip(NEXT) | instid1(VALU_DEP_2)
	v_add_co_u32 v6, vcc_lo, v4, v6
	v_add_co_ci_u32_e32 v7, vcc_lo, v5, v7, vcc_lo
	s_delay_alu instid0(VALU_DEP_2) | instskip(NEXT) | instid1(VALU_DEP_2)
	v_add_co_u32 v4, vcc_lo, v6, v16
	v_add_co_ci_u32_e32 v5, vcc_lo, v7, v17, vcc_lo
	flat_load_u8 v8, v[4:5]
	v_add_co_u32 v4, vcc_lo, v6, v18
	v_add_co_ci_u32_e32 v5, vcc_lo, v7, v19, vcc_lo
	s_mov_b32 vcc_lo, exec_lo
	s_waitcnt vmcnt(0) lgkmcnt(0)
	flat_store_b8 v[4:5], v8 glc slc dlc
.LBB0_32:                               ; =>This Inner Loop Header: Depth=1
	s_cbranch_vccnz .LBB0_32
.LBB0_33:
	s_or_b32 exec_lo, exec_lo, s6
                                        ; implicit-def: $vgpr15
                                        ; implicit-def: $vgpr6
                                        ; implicit-def: $vgpr4_vgpr5
.LBB0_34:
	s_and_not1_saveexec_b32 s5, s5
	s_cbranch_execz .LBB0_37
; %bb.35:
	v_lshl_add_u32 v6, v15, 8, v6
	s_delay_alu instid0(VALU_DEP_1) | instskip(SKIP_1) | instid1(VALU_DEP_2)
	v_ashrrev_i32_e32 v7, 31, v6
	v_add_co_u32 v6, vcc_lo, v4, v6
	v_add_co_ci_u32_e32 v7, vcc_lo, v5, v7, vcc_lo
	s_delay_alu instid0(VALU_DEP_2) | instskip(NEXT) | instid1(VALU_DEP_2)
	v_add_co_u32 v4, vcc_lo, v6, v18
	v_add_co_ci_u32_e32 v5, vcc_lo, v7, v19, vcc_lo
	v_add_co_u32 v6, vcc_lo, v6, v16
	v_add_co_ci_u32_e32 v7, vcc_lo, v7, v17, vcc_lo
	s_mov_b32 vcc_lo, 0
	s_set_inst_prefetch_distance 0x1
	.p2align	6
.LBB0_36:                               ; =>This Inner Loop Header: Depth=1
	s_clause 0x7
	flat_load_u8 v8, v[6:7] slc dlc
	flat_load_u8 v9, v[6:7] offset:32 slc dlc
	flat_load_u8 v10, v[6:7] offset:64 slc dlc
	;; [unrolled: 1-line block ×7, first 2 shown]
	s_waitcnt vmcnt(7) lgkmcnt(7)
	flat_store_b8 v[4:5], v8 glc slc dlc
	s_waitcnt vmcnt(6) lgkmcnt(7)
	flat_store_b8 v[4:5], v9 offset:32 glc slc dlc
	s_waitcnt vmcnt(5) lgkmcnt(7)
	flat_store_b8 v[4:5], v10 offset:64 glc slc dlc
	;; [unrolled: 2-line block ×7, first 2 shown]
	s_cbranch_vccz .LBB0_36
.LBB0_37:
	s_set_inst_prefetch_distance 0x2
	s_or_b32 exec_lo, exec_lo, s3
	s_and_saveexec_b32 s3, s4
	s_cbranch_execz .LBB0_40
; %bb.38:
	v_add_co_u32 v2, vcc_lo, v0, v2
	v_add_co_ci_u32_e32 v3, vcc_lo, v1, v3, vcc_lo
	s_delay_alu instid0(VALU_DEP_2) | instskip(NEXT) | instid1(VALU_DEP_2)
	v_add_co_u32 v0, vcc_lo, v2, v18
	v_add_co_ci_u32_e32 v1, vcc_lo, v3, v19, vcc_lo
	v_add_co_u32 v2, vcc_lo, v2, v16
	v_add_co_ci_u32_e32 v3, vcc_lo, v3, v17, vcc_lo
	s_mov_b32 vcc_lo, 0
.LBB0_39:                               ; =>This Inner Loop Header: Depth=1
	global_load_b128 v[4:7], v[2:3], off slc dlc
	s_waitcnt vmcnt(0)
	global_store_b128 v[0:1], v[4:7], off glc slc dlc
	s_cbranch_vccz .LBB0_39
.LBB0_40:
	s_or_b32 exec_lo, exec_lo, s3
	s_and_saveexec_b32 s3, s0
	s_delay_alu instid0(SALU_CYCLE_1)
	s_xor_b32 s3, exec_lo, s3
	s_cbranch_execz .LBB0_43
; %bb.41:
	v_lshlrev_b32_e32 v0, 4, v20
	s_delay_alu instid0(VALU_DEP_1) | instskip(NEXT) | instid1(VALU_DEP_1)
	v_lshl_add_u32 v2, v21, 10, v0
	v_ashrrev_i32_e32 v3, 31, v2
	v_add_co_u32 v0, vcc_lo, v18, v2
	s_delay_alu instid0(VALU_DEP_2)
	v_add_co_ci_u32_e32 v1, vcc_lo, v19, v3, vcc_lo
	v_add_co_u32 v2, vcc_lo, v16, v2
	v_add_co_ci_u32_e32 v3, vcc_lo, v17, v3, vcc_lo
	s_mov_b32 vcc_lo, 0
.LBB0_42:                               ; =>This Inner Loop Header: Depth=1
	s_clause 0x1
	global_load_b128 v[4:7], v[2:3], off slc dlc
	global_load_b128 v[8:11], v[2:3], off offset:512 slc dlc
	s_waitcnt vmcnt(1)
	global_store_b128 v[0:1], v[4:7], off glc slc dlc
	s_waitcnt vmcnt(0)
	global_store_b128 v[0:1], v[8:11], off offset:512 glc slc dlc
	s_cbranch_vccz .LBB0_42
.LBB0_43:
	s_or_b32 exec_lo, exec_lo, s2
                                        ; implicit-def: $vgpr7_vgpr8
                                        ; implicit-def: $vgpr27_vgpr28
                                        ; implicit-def: $vgpr17_vgpr18
                                        ; implicit-def: $vgpr4
                                        ; implicit-def: $vgpr1
                                        ; implicit-def: $vgpr25_vgpr26
                                        ; implicit-def: $vgpr9_vgpr10_vgpr11_vgpr12
                                        ; implicit-def: $vgpr31
                                        ; implicit-def: $vgpr2_vgpr3
                                        ; implicit-def: $vgpr0
                                        ; implicit-def: $vgpr102
.LBB0_44:
	s_and_not1_saveexec_b32 s11, s1
	s_cbranch_execz .LBB0_468
; %bb.45:
	s_load_b32 s0, s[8:9], 0x0
	v_mov_b32_e32 v5, 0
	s_mov_b32 s2, 0
	s_waitcnt lgkmcnt(0)
	s_cmp_lt_u32 s12, s0
	s_cselect_b32 s0, 12, 18
	s_delay_alu instid0(SALU_CYCLE_1)
	s_add_u32 s0, s8, s0
	s_addc_u32 s1, s9, 0
	s_clause 0x1
	flat_load_u16 v14, v[2:3] offset:8
	flat_load_b32 v13, v[2:3] offset:4
	global_load_u16 v6, v5, s[0:1]
	s_cbranch_execnz .LBB0_51
; %bb.46:
	ds_load_b32 v2, v0
	v_ashrrev_i32_e32 v5, 31, v4
	s_waitcnt vmcnt(1) lgkmcnt(1)
	v_lshrrev_b64 v[13:14], 31, v[13:14]
	s_delay_alu instid0(VALU_DEP_2) | instskip(NEXT) | instid1(VALU_DEP_2)
	v_lshrrev_b32_e32 v3, 27, v5
	v_and_b32_e32 v14, 3, v13
	s_delay_alu instid0(VALU_DEP_2) | instskip(NEXT) | instid1(VALU_DEP_1)
	v_add_nc_u32_e32 v3, v4, v3
	v_and_b32_e32 v3, 0xffffffe0, v3
	s_waitcnt lgkmcnt(0)
	v_cmp_gt_i32_e32 vcc_lo, 0, v2
	s_delay_alu instid0(VALU_DEP_2)
	v_sub_nc_u32_e32 v13, v4, v3
	v_readfirstlane_b32 s1, v2
	s_cbranch_vccnz .LBB0_53
; %bb.47:
	s_delay_alu instid0(VALU_DEP_2)
	v_cmp_eq_u32_e32 vcc_lo, 0, v13
	s_cbranch_execnz .LBB0_57
; %bb.48:
	ds_load_b64 v[15:16], v0
	v_dual_mov_b32 v3, 0 :: v_dual_and_b32 v18, 0xffff, v14
	s_mov_b32 s2, 1
	s_delay_alu instid0(VALU_DEP_1) | instskip(SKIP_1) | instid1(VALU_DEP_1)
	v_lshlrev_b64 v[2:3], 3, v[2:3]
	s_waitcnt lgkmcnt(0)
	v_add_co_u32 v2, s0, v15, v2
	s_delay_alu instid0(VALU_DEP_1)
	v_add_co_ci_u32_e64 v3, s0, v16, v3, s0
	flat_load_b64 v[2:3], v[2:3]
	s_waitcnt vmcnt(0) lgkmcnt(0)
	v_mad_u64_u32 v[15:16], null, 0xa8, v18, v[2:3]
	s_clause 0x1
	flat_load_b64 v[32:33], v[15:16] offset:504
	flat_load_b64 v[34:35], v[15:16] offset:608
	v_add_co_u32 v2, s0, 0x1f8, v15
	s_delay_alu instid0(VALU_DEP_1) | instskip(NEXT) | instid1(VALU_DEP_1)
	v_add_co_ci_u32_e64 v3, s0, 0, v16, s0
	v_dual_cndmask_b32 v29, 0, v2 :: v_dual_cndmask_b32 v30, 0, v3
	s_cbranch_execz .LBB0_54
.LBB0_49:
	s_trap 2
	s_sendmsg_rtn_b32 s0, sendmsg(MSG_RTN_GET_DOORBELL)
	s_mov_b32 ttmp2, m0
	s_waitcnt lgkmcnt(0)
	s_and_b32 s0, s0, 0x3ff
	s_delay_alu instid0(SALU_CYCLE_1) | instskip(NEXT) | instid1(SALU_CYCLE_1)
	s_bitset1_b32 s0, 10
	s_mov_b32 m0, s0
	s_sendmsg sendmsg(MSG_INTERRUPT)
	s_mov_b32 m0, ttmp2
.LBB0_50:                               ; =>This Inner Loop Header: Depth=1
	s_sethalt 5
	s_branch .LBB0_50
.LBB0_51:
	s_trap 2
	s_sendmsg_rtn_b32 s0, sendmsg(MSG_RTN_GET_DOORBELL)
	s_mov_b32 ttmp2, m0
	s_waitcnt lgkmcnt(0)
	s_and_b32 s0, s0, 0x3ff
	s_delay_alu instid0(SALU_CYCLE_1) | instskip(NEXT) | instid1(SALU_CYCLE_1)
	s_bitset1_b32 s0, 10
	s_mov_b32 m0, s0
	s_sendmsg sendmsg(MSG_INTERRUPT)
	s_mov_b32 m0, ttmp2
.LBB0_52:                               ; =>This Inner Loop Header: Depth=1
	s_sethalt 5
	s_branch .LBB0_52
.LBB0_53:
	v_mov_b32_e32 v29, 0
	v_mov_b32_e32 v30, 0
                                        ; implicit-def: $vgpr34_vgpr35
                                        ; implicit-def: $vgpr32_vgpr33
	s_cbranch_execnz .LBB0_49
.LBB0_54:
	ds_load_b32 v2, v0
	v_mov_b32_e32 v38, 0
	v_mov_b32_e32 v39, 0
	s_waitcnt lgkmcnt(0)
	v_cmp_gt_i32_e32 vcc_lo, 0, v2
	s_cbranch_vccnz .LBB0_59
; %bb.55:
	s_cbranch_execnz .LBB0_384
; %bb.56:
	ds_load_b64 v[15:16], v0
	v_mov_b32_e32 v3, 0
	s_delay_alu instid0(VALU_DEP_1) | instskip(SKIP_1) | instid1(VALU_DEP_1)
	v_lshlrev_b64 v[2:3], 3, v[2:3]
	s_waitcnt lgkmcnt(0)
	v_add_co_u32 v2, vcc_lo, v15, v2
	s_delay_alu instid0(VALU_DEP_2)
	v_add_co_ci_u32_e32 v3, vcc_lo, v16, v3, vcc_lo
	v_and_b32_e32 v16, 0xffff, v14
	v_cmp_eq_u32_e32 vcc_lo, 0, v13
	flat_load_b64 v[2:3], v[2:3]
	s_waitcnt vmcnt(0) lgkmcnt(0)
	v_mad_u64_u32 v[14:15], null, 0xa8, v16, v[2:3]
	s_clause 0x1
	flat_load_b64 v[48:49], v[14:15]
	flat_load_b64 v[21:22], v[14:15] offset:104
	v_dual_cndmask_b32 v37, 0, v15 :: v_dual_cndmask_b32 v36, 0, v14
	s_branch .LBB0_60
.LBB0_57:
	s_trap 2
	s_sendmsg_rtn_b32 s0, sendmsg(MSG_RTN_GET_DOORBELL)
	s_mov_b32 ttmp2, m0
	s_waitcnt lgkmcnt(0)
	s_and_b32 s0, s0, 0x3ff
	s_delay_alu instid0(SALU_CYCLE_1) | instskip(NEXT) | instid1(SALU_CYCLE_1)
	s_bitset1_b32 s0, 10
	s_mov_b32 m0, s0
	s_sendmsg sendmsg(MSG_INTERRUPT)
	s_mov_b32 m0, ttmp2
.LBB0_58:                               ; =>This Inner Loop Header: Depth=1
	s_sethalt 5
	s_branch .LBB0_58
.LBB0_59:
	s_delay_alu instid0(VALU_DEP_2)
	v_dual_mov_b32 v36, v38 :: v_dual_mov_b32 v37, v39
                                        ; implicit-def: $vgpr21_vgpr22
                                        ; implicit-def: $vgpr48_vgpr49
.LBB0_60:
	v_subrev_nc_u32_e32 v2, 32, v1
	v_cmp_gt_i32_e64 s0, s2, v13
                                        ; implicit-def: $vgpr50_vgpr51
	s_delay_alu instid0(VALU_DEP_2) | instskip(NEXT) | instid1(VALU_DEP_2)
	v_cmp_le_i32_e32 vcc_lo, v2, v4
	s_and_b32 s12, vcc_lo, s0
	s_delay_alu instid0(SALU_CYCLE_1)
	s_and_saveexec_b32 s0, s12
; %bb.61:
	s_clause 0x1
	flat_load_b64 v[38:39], v[29:30] offset:56
	flat_load_b64 v[50:51], v[29:30] offset:104
; %bb.62:
	s_or_b32 exec_lo, exec_lo, s0
	v_mov_b32_e32 v2, 0
	v_mov_b32_e32 v3, 0
	v_cmp_gt_i32_e64 s0, s2, v4
                                        ; implicit-def: $vgpr54_vgpr55
	s_delay_alu instid0(VALU_DEP_2) | instskip(SKIP_1) | instid1(VALU_DEP_3)
	v_dual_mov_b32 v14, v3 :: v_dual_mov_b32 v13, v2
	v_dual_mov_b32 v53, v3 :: v_dual_mov_b32 v52, v2
	s_and_saveexec_b32 s2, s0
	s_cbranch_execz .LBB0_64
; %bb.63:
	flat_load_b64 v[52:53], v[36:37] offset:56
	s_waitcnt vmcnt(0) lgkmcnt(0)
	flat_load_b64 v[54:55], v[52:53] glc dlc
	s_waitcnt vmcnt(0)
	flat_load_b128 v[13:16], v[36:37] offset:96
.LBB0_64:
	s_or_b32 exec_lo, exec_lo, s2
	s_waitcnt vmcnt(0)
	v_and_b32_e32 v103, 0xffff, v6
	s_mov_b32 s13, exec_lo
	v_cmpx_ne_u64_e32 0, v[7:8]
	s_cbranch_execz .LBB0_371
; %bb.65:
	v_cvt_f64_u32_e32 v[2:3], 0
	v_lshlrev_b32_e32 v6, 4, v17
	v_dual_mov_b32 v68, 0 :: v_dual_lshlrev_b32 v117, 3, v1
	v_mov_b32_e32 v69, 0
	s_delay_alu instid0(VALU_DEP_3)
	v_dual_mov_b32 v81, v28 :: v_dual_and_b32 v112, 0x1fffff0, v6
	v_lshlrev_b32_e32 v114, 3, v4
	v_lshlrev_b32_e32 v133, 6, v1
	s_ashr_i32 s2, s1, 31
	v_dual_mov_b32 v145, 0 :: v_dual_and_b32 v20, 31, v31
	v_cvt_f64_u32_e32 v[18:19], v112
	s_lshr_b32 s2, s2, 29
	s_waitcnt lgkmcnt(1)
	v_cmp_ne_u64_e64 s6, 0, v[38:39]
	s_add_i32 s1, s1, s2
	s_waitcnt lgkmcnt(0)
	v_cmp_ne_u64_e64 s2, 0, v[13:14]
	s_ashr_i32 s14, s1, 7
	v_cmp_ne_u64_e64 s1, 0, v[52:53]
	v_cmp_ne_u32_e64 s3, 32, v1
	v_cmp_ne_u32_e64 s4, v103, v1
	v_cmp_eq_u32_e64 s5, 0, v20
	v_ashrrev_i32_e32 v128, 31, v117
	s_cmp_lt_i32 s10, 3
	s_mov_b32 s15, 0
	s_cselect_b32 s16, -1, 0
	s_add_i32 s17, s10, -2
	v_mov_b32_e32 v144, 1
	v_mov_b32_e32 v80, v27
	v_ldexp_f64 v[2:3], v[2:3], 32
	s_delay_alu instid0(VALU_DEP_1) | instskip(SKIP_1) | instid1(VALU_DEP_1)
	v_add_f64 v[18:19], v[2:3], v[18:19]
	v_ashrrev_i32_e32 v2, 31, v1
	v_lshrrev_b32_e32 v3, 27, v2
	v_mov_b32_e32 v6, 0
	v_lshlrev_b64 v[70:71], 4, v[1:2]
	s_delay_alu instid0(VALU_DEP_3) | instskip(NEXT) | instid1(VALU_DEP_1)
	v_add_nc_u32_e32 v3, v1, v3
	v_ashrrev_i32_e32 v113, 5, v3
	v_and_b32_e32 v3, 0x1fffff, v17
	s_delay_alu instid0(VALU_DEP_2) | instskip(NEXT) | instid1(VALU_DEP_2)
	v_ashrrev_i32_e32 v115, 31, v113
	v_lshlrev_b32_e32 v132, 7, v3
	v_dual_mov_b32 v2, v68 :: v_dual_mov_b32 v3, v69
	v_ashrrev_i32_e32 v116, 31, v114
	v_add_co_u32 v118, vcc_lo, v9, v114
	s_delay_alu instid0(VALU_DEP_2) | instskip(SKIP_2) | instid1(VALU_DEP_2)
	v_add_co_ci_u32_e32 v119, vcc_lo, v10, v116, vcc_lo
	v_add_co_u32 v129, vcc_lo, v11, v114
	v_add_co_ci_u32_e32 v130, vcc_lo, v12, v116, vcc_lo
	v_add_co_u32 v66, vcc_lo, v129, v27
	v_max_f64 v[64:65], v[18:19], v[18:19]
	v_lshlrev_b64 v[17:18], 4, v[4:5]
	s_delay_alu instid0(VALU_DEP_4) | instskip(NEXT) | instid1(VALU_DEP_4)
	v_add_co_ci_u32_e32 v67, vcc_lo, v130, v28, vcc_lo
	v_lshlrev_b32_e32 v131, 3, v66
	s_delay_alu instid0(VALU_DEP_3) | instskip(NEXT) | instid1(VALU_DEP_4)
	v_add_co_u32 v134, vcc_lo, v48, v17
	v_add_co_ci_u32_e32 v135, vcc_lo, v49, v18, vcc_lo
.LBB0_66:                               ; =>This Loop Header: Depth=1
                                        ;     Child Loop BB0_74 Depth 2
                                        ;     Child Loop BB0_94 Depth 2
	;; [unrolled: 1-line block ×9, first 2 shown]
                                        ;       Child Loop BB0_202 Depth 3
                                        ;       Child Loop BB0_222 Depth 3
	;; [unrolled: 1-line block ×3, first 2 shown]
                                        ;         Child Loop BB0_242 Depth 4
                                        ;       Child Loop BB0_284 Depth 3
                                        ;       Child Loop BB0_301 Depth 3
                                        ;     Child Loop BB0_308 Depth 2
                                        ;       Child Loop BB0_312 Depth 3
                                        ;     Child Loop BB0_354 Depth 2
	flat_load_b32 v5, v[25:26]
	s_waitcnt vmcnt(1) lgkmcnt(1)
	v_sub_co_u32 v19, vcc_lo, v7, v68
	v_sub_co_ci_u32_e32 v17, vcc_lo, v8, v69, vcc_lo
	v_add_co_u32 v146, vcc_lo, v68, v27
	s_delay_alu instid0(VALU_DEP_3) | instskip(NEXT) | instid1(VALU_DEP_3)
	v_cvt_f64_u32_e32 v[19:20], v19
	v_cvt_f64_u32_e32 v[17:18], v17
	v_add_co_ci_u32_e32 v147, vcc_lo, v69, v28, vcc_lo
	s_mov_b32 s7, exec_lo
	s_delay_alu instid0(VALU_DEP_2) | instskip(NEXT) | instid1(VALU_DEP_1)
	v_ldexp_f64 v[17:18], v[17:18], 32
	v_add_f64 v[17:18], v[17:18], v[19:20]
	s_delay_alu instid0(VALU_DEP_1) | instskip(NEXT) | instid1(VALU_DEP_1)
	v_min_f64 v[17:18], v[64:65], v[17:18]
	v_cvt_i32_f64_e32 v17, v[17:18]
	s_delay_alu instid0(VALU_DEP_1) | instskip(NEXT) | instid1(VALU_DEP_1)
	v_max_i32_e32 v96, 0, v17
	v_add_nc_u32_e32 v82, 7, v96
	s_waitcnt vmcnt(0) lgkmcnt(0)
	v_ashrrev_i32_e32 v19, 31, v5
	v_mul_lo_u32 v20, v102, v5
	v_mad_u64_u32 v[17:18], null, v0, v5, 0
	s_delay_alu instid0(VALU_DEP_3) | instskip(NEXT) | instid1(VALU_DEP_2)
	v_mul_lo_u32 v5, v0, v19
	v_add_co_u32 v23, vcc_lo, v17, v146
	s_delay_alu instid0(VALU_DEP_2) | instskip(SKIP_1) | instid1(VALU_DEP_2)
	v_add3_u32 v18, v18, v5, v20
	v_ashrrev_i32_e32 v5, 31, v82
	v_add_co_ci_u32_e32 v24, vcc_lo, v18, v147, vcc_lo
	s_delay_alu instid0(VALU_DEP_2) | instskip(SKIP_2) | instid1(VALU_DEP_3)
	v_lshrrev_b32_e32 v5, 29, v5
	v_add_co_u32 v19, vcc_lo, v11, v146
	v_add_co_ci_u32_e32 v20, vcc_lo, v12, v147, vcc_lo
	v_add_nc_u32_e32 v5, v82, v5
	v_add_co_u32 v23, vcc_lo, v9, v23
	v_add_co_ci_u32_e32 v24, vcc_lo, v10, v24, vcc_lo
	s_delay_alu instid0(VALU_DEP_3) | instskip(NEXT) | instid1(VALU_DEP_2)
	v_ashrrev_i32_e32 v148, 3, v5
	v_cmpx_ne_u64_e64 v[19:20], v[23:24]
	s_xor_b32 s9, exec_lo, s7
	s_cbranch_execz .LBB0_137
; %bb.67:                               ;   in Loop: Header=BB0_66 Depth=1
	s_and_saveexec_b32 s7, s1
	s_cbranch_execz .LBB0_85
; %bb.68:                               ;   in Loop: Header=BB0_66 Depth=1
	v_add_co_u32 v19, vcc_lo, v15, 1
	v_add_co_ci_u32_e32 v20, vcc_lo, 0, v16, vcc_lo
	v_add_co_u32 v23, vcc_lo, v54, 8
	v_add_co_ci_u32_e32 v24, vcc_lo, 0, v55, vcc_lo
	s_mov_b32 s8, exec_lo
	s_delay_alu instid0(VALU_DEP_1)
	v_cmpx_lt_u64_e64 v[23:24], v[19:20]
	s_cbranch_execz .LBB0_82
; %bb.69:                               ;   in Loop: Header=BB0_66 Depth=1
	s_sleep 1
	flat_load_b64 v[54:55], v[52:53] glc
	v_cmp_eq_u32_e32 vcc_lo, 0, v145
	s_and_saveexec_b32 s18, vcc_lo
	s_cbranch_execz .LBB0_81
; %bb.70:                               ;   in Loop: Header=BB0_66 Depth=1
	v_cndmask_b32_e64 v5, 0, 1, vcc_lo
	s_mov_b32 s19, 0
                                        ; implicit-def: $sgpr20
	s_branch .LBB0_74
.LBB0_71:                               ;   in Loop: Header=BB0_74 Depth=2
	s_or_b32 exec_lo, exec_lo, s23
	s_delay_alu instid0(SALU_CYCLE_1)
	s_or_not1_b32 s23, s24, exec_lo
.LBB0_72:                               ;   in Loop: Header=BB0_74 Depth=2
	s_or_b32 exec_lo, exec_lo, s22
	s_xor_b32 s22, s23, -1
	s_and_not1_b32 s20, s20, exec_lo
	s_and_b32 s22, s22, exec_lo
	s_delay_alu instid0(SALU_CYCLE_1)
	s_or_b32 s20, s20, s22
.LBB0_73:                               ;   in Loop: Header=BB0_74 Depth=2
	s_or_b32 exec_lo, exec_lo, s21
	s_delay_alu instid0(SALU_CYCLE_1) | instskip(NEXT) | instid1(SALU_CYCLE_1)
	s_and_b32 s21, exec_lo, s20
	s_or_b32 s19, s21, s19
	s_delay_alu instid0(SALU_CYCLE_1)
	s_and_not1_b32 exec_lo, exec_lo, s19
	s_cbranch_execz .LBB0_80
.LBB0_74:                               ;   Parent Loop BB0_66 Depth=1
                                        ; =>  This Inner Loop Header: Depth=2
	s_waitcnt vmcnt(0) lgkmcnt(0)
	v_add_co_u32 v23, vcc_lo, v54, 8
	v_add_co_ci_u32_e32 v24, vcc_lo, 0, v55, vcc_lo
	v_mov_b32_e32 v145, 0
	s_or_b32 s20, s20, exec_lo
	s_mov_b32 s21, exec_lo
	s_delay_alu instid0(VALU_DEP_2)
	v_cmpx_lt_u64_e64 v[23:24], v[19:20]
	s_cbranch_execz .LBB0_73
; %bb.75:                               ;   in Loop: Header=BB0_74 Depth=2
	s_sleep 1
	flat_load_b64 v[54:55], v[52:53] glc
	v_add_nc_u32_e32 v5, 1, v5
	v_mov_b32_e32 v145, 0
	s_mov_b32 s23, -1
	s_mov_b32 s22, exec_lo
	s_delay_alu instid0(VALU_DEP_2)
	v_cmpx_eq_u32_e32 0x2710, v5
	s_cbranch_execz .LBB0_72
; %bb.76:                               ;   in Loop: Header=BB0_74 Depth=2
	s_cbranch_execnz .LBB0_394
; %bb.77:                               ;   in Loop: Header=BB0_74 Depth=2
	ds_load_b64 v[23:24], v0
	v_mov_b32_e32 v5, 0
	v_mov_b32_e32 v145, 0
	s_mov_b32 s24, -1
	s_mov_b32 s23, exec_lo
	s_waitcnt vmcnt(0) lgkmcnt(0)
	s_waitcnt_vscnt null, 0x0
	flat_load_b32 v16, v[23:24] glc
	s_waitcnt vmcnt(0) lgkmcnt(0)
	buffer_gl1_inv
	buffer_gl0_inv
	v_cmpx_ne_u32_e32 0, v16
	s_cbranch_execz .LBB0_71
; %bb.78:                               ;   in Loop: Header=BB0_74 Depth=2
	ds_store_b32 v0, v16
	s_cbranch_execnz .LBB0_427
; %bb.79:                               ;   in Loop: Header=BB0_74 Depth=2
	v_mov_b32_e32 v145, 1
	s_xor_b32 s24, exec_lo, -1
	s_branch .LBB0_71
.LBB0_80:                               ;   in Loop: Header=BB0_66 Depth=1
	s_or_b32 exec_lo, exec_lo, s19
.LBB0_81:                               ;   in Loop: Header=BB0_66 Depth=1
	s_delay_alu instid0(SALU_CYCLE_1)
	s_or_b32 exec_lo, exec_lo, s18
.LBB0_82:                               ;   in Loop: Header=BB0_66 Depth=1
	s_delay_alu instid0(SALU_CYCLE_1)
	s_or_b32 exec_lo, exec_lo, s8
	s_and_saveexec_b32 s8, s2
	s_cbranch_execz .LBB0_84
; %bb.83:                               ;   in Loop: Header=BB0_66 Depth=1
	v_and_b32_e32 v5, 0x7ffffff8, v15
	v_and_b32_e32 v16, 7, v15
	s_delay_alu instid0(VALU_DEP_2) | instskip(NEXT) | instid1(VALU_DEP_2)
	v_cmp_eq_u64_e32 vcc_lo, 0x7ffffff8, v[5:6]
	v_mad_u64_u32 v[23:24], null, v16, 24, v[13:14]
	v_cndmask_b32_e64 v5, v148, s14, vcc_lo
	s_delay_alu instid0(VALU_DEP_1) | instskip(NEXT) | instid1(VALU_DEP_1)
	v_lshlrev_b32_e32 v15, 4, v5
	v_ashrrev_i32_e32 v16, 31, v15
	flat_store_b64 v[23:24], v[15:16] offset:8 dlc
	s_waitcnt_vscnt null, 0x0
.LBB0_84:                               ;   in Loop: Header=BB0_66 Depth=1
	s_or_b32 exec_lo, exec_lo, s8
	v_dual_mov_b32 v15, v19 :: v_dual_mov_b32 v16, v20
.LBB0_85:                               ;   in Loop: Header=BB0_66 Depth=1
	s_or_b32 exec_lo, exec_lo, s7
	s_and_saveexec_b32 s7, s3
	s_cbranch_execz .LBB0_107
; %bb.86:                               ;   in Loop: Header=BB0_66 Depth=1
	s_and_saveexec_b32 s8, s4
	s_delay_alu instid0(SALU_CYCLE_1)
	s_xor_b32 s8, exec_lo, s8
	s_cbranch_execz .LBB0_104
; %bb.87:                               ;   in Loop: Header=BB0_66 Depth=1
	s_and_saveexec_b32 s18, s5
	s_cbranch_execz .LBB0_103
; %bb.88:                               ;   in Loop: Header=BB0_66 Depth=1
	s_mov_b32 s20, exec_lo
	s_mov_b32 s19, exec_lo
	v_mbcnt_lo_u32_b32 v5, s20, 0
	s_waitcnt vmcnt(0) lgkmcnt(0)
	s_waitcnt_vscnt null, 0x0
	buffer_gl1_inv
	buffer_gl0_inv
	v_cmpx_eq_u32_e32 0, v5
	s_cbranch_execz .LBB0_90
; %bb.89:                               ;   in Loop: Header=BB0_66 Depth=1
	s_bcnt1_i32_b32 s20, s20
	s_delay_alu instid0(SALU_CYCLE_1)
	v_mov_b32_e32 v5, s20
	ds_add_u64 v0, v[5:6]
	s_cbranch_execnz .LBB0_421
.LBB0_90:                               ;   in Loop: Header=BB0_66 Depth=1
	s_or_b32 exec_lo, exec_lo, s19
	s_cbranch_execnz .LBB0_413
; %bb.91:                               ;   in Loop: Header=BB0_66 Depth=1
	ds_load_b64 v[19:20], v0
	v_add_co_u32 v2, vcc_lo, v2, v113
	v_add_co_ci_u32_e32 v3, vcc_lo, v3, v115, vcc_lo
	s_mov_b32 s19, exec_lo
	s_waitcnt lgkmcnt(0)
	s_delay_alu instid0(VALU_DEP_1)
	v_cmpx_lt_u64_e64 v[19:20], v[2:3]
	s_cbranch_execz .LBB0_102
; %bb.92:                               ;   in Loop: Header=BB0_66 Depth=1
	s_mov_b32 s20, 0
	s_mov_b32 s23, 0
                                        ; implicit-def: $sgpr21
                                        ; implicit-def: $sgpr22
	s_branch .LBB0_94
.LBB0_93:                               ;   in Loop: Header=BB0_94 Depth=2
	s_or_b32 exec_lo, exec_lo, s26
	s_delay_alu instid0(SALU_CYCLE_1) | instskip(NEXT) | instid1(SALU_CYCLE_1)
	s_and_b32 s24, exec_lo, s25
	s_or_b32 s20, s24, s20
	s_and_not1_b32 s21, s21, exec_lo
	s_and_b32 s24, s22, exec_lo
	s_delay_alu instid0(SALU_CYCLE_1)
	s_or_b32 s21, s21, s24
	s_and_not1_b32 exec_lo, exec_lo, s20
	s_cbranch_execz .LBB0_100
.LBB0_94:                               ;   Parent Loop BB0_66 Depth=1
                                        ; =>  This Inner Loop Header: Depth=2
	s_add_i32 s23, s23, 1
                                        ; implicit-def: $sgpr25
	s_delay_alu instid0(SALU_CYCLE_1) | instskip(SKIP_1) | instid1(SALU_CYCLE_1)
	s_cmpk_lg_i32 s23, 0x2710
	s_cselect_b32 s24, -1, 0
	s_and_b32 vcc_lo, exec_lo, s24
	s_cbranch_vccz .LBB0_98
.LBB0_95:                               ;   in Loop: Header=BB0_94 Depth=2
	s_and_not1_b32 s22, s22, exec_lo
	s_and_b32 s26, s25, exec_lo
	s_mov_b32 s25, -1
	s_or_b32 s22, s22, s26
	s_and_saveexec_b32 s26, s24
	s_cbranch_execz .LBB0_93
; %bb.96:                               ;   in Loop: Header=BB0_94 Depth=2
	s_sleep 1
	s_cbranch_execnz .LBB0_445
; %bb.97:                               ;   in Loop: Header=BB0_94 Depth=2
	ds_load_b64 v[19:20], v0
	s_and_not1_b32 s22, s22, exec_lo
	s_waitcnt lgkmcnt(0)
	v_cmp_ge_u64_e32 vcc_lo, v[19:20], v[2:3]
	s_or_not1_b32 s25, vcc_lo, exec_lo
	s_branch .LBB0_93
.LBB0_98:                               ;   in Loop: Header=BB0_94 Depth=2
	s_cbranch_execnz .LBB0_449
; %bb.99:                               ;   in Loop: Header=BB0_94 Depth=2
	ds_load_b64 v[19:20], v0
	s_and_not1_b32 s24, s24, exec_lo
	s_mov_b32 s23, 0
	s_mov_b32 s25, -1
	s_waitcnt lgkmcnt(0)
	flat_load_b32 v5, v[19:20] glc
	s_waitcnt vmcnt(0) lgkmcnt(0)
	buffer_gl1_inv
	buffer_gl0_inv
	v_cmp_eq_u32_e32 vcc_lo, 0, v5
	s_and_b32 s26, vcc_lo, exec_lo
	s_delay_alu instid0(SALU_CYCLE_1)
	s_or_b32 s24, s24, s26
	s_branch .LBB0_95
.LBB0_100:                              ;   in Loop: Header=BB0_66 Depth=1
	s_or_b32 exec_lo, exec_lo, s20
	s_and_saveexec_b32 s20, s21
	s_delay_alu instid0(SALU_CYCLE_1)
	s_xor_b32 s20, exec_lo, s20
	s_cbranch_execz .LBB0_102
; %bb.101:                              ;   in Loop: Header=BB0_66 Depth=1
	ds_store_b32 v0, v144
	s_cbranch_execnz .LBB0_473
.LBB0_102:                              ;   in Loop: Header=BB0_66 Depth=1
	s_or_b32 exec_lo, exec_lo, s19
	;;#ASMSTART
	s_wakeup
	;;#ASMEND
.LBB0_103:                              ;   in Loop: Header=BB0_66 Depth=1
	s_or_b32 exec_lo, exec_lo, s18
.LBB0_104:                              ;   in Loop: Header=BB0_66 Depth=1
	s_and_not1_saveexec_b32 s8, s8
	s_cbranch_execz .LBB0_106
; %bb.105:                              ;   in Loop: Header=BB0_66 Depth=1
	s_waitcnt vmcnt(0) lgkmcnt(0)
	s_waitcnt_vscnt null, 0x0
	buffer_gl1_inv
	buffer_gl0_inv
	s_barrier
.LBB0_106:                              ;   in Loop: Header=BB0_66 Depth=1
	s_or_b32 exec_lo, exec_lo, s8
.LBB0_107:                              ;   in Loop: Header=BB0_66 Depth=1
	s_delay_alu instid0(SALU_CYCLE_1) | instskip(SKIP_3) | instid1(VALU_DEP_2)
	s_or_b32 exec_lo, exec_lo, s7
	v_sub_nc_u32_e32 v5, v96, v114
	v_mov_b32_e32 v23, v4
	s_mov_b32 s18, exec_lo
	v_cmpx_lt_i32_e32 0, v5
	s_cbranch_execz .LBB0_133
; %bb.108:                              ;   in Loop: Header=BB0_66 Depth=1
	v_dual_mov_b32 v98, v131 :: v_dual_and_b32 v19, 7, v21
	v_mov_b32_e32 v23, v21
	v_add_co_u32 v24, vcc_lo, v118, v17
	s_delay_alu instid0(VALU_DEP_3)
	v_mul_lo_u32 v19, v19, s14
	v_add_co_ci_u32_e32 v97, vcc_lo, v119, v18, vcc_lo
	v_add_co_u32 v99, vcc_lo, 0, 0
	v_dual_mov_b32 v83, v81 :: v_dual_mov_b32 v82, v80
	v_add_co_ci_u32_e32 v18, vcc_lo, 1, v23, vcc_lo
	v_ashrrev_i32_e32 v20, 31, v19
	v_mov_b32_e32 v23, v4
	s_mov_b32 s19, 0
	s_delay_alu instid0(VALU_DEP_2) | instskip(NEXT) | instid1(VALU_DEP_1)
	v_lshlrev_b64 v[19:20], 4, v[19:20]
	v_add_co_u32 v84, vcc_lo, v134, v19
	s_delay_alu instid0(VALU_DEP_2)
	v_add_co_ci_u32_e32 v85, vcc_lo, v135, v20, vcc_lo
	s_branch .LBB0_110
.LBB0_109:                              ;   in Loop: Header=BB0_110 Depth=2
	v_sub_nc_u32_e32 v5, v5, v117
	v_add_co_u32 v82, vcc_lo, v82, v117
	v_add_co_ci_u32_e32 v83, vcc_lo, v83, v128, vcc_lo
	s_delay_alu instid0(VALU_DEP_3)
	v_cmp_gt_i32_e32 vcc_lo, 1, v5
	v_add_co_u32 v84, s7, v84, v70
	v_add_nc_u32_e32 v23, v23, v1
	v_add_nc_u32_e32 v98, v98, v133
	v_add_co_ci_u32_e64 v85, s7, v85, v71, s7
	s_or_b32 s19, vcc_lo, s19
	s_delay_alu instid0(SALU_CYCLE_1)
	s_and_not1_b32 exec_lo, exec_lo, s19
	s_cbranch_execz .LBB0_132
.LBB0_110:                              ;   Parent Loop BB0_66 Depth=1
                                        ; =>  This Inner Loop Header: Depth=2
	v_add_co_u32 v86, vcc_lo, v129, v82
	v_add_co_ci_u32_e32 v20, vcc_lo, v130, v83, vcc_lo
	v_min_u32_e32 v87, 8, v5
	s_delay_alu instid0(VALU_DEP_3) | instskip(SKIP_3) | instid1(VALU_DEP_1)
	v_dual_mov_b32 v100, 0 :: v_dual_and_b32 v19, -4, v86
	v_dual_mov_b32 v101, 0 :: v_dual_and_b32 v86, 3, v86
	flat_load_b32 v17, v[19:20] glc
	v_add_co_u32 v86, s7, v86, v87
	v_add_co_ci_u32_e64 v87, null, 0, 0, s7
	s_mov_b32 s7, exec_lo
	s_delay_alu instid0(VALU_DEP_1)
	v_cmpx_lt_u64_e32 4, v[86:87]
	s_cbranch_execz .LBB0_112
; %bb.111:                              ;   in Loop: Header=BB0_110 Depth=2
	flat_load_b32 v101, v[19:20] offset:4 glc
.LBB0_112:                              ;   in Loop: Header=BB0_110 Depth=2
	s_or_b32 exec_lo, exec_lo, s7
	s_delay_alu instid0(SALU_CYCLE_1)
	s_mov_b32 s7, exec_lo
	v_cmpx_lt_u64_e32 8, v[86:87]
	s_cbranch_execz .LBB0_114
; %bb.113:                              ;   in Loop: Header=BB0_110 Depth=2
	flat_load_b32 v100, v[19:20] offset:8 glc
.LBB0_114:                              ;   in Loop: Header=BB0_110 Depth=2
	s_or_b32 exec_lo, exec_lo, s7
	s_waitcnt vmcnt(0) lgkmcnt(0)
	v_alignbit_b32 v86, v101, v17, v98
	v_alignbit_b32 v87, v100, v101, v98
	v_cmp_lt_u32_e32 vcc_lo, 7, v5
	v_mov_b32_e32 v20, v18
	s_delay_alu instid0(VALU_DEP_4) | instskip(NEXT) | instid1(VALU_DEP_4)
	v_or_b32_e32 v17, v99, v86
	v_or_b32_e32 v19, v99, v87
	v_cndmask_b32_e64 v100, 0, 1, vcc_lo
	global_store_b128 v[84:85], v[17:20], off
	;;#ASMSTART
	;;#ASMEND
	v_cmp_ne_u32_e64 s7, 0, v100
	v_add_co_u32 v19, s8, v24, v82
	s_delay_alu instid0(VALU_DEP_1) | instskip(NEXT) | instid1(VALU_DEP_3)
	v_add_co_ci_u32_e64 v20, s8, v97, v83, s8
	s_cmp_lg_u32 s7, exec_lo
	s_mov_b32 s7, -1
	s_cbranch_scc0 .LBB0_130
; %bb.115:                              ;   in Loop: Header=BB0_110 Depth=2
	s_mov_b32 s8, exec_lo
	flat_store_b8 v[19:20], v86
	v_cmpx_ne_u32_e32 1, v5
	s_cbranch_execz .LBB0_117
; %bb.116:                              ;   in Loop: Header=BB0_110 Depth=2
	v_lshrrev_b32_e32 v17, 8, v86
	flat_store_b8 v[19:20], v17 offset:1
.LBB0_117:                              ;   in Loop: Header=BB0_110 Depth=2
	s_or_b32 exec_lo, exec_lo, s8
	s_delay_alu instid0(SALU_CYCLE_1)
	s_mov_b32 s8, exec_lo
	v_cmpx_lt_u32_e32 2, v5
	s_cbranch_execz .LBB0_119
; %bb.118:                              ;   in Loop: Header=BB0_110 Depth=2
	flat_store_d16_hi_b8 v[19:20], v86 offset:2
.LBB0_119:                              ;   in Loop: Header=BB0_110 Depth=2
	s_or_b32 exec_lo, exec_lo, s8
	s_delay_alu instid0(SALU_CYCLE_1)
	s_mov_b32 s8, exec_lo
	v_cmpx_lt_u32_e32 3, v5
	s_cbranch_execz .LBB0_121
; %bb.120:                              ;   in Loop: Header=BB0_110 Depth=2
	v_lshrrev_b32_e32 v17, 24, v86
	flat_store_b8 v[19:20], v17 offset:3
.LBB0_121:                              ;   in Loop: Header=BB0_110 Depth=2
	s_or_b32 exec_lo, exec_lo, s8
	s_delay_alu instid0(SALU_CYCLE_1)
	s_mov_b32 s8, exec_lo
	v_cmpx_lt_u32_e32 4, v5
	s_cbranch_execz .LBB0_123
; %bb.122:                              ;   in Loop: Header=BB0_110 Depth=2
	flat_store_b8 v[19:20], v87 offset:4
.LBB0_123:                              ;   in Loop: Header=BB0_110 Depth=2
	s_or_b32 exec_lo, exec_lo, s8
	s_delay_alu instid0(SALU_CYCLE_1)
	s_mov_b32 s8, exec_lo
	v_cmpx_lt_u32_e32 5, v5
	s_cbranch_execz .LBB0_125
; %bb.124:                              ;   in Loop: Header=BB0_110 Depth=2
	v_lshrrev_b32_e32 v17, 8, v87
	flat_store_b8 v[19:20], v17 offset:5
.LBB0_125:                              ;   in Loop: Header=BB0_110 Depth=2
	s_or_b32 exec_lo, exec_lo, s8
	s_delay_alu instid0(SALU_CYCLE_1)
	s_mov_b32 s8, exec_lo
	v_cmpx_lt_u32_e32 6, v5
	s_cbranch_execz .LBB0_127
; %bb.126:                              ;   in Loop: Header=BB0_110 Depth=2
	flat_store_d16_hi_b8 v[19:20], v87 offset:6
.LBB0_127:                              ;   in Loop: Header=BB0_110 Depth=2
	s_or_b32 exec_lo, exec_lo, s8
	s_and_saveexec_b32 s7, vcc_lo
	s_cbranch_execz .LBB0_129
; %bb.128:                              ;   in Loop: Header=BB0_110 Depth=2
	v_lshrrev_b32_e32 v17, 24, v87
	flat_store_b8 v[19:20], v17 offset:7
.LBB0_129:                              ;   in Loop: Header=BB0_110 Depth=2
	s_or_b32 exec_lo, exec_lo, s7
	s_mov_b32 s7, 0
.LBB0_130:                              ;   in Loop: Header=BB0_110 Depth=2
	s_delay_alu instid0(SALU_CYCLE_1)
	s_and_b32 vcc_lo, exec_lo, s7
	s_cbranch_vccz .LBB0_109
; %bb.131:                              ;   in Loop: Header=BB0_110 Depth=2
	global_store_b64 v[19:20], v[86:87], off
	s_branch .LBB0_109
.LBB0_132:                              ;   in Loop: Header=BB0_66 Depth=1
	s_or_b32 exec_lo, exec_lo, s19
.LBB0_133:                              ;   in Loop: Header=BB0_66 Depth=1
	s_delay_alu instid0(SALU_CYCLE_1) | instskip(SKIP_2) | instid1(VALU_DEP_2)
	s_or_b32 exec_lo, exec_lo, s18
	v_and_b32_e32 v5, 0x7ffffff8, v21
	v_cmp_gt_i32_e64 s7, s14, v23
	v_cmp_eq_u64_e32 vcc_lo, 0x7ffffff8, v[5:6]
	s_delay_alu instid0(VALU_DEP_2) | instskip(NEXT) | instid1(SALU_CYCLE_1)
	s_and_b32 s7, vcc_lo, s7
	s_and_saveexec_b32 s8, s7
	s_cbranch_execz .LBB0_136
; %bb.134:                              ;   in Loop: Header=BB0_66 Depth=1
	v_and_b32_e32 v5, 7, v21
	v_ashrrev_i32_e32 v24, 31, v23
	s_mov_b32 s18, 0
	s_delay_alu instid0(VALU_DEP_2) | instskip(NEXT) | instid1(VALU_DEP_2)
	v_mul_lo_u32 v17, v5, s14
	v_lshlrev_b64 v[19:20], 4, v[23:24]
	v_mov_b32_e32 v5, v21
	s_delay_alu instid0(VALU_DEP_3) | instskip(NEXT) | instid1(VALU_DEP_1)
	v_ashrrev_i32_e32 v18, 31, v17
	v_lshlrev_b64 v[17:18], 4, v[17:18]
	s_delay_alu instid0(VALU_DEP_1) | instskip(NEXT) | instid1(VALU_DEP_2)
	v_add_co_u32 v19, vcc_lo, v19, v17
	v_add_co_ci_u32_e32 v20, vcc_lo, v20, v18, vcc_lo
	v_add_co_u32 v17, vcc_lo, 0, 0
	v_add_co_ci_u32_e32 v18, vcc_lo, 1, v5, vcc_lo
	s_delay_alu instid0(VALU_DEP_4) | instskip(NEXT) | instid1(VALU_DEP_4)
	v_add_co_u32 v82, vcc_lo, v48, v19
	v_add_co_ci_u32_e32 v83, vcc_lo, v49, v20, vcc_lo
.LBB0_135:                              ;   Parent Loop BB0_66 Depth=1
                                        ; =>  This Inner Loop Header: Depth=2
	s_delay_alu instid0(VALU_DEP_3) | instskip(SKIP_4) | instid1(VALU_DEP_1)
	v_dual_mov_b32 v19, v17 :: v_dual_mov_b32 v20, v18
	v_add_nc_u32_e32 v23, v23, v1
	global_store_b128 v[82:83], v[17:20], off
	v_cmp_le_i32_e32 vcc_lo, s14, v23
	v_add_co_u32 v82, s7, v82, v70
	v_add_co_ci_u32_e64 v83, s7, v83, v71, s7
	s_or_b32 s18, vcc_lo, s18
	s_delay_alu instid0(SALU_CYCLE_1)
	s_and_not1_b32 exec_lo, exec_lo, s18
	s_cbranch_execnz .LBB0_135
.LBB0_136:                              ;   in Loop: Header=BB0_66 Depth=1
	s_or_b32 exec_lo, exec_lo, s8
.LBB0_137:                              ;   in Loop: Header=BB0_66 Depth=1
	s_and_not1_saveexec_b32 s8, s9
	s_cbranch_execz .LBB0_190
; %bb.138:                              ;   in Loop: Header=BB0_66 Depth=1
	s_and_saveexec_b32 s7, s1
	s_cbranch_execz .LBB0_156
; %bb.139:                              ;   in Loop: Header=BB0_66 Depth=1
	v_add_co_u32 v17, vcc_lo, v15, 1
	v_add_co_ci_u32_e32 v18, vcc_lo, 0, v16, vcc_lo
	s_waitcnt vmcnt(0) lgkmcnt(0)
	v_add_co_u32 v19, vcc_lo, v54, 8
	v_add_co_ci_u32_e32 v20, vcc_lo, 0, v55, vcc_lo
	s_mov_b32 s9, exec_lo
	s_delay_alu instid0(VALU_DEP_1)
	v_cmpx_lt_u64_e64 v[19:20], v[17:18]
	s_cbranch_execz .LBB0_153
; %bb.140:                              ;   in Loop: Header=BB0_66 Depth=1
	s_sleep 1
	flat_load_b64 v[54:55], v[52:53] glc
	v_cmp_eq_u32_e32 vcc_lo, 0, v145
	s_and_saveexec_b32 s18, vcc_lo
	s_cbranch_execz .LBB0_152
; %bb.141:                              ;   in Loop: Header=BB0_66 Depth=1
	v_cndmask_b32_e64 v5, 0, 1, vcc_lo
	s_mov_b32 s19, 0
                                        ; implicit-def: $sgpr20
	s_branch .LBB0_145
.LBB0_142:                              ;   in Loop: Header=BB0_145 Depth=2
	s_or_b32 exec_lo, exec_lo, s23
	s_delay_alu instid0(SALU_CYCLE_1)
	s_or_not1_b32 s23, s24, exec_lo
.LBB0_143:                              ;   in Loop: Header=BB0_145 Depth=2
	s_or_b32 exec_lo, exec_lo, s22
	s_xor_b32 s22, s23, -1
	s_and_not1_b32 s20, s20, exec_lo
	s_and_b32 s22, s22, exec_lo
	s_delay_alu instid0(SALU_CYCLE_1)
	s_or_b32 s20, s20, s22
.LBB0_144:                              ;   in Loop: Header=BB0_145 Depth=2
	s_or_b32 exec_lo, exec_lo, s21
	s_delay_alu instid0(SALU_CYCLE_1) | instskip(NEXT) | instid1(SALU_CYCLE_1)
	s_and_b32 s21, exec_lo, s20
	s_or_b32 s19, s21, s19
	s_delay_alu instid0(SALU_CYCLE_1)
	s_and_not1_b32 exec_lo, exec_lo, s19
	s_cbranch_execz .LBB0_151
.LBB0_145:                              ;   Parent Loop BB0_66 Depth=1
                                        ; =>  This Inner Loop Header: Depth=2
	s_waitcnt vmcnt(0) lgkmcnt(0)
	v_add_co_u32 v19, vcc_lo, v54, 8
	v_add_co_ci_u32_e32 v20, vcc_lo, 0, v55, vcc_lo
	v_mov_b32_e32 v145, 0
	s_or_b32 s20, s20, exec_lo
	s_mov_b32 s21, exec_lo
	s_delay_alu instid0(VALU_DEP_2)
	v_cmpx_lt_u64_e64 v[19:20], v[17:18]
	s_cbranch_execz .LBB0_144
; %bb.146:                              ;   in Loop: Header=BB0_145 Depth=2
	s_sleep 1
	flat_load_b64 v[54:55], v[52:53] glc
	v_add_nc_u32_e32 v5, 1, v5
	v_mov_b32_e32 v145, 0
	s_mov_b32 s23, -1
	s_mov_b32 s22, exec_lo
	s_delay_alu instid0(VALU_DEP_2)
	v_cmpx_eq_u32_e32 0x2710, v5
	s_cbranch_execz .LBB0_143
; %bb.147:                              ;   in Loop: Header=BB0_145 Depth=2
	s_cbranch_execnz .LBB0_396
; %bb.148:                              ;   in Loop: Header=BB0_145 Depth=2
	ds_load_b64 v[19:20], v0
	v_mov_b32_e32 v5, 0
	v_mov_b32_e32 v145, 0
	s_mov_b32 s24, -1
	s_mov_b32 s23, exec_lo
	s_waitcnt vmcnt(0) lgkmcnt(0)
	s_waitcnt_vscnt null, 0x0
	flat_load_b32 v16, v[19:20] glc
	s_waitcnt vmcnt(0) lgkmcnt(0)
	buffer_gl1_inv
	buffer_gl0_inv
	v_cmpx_ne_u32_e32 0, v16
	s_cbranch_execz .LBB0_142
; %bb.149:                              ;   in Loop: Header=BB0_145 Depth=2
	ds_store_b32 v0, v16
	s_cbranch_execnz .LBB0_433
; %bb.150:                              ;   in Loop: Header=BB0_145 Depth=2
	v_mov_b32_e32 v145, 1
	s_xor_b32 s24, exec_lo, -1
	s_branch .LBB0_142
.LBB0_151:                              ;   in Loop: Header=BB0_66 Depth=1
	s_or_b32 exec_lo, exec_lo, s19
.LBB0_152:                              ;   in Loop: Header=BB0_66 Depth=1
	s_delay_alu instid0(SALU_CYCLE_1)
	s_or_b32 exec_lo, exec_lo, s18
.LBB0_153:                              ;   in Loop: Header=BB0_66 Depth=1
	s_delay_alu instid0(SALU_CYCLE_1)
	s_or_b32 exec_lo, exec_lo, s9
	s_and_saveexec_b32 s9, s2
	s_cbranch_execz .LBB0_155
; %bb.154:                              ;   in Loop: Header=BB0_66 Depth=1
	v_and_b32_e32 v5, 0x7ffffff8, v15
	v_and_b32_e32 v16, 7, v15
	s_delay_alu instid0(VALU_DEP_2) | instskip(NEXT) | instid1(VALU_DEP_2)
	v_cmp_eq_u64_e32 vcc_lo, 0x7ffffff8, v[5:6]
	v_mad_u64_u32 v[19:20], null, v16, 24, v[13:14]
	v_cndmask_b32_e64 v5, v148, s14, vcc_lo
	s_delay_alu instid0(VALU_DEP_1) | instskip(NEXT) | instid1(VALU_DEP_1)
	v_lshlrev_b32_e32 v15, 4, v5
	v_ashrrev_i32_e32 v16, 31, v15
	flat_store_b64 v[19:20], v[15:16] offset:8 dlc
	s_waitcnt_vscnt null, 0x0
.LBB0_155:                              ;   in Loop: Header=BB0_66 Depth=1
	s_or_b32 exec_lo, exec_lo, s9
	v_dual_mov_b32 v15, v17 :: v_dual_mov_b32 v16, v18
.LBB0_156:                              ;   in Loop: Header=BB0_66 Depth=1
	s_or_b32 exec_lo, exec_lo, s7
	s_and_saveexec_b32 s7, s3
	s_cbranch_execz .LBB0_178
; %bb.157:                              ;   in Loop: Header=BB0_66 Depth=1
	s_and_saveexec_b32 s9, s4
	s_delay_alu instid0(SALU_CYCLE_1)
	s_xor_b32 s9, exec_lo, s9
	s_cbranch_execz .LBB0_175
; %bb.158:                              ;   in Loop: Header=BB0_66 Depth=1
	s_and_saveexec_b32 s18, s5
	s_cbranch_execz .LBB0_174
; %bb.159:                              ;   in Loop: Header=BB0_66 Depth=1
	s_mov_b32 s20, exec_lo
	s_mov_b32 s19, exec_lo
	v_mbcnt_lo_u32_b32 v5, s20, 0
	s_waitcnt vmcnt(0) lgkmcnt(0)
	s_waitcnt_vscnt null, 0x0
	buffer_gl1_inv
	buffer_gl0_inv
	v_cmpx_eq_u32_e32 0, v5
	s_cbranch_execz .LBB0_161
; %bb.160:                              ;   in Loop: Header=BB0_66 Depth=1
	s_bcnt1_i32_b32 s20, s20
	s_delay_alu instid0(SALU_CYCLE_1)
	v_mov_b32_e32 v5, s20
	ds_add_u64 v0, v[5:6]
	s_cbranch_execnz .LBB0_425
.LBB0_161:                              ;   in Loop: Header=BB0_66 Depth=1
	s_or_b32 exec_lo, exec_lo, s19
	s_cbranch_execnz .LBB0_415
; %bb.162:                              ;   in Loop: Header=BB0_66 Depth=1
	ds_load_b64 v[17:18], v0
	v_add_co_u32 v2, vcc_lo, v2, v113
	v_add_co_ci_u32_e32 v3, vcc_lo, v3, v115, vcc_lo
	s_mov_b32 s19, exec_lo
	s_waitcnt lgkmcnt(0)
	s_delay_alu instid0(VALU_DEP_1)
	v_cmpx_lt_u64_e64 v[17:18], v[2:3]
	s_cbranch_execz .LBB0_173
; %bb.163:                              ;   in Loop: Header=BB0_66 Depth=1
	s_mov_b32 s20, 0
	s_mov_b32 s23, 0
                                        ; implicit-def: $sgpr21
                                        ; implicit-def: $sgpr22
	s_branch .LBB0_165
.LBB0_164:                              ;   in Loop: Header=BB0_165 Depth=2
	s_or_b32 exec_lo, exec_lo, s26
	s_delay_alu instid0(SALU_CYCLE_1) | instskip(NEXT) | instid1(SALU_CYCLE_1)
	s_and_b32 s24, exec_lo, s25
	s_or_b32 s20, s24, s20
	s_and_not1_b32 s21, s21, exec_lo
	s_and_b32 s24, s22, exec_lo
	s_delay_alu instid0(SALU_CYCLE_1)
	s_or_b32 s21, s21, s24
	s_and_not1_b32 exec_lo, exec_lo, s20
	s_cbranch_execz .LBB0_171
.LBB0_165:                              ;   Parent Loop BB0_66 Depth=1
                                        ; =>  This Inner Loop Header: Depth=2
	s_add_i32 s23, s23, 1
                                        ; implicit-def: $sgpr25
	s_delay_alu instid0(SALU_CYCLE_1) | instskip(SKIP_1) | instid1(SALU_CYCLE_1)
	s_cmpk_lg_i32 s23, 0x2710
	s_cselect_b32 s24, -1, 0
	s_and_b32 vcc_lo, exec_lo, s24
	s_cbranch_vccz .LBB0_169
.LBB0_166:                              ;   in Loop: Header=BB0_165 Depth=2
	s_and_not1_b32 s22, s22, exec_lo
	s_and_b32 s26, s25, exec_lo
	s_mov_b32 s25, -1
	s_or_b32 s22, s22, s26
	s_and_saveexec_b32 s26, s24
	s_cbranch_execz .LBB0_164
; %bb.167:                              ;   in Loop: Header=BB0_165 Depth=2
	s_sleep 1
	s_cbranch_execnz .LBB0_447
; %bb.168:                              ;   in Loop: Header=BB0_165 Depth=2
	ds_load_b64 v[17:18], v0
	s_and_not1_b32 s22, s22, exec_lo
	s_waitcnt lgkmcnt(0)
	v_cmp_ge_u64_e32 vcc_lo, v[17:18], v[2:3]
	s_or_not1_b32 s25, vcc_lo, exec_lo
	s_branch .LBB0_164
.LBB0_169:                              ;   in Loop: Header=BB0_165 Depth=2
	s_cbranch_execnz .LBB0_451
; %bb.170:                              ;   in Loop: Header=BB0_165 Depth=2
	ds_load_b64 v[17:18], v0
	s_and_not1_b32 s24, s24, exec_lo
	s_mov_b32 s23, 0
	s_mov_b32 s25, -1
	s_waitcnt lgkmcnt(0)
	flat_load_b32 v5, v[17:18] glc
	s_waitcnt vmcnt(0) lgkmcnt(0)
	buffer_gl1_inv
	buffer_gl0_inv
	v_cmp_eq_u32_e32 vcc_lo, 0, v5
	s_and_b32 s26, vcc_lo, exec_lo
	s_delay_alu instid0(SALU_CYCLE_1)
	s_or_b32 s24, s24, s26
	s_branch .LBB0_166
.LBB0_171:                              ;   in Loop: Header=BB0_66 Depth=1
	s_or_b32 exec_lo, exec_lo, s20
	s_and_saveexec_b32 s20, s21
	s_delay_alu instid0(SALU_CYCLE_1)
	s_xor_b32 s20, exec_lo, s20
	s_cbranch_execz .LBB0_173
; %bb.172:                              ;   in Loop: Header=BB0_66 Depth=1
	ds_store_b32 v0, v144
	s_cbranch_execnz .LBB0_475
.LBB0_173:                              ;   in Loop: Header=BB0_66 Depth=1
	s_or_b32 exec_lo, exec_lo, s19
	;;#ASMSTART
	s_wakeup
	;;#ASMEND
.LBB0_174:                              ;   in Loop: Header=BB0_66 Depth=1
	s_or_b32 exec_lo, exec_lo, s18
.LBB0_175:                              ;   in Loop: Header=BB0_66 Depth=1
	s_and_not1_saveexec_b32 s9, s9
	s_cbranch_execz .LBB0_177
; %bb.176:                              ;   in Loop: Header=BB0_66 Depth=1
	s_waitcnt vmcnt(0) lgkmcnt(0)
	s_waitcnt_vscnt null, 0x0
	buffer_gl1_inv
	buffer_gl0_inv
	s_barrier
.LBB0_177:                              ;   in Loop: Header=BB0_66 Depth=1
	s_or_b32 exec_lo, exec_lo, s9
.LBB0_178:                              ;   in Loop: Header=BB0_66 Depth=1
	s_delay_alu instid0(SALU_CYCLE_1) | instskip(SKIP_3) | instid1(VALU_DEP_2)
	s_or_b32 exec_lo, exec_lo, s7
	v_sub_nc_u32_e32 v5, v96, v114
	v_mov_b32_e32 v23, v4
	s_mov_b32 s9, exec_lo
	v_cmpx_lt_i32_e32 0, v5
	s_cbranch_execz .LBB0_186
; %bb.179:                              ;   in Loop: Header=BB0_66 Depth=1
	v_dual_mov_b32 v24, v131 :: v_dual_and_b32 v17, 7, v21
	v_mov_b32_e32 v23, v21
	v_add_co_u32 v97, vcc_lo, 0, 0
	s_delay_alu instid0(VALU_DEP_3) | instskip(SKIP_2) | instid1(VALU_DEP_2)
	v_mul_lo_u32 v17, v17, s14
	v_dual_mov_b32 v83, v67 :: v_dual_mov_b32 v82, v66
	s_mov_b32 s18, 0
	v_ashrrev_i32_e32 v18, 31, v17
	s_delay_alu instid0(VALU_DEP_1) | instskip(SKIP_2) | instid1(VALU_DEP_3)
	v_lshlrev_b64 v[19:20], 4, v[17:18]
	v_add_co_ci_u32_e32 v18, vcc_lo, 1, v23, vcc_lo
	v_mov_b32_e32 v23, v4
	v_add_co_u32 v84, vcc_lo, v134, v19
	s_delay_alu instid0(VALU_DEP_4)
	v_add_co_ci_u32_e32 v85, vcc_lo, v135, v20, vcc_lo
	s_set_inst_prefetch_distance 0x1
	s_branch .LBB0_181
.LBB0_180:                              ;   in Loop: Header=BB0_181 Depth=2
	s_or_b32 exec_lo, exec_lo, s7
	s_waitcnt vmcnt(0) lgkmcnt(0)
	v_alignbit_b32 v17, v99, v17, v24
	v_alignbit_b32 v19, v98, v99, v24
	v_dual_mov_b32 v20, v18 :: v_dual_add_nc_u32 v23, v23, v1
	v_sub_nc_u32_e32 v5, v5, v117
	s_delay_alu instid0(VALU_DEP_4) | instskip(NEXT) | instid1(VALU_DEP_4)
	v_or_b32_e32 v17, v97, v17
	v_or_b32_e32 v19, v97, v19
	v_add_co_u32 v82, vcc_lo, v82, v117
	v_add_co_ci_u32_e32 v83, vcc_lo, v83, v128, vcc_lo
	global_store_b128 v[84:85], v[17:20], off
	v_cmp_gt_i32_e32 vcc_lo, 1, v5
	v_add_co_u32 v84, s7, v84, v70
	v_add_nc_u32_e32 v24, v24, v133
	v_add_co_ci_u32_e64 v85, s7, v85, v71, s7
	s_or_b32 s18, vcc_lo, s18
	s_delay_alu instid0(SALU_CYCLE_1)
	s_and_not1_b32 exec_lo, exec_lo, s18
	s_cbranch_execz .LBB0_185
.LBB0_181:                              ;   Parent Loop BB0_66 Depth=1
                                        ; =>  This Inner Loop Header: Depth=2
	v_dual_mov_b32 v20, v83 :: v_dual_and_b32 v19, -4, v82
	v_min_u32_e32 v86, 8, v5
	v_dual_mov_b32 v98, 0 :: v_dual_and_b32 v87, 3, v82
	v_mov_b32_e32 v99, 0
	flat_load_b32 v17, v[19:20] glc
	v_add_co_u32 v86, s7, v87, v86
	s_delay_alu instid0(VALU_DEP_1) | instskip(SKIP_1) | instid1(VALU_DEP_1)
	v_add_co_ci_u32_e64 v87, null, 0, 0, s7
	s_mov_b32 s7, exec_lo
	v_cmpx_lt_u64_e32 4, v[86:87]
	s_cbranch_execz .LBB0_183
; %bb.182:                              ;   in Loop: Header=BB0_181 Depth=2
	flat_load_b32 v99, v[19:20] offset:4 glc
.LBB0_183:                              ;   in Loop: Header=BB0_181 Depth=2
	s_or_b32 exec_lo, exec_lo, s7
	s_delay_alu instid0(SALU_CYCLE_1)
	s_mov_b32 s7, exec_lo
	v_cmpx_lt_u64_e32 8, v[86:87]
	s_cbranch_execz .LBB0_180
; %bb.184:                              ;   in Loop: Header=BB0_181 Depth=2
	flat_load_b32 v98, v[19:20] offset:8 glc
	s_branch .LBB0_180
.LBB0_185:                              ;   in Loop: Header=BB0_66 Depth=1
	s_set_inst_prefetch_distance 0x2
	s_or_b32 exec_lo, exec_lo, s18
.LBB0_186:                              ;   in Loop: Header=BB0_66 Depth=1
	s_delay_alu instid0(SALU_CYCLE_1) | instskip(SKIP_2) | instid1(VALU_DEP_2)
	s_or_b32 exec_lo, exec_lo, s9
	v_and_b32_e32 v5, 0x7ffffff8, v21
	v_cmp_gt_i32_e64 s7, s14, v23
	v_cmp_eq_u64_e32 vcc_lo, 0x7ffffff8, v[5:6]
	s_delay_alu instid0(VALU_DEP_2) | instskip(NEXT) | instid1(SALU_CYCLE_1)
	s_and_b32 s7, vcc_lo, s7
	s_and_saveexec_b32 s9, s7
	s_cbranch_execz .LBB0_189
; %bb.187:                              ;   in Loop: Header=BB0_66 Depth=1
	v_and_b32_e32 v5, 7, v21
	v_ashrrev_i32_e32 v24, 31, v23
	s_mov_b32 s18, 0
	s_delay_alu instid0(VALU_DEP_2) | instskip(NEXT) | instid1(VALU_DEP_2)
	v_mul_lo_u32 v17, v5, s14
	v_lshlrev_b64 v[19:20], 4, v[23:24]
	v_mov_b32_e32 v5, v21
	s_delay_alu instid0(VALU_DEP_3) | instskip(NEXT) | instid1(VALU_DEP_1)
	v_ashrrev_i32_e32 v18, 31, v17
	v_lshlrev_b64 v[17:18], 4, v[17:18]
	s_delay_alu instid0(VALU_DEP_1) | instskip(NEXT) | instid1(VALU_DEP_2)
	v_add_co_u32 v19, vcc_lo, v19, v17
	v_add_co_ci_u32_e32 v20, vcc_lo, v20, v18, vcc_lo
	v_add_co_u32 v17, vcc_lo, 0, 0
	v_add_co_ci_u32_e32 v18, vcc_lo, 1, v5, vcc_lo
	s_delay_alu instid0(VALU_DEP_4) | instskip(NEXT) | instid1(VALU_DEP_4)
	v_add_co_u32 v82, vcc_lo, v48, v19
	v_add_co_ci_u32_e32 v83, vcc_lo, v49, v20, vcc_lo
.LBB0_188:                              ;   Parent Loop BB0_66 Depth=1
                                        ; =>  This Inner Loop Header: Depth=2
	s_delay_alu instid0(VALU_DEP_3) | instskip(SKIP_4) | instid1(VALU_DEP_1)
	v_dual_mov_b32 v19, v17 :: v_dual_mov_b32 v20, v18
	v_add_nc_u32_e32 v23, v23, v1
	global_store_b128 v[82:83], v[17:20], off
	v_cmp_le_i32_e32 vcc_lo, s14, v23
	v_add_co_u32 v82, s7, v82, v70
	v_add_co_ci_u32_e64 v83, s7, v83, v71, s7
	s_or_b32 s18, vcc_lo, s18
	s_delay_alu instid0(SALU_CYCLE_1)
	s_and_not1_b32 exec_lo, exec_lo, s18
	s_cbranch_execnz .LBB0_188
.LBB0_189:                              ;   in Loop: Header=BB0_66 Depth=1
	s_or_b32 exec_lo, exec_lo, s9
.LBB0_190:                              ;   in Loop: Header=BB0_66 Depth=1
	s_delay_alu instid0(SALU_CYCLE_1)
	s_or_b32 exec_lo, exec_lo, s8
	v_add_co_u32 v82, vcc_lo, v21, 1
	v_add_co_ci_u32_e32 v83, vcc_lo, 0, v22, vcc_lo
	v_sub_nc_u32_e32 v149, v96, v114
	s_and_not1_b32 vcc_lo, exec_lo, s16
	s_cbranch_vccnz .LBB0_192
; %bb.191:                              ;   in Loop: Header=BB0_66 Depth=1
	v_sub_nc_u32_e32 v5, v96, v114
	s_mov_b32 s7, 0
	s_branch .LBB0_193
.LBB0_192:                              ;   in Loop: Header=BB0_66 Depth=1
	s_mov_b32 s7, -1
                                        ; implicit-def: $vgpr5
.LBB0_193:                              ;   in Loop: Header=BB0_66 Depth=1
	s_delay_alu instid0(SALU_CYCLE_1)
	s_and_not1_b32 vcc_lo, exec_lo, s7
	s_cbranch_vccnz .LBB0_305
; %bb.194:                              ;   in Loop: Header=BB0_66 Depth=1
	v_add_co_u32 v84, vcc_lo, v118, v146
	v_cmp_lt_i32_e64 s7, 0, v149
	v_add_co_ci_u32_e32 v85, vcc_lo, v119, v147, vcc_lo
	v_add_nc_u16 v150, v21, 1
	s_mov_b32 s18, 1
.LBB0_195:                              ;   Parent Loop BB0_66 Depth=1
                                        ; =>  This Loop Header: Depth=2
                                        ;       Child Loop BB0_202 Depth 3
                                        ;       Child Loop BB0_222 Depth 3
	;; [unrolled: 1-line block ×3, first 2 shown]
                                        ;         Child Loop BB0_242 Depth 4
                                        ;       Child Loop BB0_284 Depth 3
                                        ;       Child Loop BB0_301 Depth 3
	s_delay_alu instid0(SALU_CYCLE_1) | instskip(NEXT) | instid1(SALU_CYCLE_1)
	s_sub_i32 s8, s10, s18
	s_ashr_i32 s9, s8, 31
	s_delay_alu instid0(SALU_CYCLE_1) | instskip(NEXT) | instid1(SALU_CYCLE_1)
	s_lshl_b64 s[8:9], s[8:9], 2
	v_add_co_u32 v17, vcc_lo, v25, s8
	v_add_co_ci_u32_e32 v18, vcc_lo, s9, v26, vcc_lo
	s_waitcnt vmcnt(0) lgkmcnt(0)
	flat_load_b32 v19, v[17:18]
	s_and_saveexec_b32 s8, s1
	s_cbranch_execz .LBB0_213
; %bb.196:                              ;   in Loop: Header=BB0_195 Depth=2
	v_add_co_u32 v17, vcc_lo, v15, 1
	v_add_co_ci_u32_e32 v18, vcc_lo, 0, v16, vcc_lo
	s_waitcnt vmcnt(1) lgkmcnt(1)
	v_add_co_u32 v20, vcc_lo, v54, 8
	v_add_co_ci_u32_e32 v21, vcc_lo, 0, v55, vcc_lo
	s_mov_b32 s9, exec_lo
	s_delay_alu instid0(VALU_DEP_1)
	v_cmpx_lt_u64_e64 v[20:21], v[17:18]
	s_cbranch_execz .LBB0_210
; %bb.197:                              ;   in Loop: Header=BB0_195 Depth=2
	s_sleep 1
	flat_load_b64 v[54:55], v[52:53] glc
	v_cmp_eq_u32_e32 vcc_lo, 0, v145
	s_and_saveexec_b32 s19, vcc_lo
	s_cbranch_execz .LBB0_209
; %bb.198:                              ;   in Loop: Header=BB0_195 Depth=2
	v_cndmask_b32_e64 v5, 0, 1, vcc_lo
	s_mov_b32 s20, 0
                                        ; implicit-def: $sgpr21
	s_branch .LBB0_202
.LBB0_199:                              ;   in Loop: Header=BB0_202 Depth=3
	s_or_b32 exec_lo, exec_lo, s24
	s_delay_alu instid0(SALU_CYCLE_1)
	s_or_not1_b32 s24, s25, exec_lo
.LBB0_200:                              ;   in Loop: Header=BB0_202 Depth=3
	s_or_b32 exec_lo, exec_lo, s23
	s_xor_b32 s23, s24, -1
	s_and_not1_b32 s21, s21, exec_lo
	s_and_b32 s23, s23, exec_lo
	s_delay_alu instid0(SALU_CYCLE_1)
	s_or_b32 s21, s21, s23
.LBB0_201:                              ;   in Loop: Header=BB0_202 Depth=3
	s_or_b32 exec_lo, exec_lo, s22
	s_delay_alu instid0(SALU_CYCLE_1) | instskip(NEXT) | instid1(SALU_CYCLE_1)
	s_and_b32 s22, exec_lo, s21
	s_or_b32 s20, s22, s20
	s_delay_alu instid0(SALU_CYCLE_1)
	s_and_not1_b32 exec_lo, exec_lo, s20
	s_cbranch_execz .LBB0_208
.LBB0_202:                              ;   Parent Loop BB0_66 Depth=1
                                        ;     Parent Loop BB0_195 Depth=2
                                        ; =>    This Inner Loop Header: Depth=3
	s_waitcnt vmcnt(0) lgkmcnt(0)
	v_add_co_u32 v20, vcc_lo, v54, 8
	v_add_co_ci_u32_e32 v21, vcc_lo, 0, v55, vcc_lo
	v_mov_b32_e32 v145, 0
	s_or_b32 s21, s21, exec_lo
	s_mov_b32 s22, exec_lo
	s_delay_alu instid0(VALU_DEP_2)
	v_cmpx_lt_u64_e64 v[20:21], v[17:18]
	s_cbranch_execz .LBB0_201
; %bb.203:                              ;   in Loop: Header=BB0_202 Depth=3
	s_sleep 1
	flat_load_b64 v[54:55], v[52:53] glc
	v_add_nc_u32_e32 v5, 1, v5
	v_mov_b32_e32 v145, 0
	s_mov_b32 s24, -1
	s_mov_b32 s23, exec_lo
	s_delay_alu instid0(VALU_DEP_2)
	v_cmpx_eq_u32_e32 0x2710, v5
	s_cbranch_execz .LBB0_200
; %bb.204:                              ;   in Loop: Header=BB0_202 Depth=3
	s_cbranch_execnz .LBB0_390
; %bb.205:                              ;   in Loop: Header=BB0_202 Depth=3
	ds_load_b64 v[20:21], v0
	v_mov_b32_e32 v5, 0
	v_mov_b32_e32 v145, 0
	s_mov_b32 s25, -1
	s_mov_b32 s24, exec_lo
	s_waitcnt vmcnt(0) lgkmcnt(0)
	s_waitcnt_vscnt null, 0x0
	flat_load_b32 v16, v[20:21] glc
	s_waitcnt vmcnt(0) lgkmcnt(0)
	buffer_gl1_inv
	buffer_gl0_inv
	v_cmpx_ne_u32_e32 0, v16
	s_cbranch_execz .LBB0_199
; %bb.206:                              ;   in Loop: Header=BB0_202 Depth=3
	ds_store_b32 v0, v16
	s_cbranch_execnz .LBB0_419
; %bb.207:                              ;   in Loop: Header=BB0_202 Depth=3
	v_mov_b32_e32 v145, 1
	s_xor_b32 s25, exec_lo, -1
	s_branch .LBB0_199
.LBB0_208:                              ;   in Loop: Header=BB0_195 Depth=2
	s_or_b32 exec_lo, exec_lo, s20
.LBB0_209:                              ;   in Loop: Header=BB0_195 Depth=2
	s_delay_alu instid0(SALU_CYCLE_1)
	s_or_b32 exec_lo, exec_lo, s19
.LBB0_210:                              ;   in Loop: Header=BB0_195 Depth=2
	s_delay_alu instid0(SALU_CYCLE_1)
	s_or_b32 exec_lo, exec_lo, s9
	s_and_saveexec_b32 s9, s2
	s_cbranch_execz .LBB0_212
; %bb.211:                              ;   in Loop: Header=BB0_195 Depth=2
	v_and_b32_e32 v5, 0x7ffffff8, v15
	v_and_b32_e32 v16, 7, v15
	s_delay_alu instid0(VALU_DEP_2) | instskip(NEXT) | instid1(VALU_DEP_2)
	v_cmp_eq_u64_e32 vcc_lo, 0x7ffffff8, v[5:6]
	v_mad_u64_u32 v[20:21], null, v16, 24, v[13:14]
	v_cndmask_b32_e64 v5, v148, s14, vcc_lo
	s_delay_alu instid0(VALU_DEP_1) | instskip(NEXT) | instid1(VALU_DEP_1)
	v_lshlrev_b32_e32 v15, 4, v5
	v_ashrrev_i32_e32 v16, 31, v15
	flat_store_b64 v[20:21], v[15:16] offset:8 dlc
	s_waitcnt_vscnt null, 0x0
.LBB0_212:                              ;   in Loop: Header=BB0_195 Depth=2
	s_or_b32 exec_lo, exec_lo, s9
	v_dual_mov_b32 v15, v17 :: v_dual_mov_b32 v16, v18
.LBB0_213:                              ;   in Loop: Header=BB0_195 Depth=2
	s_or_b32 exec_lo, exec_lo, s8
	s_and_saveexec_b32 s8, s3
	s_cbranch_execz .LBB0_235
; %bb.214:                              ;   in Loop: Header=BB0_195 Depth=2
	s_and_saveexec_b32 s9, s4
	s_delay_alu instid0(SALU_CYCLE_1)
	s_xor_b32 s9, exec_lo, s9
	s_cbranch_execz .LBB0_232
; %bb.215:                              ;   in Loop: Header=BB0_195 Depth=2
	s_and_saveexec_b32 s19, s5
	s_cbranch_execz .LBB0_231
; %bb.216:                              ;   in Loop: Header=BB0_195 Depth=2
	s_mov_b32 s21, exec_lo
	s_mov_b32 s20, exec_lo
	v_mbcnt_lo_u32_b32 v5, s21, 0
	s_waitcnt vmcnt(0) lgkmcnt(0)
	s_waitcnt_vscnt null, 0x0
	buffer_gl1_inv
	buffer_gl0_inv
	v_cmpx_eq_u32_e32 0, v5
	s_cbranch_execz .LBB0_218
; %bb.217:                              ;   in Loop: Header=BB0_195 Depth=2
	s_bcnt1_i32_b32 s21, s21
	s_delay_alu instid0(SALU_CYCLE_1)
	v_mov_b32_e32 v5, s21
	ds_add_u64 v0, v[5:6]
	s_cbranch_execnz .LBB0_417
.LBB0_218:                              ;   in Loop: Header=BB0_195 Depth=2
	s_or_b32 exec_lo, exec_lo, s20
	s_cbranch_execnz .LBB0_409
; %bb.219:                              ;   in Loop: Header=BB0_195 Depth=2
	ds_load_b64 v[17:18], v0
	v_add_co_u32 v2, vcc_lo, v2, v113
	v_add_co_ci_u32_e32 v3, vcc_lo, v3, v115, vcc_lo
	s_mov_b32 s20, exec_lo
	s_waitcnt lgkmcnt(0)
	s_delay_alu instid0(VALU_DEP_1)
	v_cmpx_lt_u64_e64 v[17:18], v[2:3]
	s_cbranch_execz .LBB0_230
; %bb.220:                              ;   in Loop: Header=BB0_195 Depth=2
	s_mov_b32 s21, 0
	s_mov_b32 s24, 0
                                        ; implicit-def: $sgpr22
                                        ; implicit-def: $sgpr23
	s_branch .LBB0_222
.LBB0_221:                              ;   in Loop: Header=BB0_222 Depth=3
	s_or_b32 exec_lo, exec_lo, s27
	s_delay_alu instid0(SALU_CYCLE_1) | instskip(NEXT) | instid1(SALU_CYCLE_1)
	s_and_b32 s25, exec_lo, s26
	s_or_b32 s21, s25, s21
	s_and_not1_b32 s22, s22, exec_lo
	s_and_b32 s25, s23, exec_lo
	s_delay_alu instid0(SALU_CYCLE_1)
	s_or_b32 s22, s22, s25
	s_and_not1_b32 exec_lo, exec_lo, s21
	s_cbranch_execz .LBB0_228
.LBB0_222:                              ;   Parent Loop BB0_66 Depth=1
                                        ;     Parent Loop BB0_195 Depth=2
                                        ; =>    This Inner Loop Header: Depth=3
	s_add_i32 s24, s24, 1
                                        ; implicit-def: $sgpr26
	s_delay_alu instid0(SALU_CYCLE_1) | instskip(SKIP_1) | instid1(SALU_CYCLE_1)
	s_cmpk_lg_i32 s24, 0x2710
	s_cselect_b32 s25, -1, 0
	s_and_b32 vcc_lo, exec_lo, s25
	s_cbranch_vccz .LBB0_226
.LBB0_223:                              ;   in Loop: Header=BB0_222 Depth=3
	s_and_not1_b32 s23, s23, exec_lo
	s_and_b32 s27, s26, exec_lo
	s_mov_b32 s26, -1
	s_or_b32 s23, s23, s27
	s_and_saveexec_b32 s27, s25
	s_cbranch_execz .LBB0_221
; %bb.224:                              ;   in Loop: Header=BB0_222 Depth=3
	s_sleep 1
	s_cbranch_execnz .LBB0_439
; %bb.225:                              ;   in Loop: Header=BB0_222 Depth=3
	ds_load_b64 v[17:18], v0
	s_and_not1_b32 s23, s23, exec_lo
	s_waitcnt lgkmcnt(0)
	v_cmp_ge_u64_e32 vcc_lo, v[17:18], v[2:3]
	s_or_not1_b32 s26, vcc_lo, exec_lo
	s_branch .LBB0_221
.LBB0_226:                              ;   in Loop: Header=BB0_222 Depth=3
	s_cbranch_execnz .LBB0_443
; %bb.227:                              ;   in Loop: Header=BB0_222 Depth=3
	ds_load_b64 v[17:18], v0
	s_and_not1_b32 s25, s25, exec_lo
	s_mov_b32 s24, 0
	s_mov_b32 s26, -1
	s_waitcnt lgkmcnt(0)
	flat_load_b32 v5, v[17:18] glc
	s_waitcnt vmcnt(0) lgkmcnt(0)
	buffer_gl1_inv
	buffer_gl0_inv
	v_cmp_eq_u32_e32 vcc_lo, 0, v5
	s_and_b32 s27, vcc_lo, exec_lo
	s_delay_alu instid0(SALU_CYCLE_1)
	s_or_b32 s25, s25, s27
	s_branch .LBB0_223
.LBB0_228:                              ;   in Loop: Header=BB0_195 Depth=2
	s_or_b32 exec_lo, exec_lo, s21
	s_and_saveexec_b32 s21, s22
	s_delay_alu instid0(SALU_CYCLE_1)
	s_xor_b32 s21, exec_lo, s21
	s_cbranch_execz .LBB0_230
; %bb.229:                              ;   in Loop: Header=BB0_195 Depth=2
	ds_store_b32 v0, v144
	s_cbranch_execnz .LBB0_471
.LBB0_230:                              ;   in Loop: Header=BB0_195 Depth=2
	s_or_b32 exec_lo, exec_lo, s20
	;;#ASMSTART
	s_wakeup
	;;#ASMEND
.LBB0_231:                              ;   in Loop: Header=BB0_195 Depth=2
	s_or_b32 exec_lo, exec_lo, s19
.LBB0_232:                              ;   in Loop: Header=BB0_195 Depth=2
	s_and_not1_saveexec_b32 s9, s9
	s_cbranch_execz .LBB0_234
; %bb.233:                              ;   in Loop: Header=BB0_195 Depth=2
	s_waitcnt vmcnt(0) lgkmcnt(0)
	s_waitcnt_vscnt null, 0x0
	buffer_gl1_inv
	buffer_gl0_inv
	s_barrier
.LBB0_234:                              ;   in Loop: Header=BB0_195 Depth=2
	s_or_b32 exec_lo, exec_lo, s9
.LBB0_235:                              ;   in Loop: Header=BB0_195 Depth=2
	s_delay_alu instid0(SALU_CYCLE_1)
	s_or_b32 exec_lo, exec_lo, s8
	v_mov_b32_e32 v86, v4
	s_and_saveexec_b32 s19, s7
	s_cbranch_execz .LBB0_275
; %bb.236:                              ;   in Loop: Header=BB0_195 Depth=2
	v_dual_mov_b32 v164, v149 :: v_dual_and_b32 v5, 7, v34
	v_dual_mov_b32 v23, v82 :: v_dual_and_b32 v18, 7, v82
	s_waitcnt vmcnt(0) lgkmcnt(0)
	v_mad_u64_u32 v[96:97], null, v0, v19, v[84:85]
	s_delay_alu instid0(VALU_DEP_3)
	v_mul_lo_u32 v17, v5, s14
	v_ashrrev_i32_e32 v5, 31, v19
	v_mul_lo_u32 v20, v18, s14
	v_mul_lo_u32 v19, v102, v19
	v_mov_b32_e32 v86, v4
	s_mov_b32 s20, 0
	v_mul_lo_u32 v22, v0, v5
	v_add_nc_u32_e32 v5, 1, v34
	v_ashrrev_i32_e32 v18, 31, v17
	v_ashrrev_i32_e32 v21, 31, v20
	s_delay_alu instid0(VALU_DEP_2) | instskip(SKIP_1) | instid1(VALU_DEP_3)
	v_lshlrev_b64 v[17:18], 4, v[17:18]
	v_add3_u32 v97, v19, v97, v22
	v_lshlrev_b64 v[19:20], 4, v[20:21]
	s_delay_alu instid0(VALU_DEP_3) | instskip(NEXT) | instid1(VALU_DEP_4)
	v_add_co_u32 v151, vcc_lo, v32, v17
	v_add_co_ci_u32_e32 v160, vcc_lo, v33, v18, vcc_lo
	s_delay_alu instid0(VALU_DEP_3) | instskip(NEXT) | instid1(VALU_DEP_4)
	v_add_co_u32 v161, vcc_lo, v48, v19
	v_add_co_ci_u32_e32 v162, vcc_lo, v49, v20, vcc_lo
	v_add_co_u32 v163, vcc_lo, 0, 0
	v_add_co_ci_u32_e32 v18, vcc_lo, 1, v23, vcc_lo
	s_branch .LBB0_238
.LBB0_237:                              ;   in Loop: Header=BB0_238 Depth=3
	v_sub_nc_u32_e32 v164, v164, v117
	v_add_co_u32 v96, s8, v96, v117
	s_delay_alu instid0(VALU_DEP_1) | instskip(NEXT) | instid1(VALU_DEP_3)
	v_add_co_ci_u32_e64 v97, s8, v97, v128, s8
	v_cmp_gt_i32_e32 vcc_lo, 1, v164
	v_add_nc_u32_e32 v86, v86, v1
	s_or_b32 s20, vcc_lo, s20
	s_delay_alu instid0(SALU_CYCLE_1)
	s_and_not1_b32 exec_lo, exec_lo, s20
	s_cbranch_execz .LBB0_274
.LBB0_238:                              ;   Parent Loop BB0_66 Depth=1
                                        ;     Parent Loop BB0_195 Depth=2
                                        ; =>    This Loop Header: Depth=3
                                        ;         Child Loop BB0_242 Depth 4
	s_delay_alu instid0(VALU_DEP_1) | instskip(NEXT) | instid1(VALU_DEP_1)
	v_ashrrev_i32_e32 v87, 31, v86
	v_lshlrev_b64 v[19:20], 4, v[86:87]
	s_delay_alu instid0(VALU_DEP_1) | instskip(NEXT) | instid1(VALU_DEP_2)
	v_add_co_u32 v100, vcc_lo, v151, v19
	v_add_co_ci_u32_e32 v101, vcc_lo, v160, v20, vcc_lo
	;;#ASMSTART
	global_load_b128 v[21:24], v[100:101], off glc slc dlc
s_waitcnt vmcnt(0)

	;;#ASMEND
	v_lshrrev_b64 v[98:99], 24, v[21:22]
	v_cmp_eq_u32_e32 vcc_lo, 0, v145
	v_lshrrev_b32_e32 v87, 8, v21
	v_lshrrev_b32_e32 v99, 16, v21
	s_and_saveexec_b32 s21, vcc_lo
	s_cbranch_execz .LBB0_256
; %bb.239:                              ;   in Loop: Header=BB0_238 Depth=3
	v_cmp_ne_u32_e64 s8, v5, v22
	v_cmp_ne_u32_e64 s9, v5, v24
	v_mov_b32_e32 v145, 0
	s_delay_alu instid0(VALU_DEP_2) | instskip(NEXT) | instid1(SALU_CYCLE_1)
	s_or_b32 s8, s8, s9
	s_and_saveexec_b32 s9, s8
	s_cbranch_execz .LBB0_255
; %bb.240:                              ;   in Loop: Header=BB0_238 Depth=3
	v_cndmask_b32_e64 v17, 0, 1, vcc_lo
	s_mov_b32 s22, 0
                                        ; implicit-def: $sgpr23
                                        ; implicit-def: $sgpr24
	s_branch .LBB0_242
.LBB0_241:                              ;   in Loop: Header=BB0_242 Depth=4
	s_or_b32 exec_lo, exec_lo, s25
	s_delay_alu instid0(SALU_CYCLE_1) | instskip(NEXT) | instid1(SALU_CYCLE_1)
	s_and_b32 s8, exec_lo, s8
	s_or_b32 s22, s8, s22
	s_and_not1_b32 s8, s23, exec_lo
	s_and_b32 s23, s24, exec_lo
	s_delay_alu instid0(SALU_CYCLE_1)
	s_or_b32 s23, s8, s23
	s_and_not1_b32 exec_lo, exec_lo, s22
	s_cbranch_execz .LBB0_250
.LBB0_242:                              ;   Parent Loop BB0_66 Depth=1
                                        ;     Parent Loop BB0_195 Depth=2
                                        ;       Parent Loop BB0_238 Depth=3
                                        ; =>      This Inner Loop Header: Depth=4
	s_delay_alu instid0(VALU_DEP_1)
	v_add_nc_u32_e32 v17, 1, v17
	v_mov_b32_e32 v145, 0
	s_mov_b32 s8, -1
	s_mov_b32 s26, -1
	s_mov_b32 s25, exec_lo
	;;#ASMSTART
	global_load_b128 v[21:24], v[100:101], off glc slc dlc
s_waitcnt vmcnt(0)

	;;#ASMEND
	v_cmpx_eq_u32_e32 0x2710, v17
	s_cbranch_execz .LBB0_248
; %bb.243:                              ;   in Loop: Header=BB0_242 Depth=4
	s_cbranch_execnz .LBB0_386
; %bb.244:                              ;   in Loop: Header=BB0_242 Depth=4
	ds_load_b64 v[98:99], v0
	v_mov_b32_e32 v17, 0
	v_mov_b32_e32 v145, 0
	s_mov_b32 s27, -1
	s_mov_b32 s26, exec_lo
	s_waitcnt lgkmcnt(0)
	s_waitcnt_vscnt null, 0x0
	flat_load_b32 v87, v[98:99] glc
	s_waitcnt vmcnt(0) lgkmcnt(0)
	buffer_gl1_inv
	buffer_gl0_inv
	v_cmpx_ne_u32_e32 0, v87
	s_cbranch_execz .LBB0_247
; %bb.245:                              ;   in Loop: Header=BB0_242 Depth=4
	ds_store_b32 v0, v87
	s_cbranch_execnz .LBB0_392
; %bb.246:                              ;   in Loop: Header=BB0_242 Depth=4
	v_mov_b32_e32 v145, 1
	s_xor_b32 s27, exec_lo, -1
.LBB0_247:                              ;   in Loop: Header=BB0_242 Depth=4
	s_or_b32 exec_lo, exec_lo, s26
	s_delay_alu instid0(SALU_CYCLE_1)
	s_or_not1_b32 s26, s27, exec_lo
.LBB0_248:                              ;   in Loop: Header=BB0_242 Depth=4
	s_or_b32 exec_lo, exec_lo, s25
	s_delay_alu instid0(SALU_CYCLE_1)
	s_or_b32 s24, s24, exec_lo
	s_and_saveexec_b32 s25, s26
	s_cbranch_execz .LBB0_241
; %bb.249:                              ;   in Loop: Header=BB0_242 Depth=4
	v_cmp_eq_u32_e32 vcc_lo, v5, v22
	v_cmp_eq_u32_e64 s8, v5, v24
	s_and_not1_b32 s24, s24, exec_lo
	s_delay_alu instid0(VALU_DEP_1) | instskip(NEXT) | instid1(SALU_CYCLE_1)
	s_and_b32 s8, vcc_lo, s8
	s_or_not1_b32 s8, s8, exec_lo
	s_branch .LBB0_241
.LBB0_250:                              ;   in Loop: Header=BB0_238 Depth=3
	s_or_b32 exec_lo, exec_lo, s22
	s_xor_b32 s8, s23, -1
                                        ; implicit-def: $vgpr98
                                        ; implicit-def: $vgpr99
                                        ; implicit-def: $vgpr87
	s_delay_alu instid0(SALU_CYCLE_1) | instskip(NEXT) | instid1(SALU_CYCLE_1)
	s_and_saveexec_b32 s22, s8
	s_xor_b32 s8, exec_lo, s22
; %bb.251:                              ;   in Loop: Header=BB0_238 Depth=3
	v_lshrrev_b64 v[98:99], 24, v[21:22]
	v_lshrrev_b32_e32 v87, 8, v21
	v_lshrrev_b32_e32 v99, 16, v21
; %bb.252:                              ;   in Loop: Header=BB0_238 Depth=3
	s_and_not1_saveexec_b32 s8, s8
; %bb.253:                              ;   in Loop: Header=BB0_238 Depth=3
	v_lshrrev_b64 v[98:99], 24, v[21:22]
	v_lshrrev_b32_e32 v87, 8, v21
	v_lshrrev_b32_e32 v99, 16, v21
; %bb.254:                              ;   in Loop: Header=BB0_238 Depth=3
	s_or_b32 exec_lo, exec_lo, s8
.LBB0_255:                              ;   in Loop: Header=BB0_238 Depth=3
	s_delay_alu instid0(SALU_CYCLE_1)
	s_or_b32 exec_lo, exec_lo, s9
.LBB0_256:                              ;   in Loop: Header=BB0_238 Depth=3
	s_delay_alu instid0(SALU_CYCLE_1)
	s_or_b32 exec_lo, exec_lo, s21
	v_add_co_u32 v100, vcc_lo, v161, v19
	v_add_co_ci_u32_e32 v101, vcc_lo, v162, v20, vcc_lo
	v_cmp_lt_u32_e32 vcc_lo, 7, v164
	v_or_b32_e32 v17, v21, v163
	v_or_b32_e32 v19, v23, v163
	v_mov_b32_e32 v20, v18
	v_cndmask_b32_e64 v22, 0, 1, vcc_lo
	global_store_b128 v[100:101], v[17:20], off
	;;#ASMSTART
	;;#ASMEND
	v_cmp_ne_u32_e64 s8, 0, v22
	s_delay_alu instid0(VALU_DEP_1)
	s_cmp_lg_u32 s8, exec_lo
	s_mov_b32 s8, -1
	s_cbranch_scc0 .LBB0_272
; %bb.257:                              ;   in Loop: Header=BB0_238 Depth=3
	s_mov_b32 s9, exec_lo
	flat_store_b8 v[96:97], v21
	v_cmpx_ne_u32_e32 1, v164
	s_cbranch_execz .LBB0_259
; %bb.258:                              ;   in Loop: Header=BB0_238 Depth=3
	flat_store_b8 v[96:97], v87 offset:1
.LBB0_259:                              ;   in Loop: Header=BB0_238 Depth=3
	s_or_b32 exec_lo, exec_lo, s9
	s_delay_alu instid0(SALU_CYCLE_1)
	s_mov_b32 s9, exec_lo
	v_cmpx_lt_u32_e32 2, v164
	s_cbranch_execz .LBB0_261
; %bb.260:                              ;   in Loop: Header=BB0_238 Depth=3
	flat_store_b8 v[96:97], v99 offset:2
.LBB0_261:                              ;   in Loop: Header=BB0_238 Depth=3
	s_or_b32 exec_lo, exec_lo, s9
	s_delay_alu instid0(SALU_CYCLE_1)
	s_mov_b32 s9, exec_lo
	v_cmpx_lt_u32_e32 3, v164
	;; [unrolled: 8-line block ×4, first 2 shown]
	s_cbranch_execz .LBB0_267
; %bb.266:                              ;   in Loop: Header=BB0_238 Depth=3
	v_lshrrev_b32_e32 v17, 8, v23
	flat_store_b8 v[96:97], v17 offset:5
.LBB0_267:                              ;   in Loop: Header=BB0_238 Depth=3
	s_or_b32 exec_lo, exec_lo, s9
	s_delay_alu instid0(SALU_CYCLE_1)
	s_mov_b32 s9, exec_lo
	v_cmpx_lt_u32_e32 6, v164
	s_cbranch_execz .LBB0_269
; %bb.268:                              ;   in Loop: Header=BB0_238 Depth=3
	flat_store_d16_hi_b8 v[96:97], v23 offset:6
.LBB0_269:                              ;   in Loop: Header=BB0_238 Depth=3
	s_or_b32 exec_lo, exec_lo, s9
	s_and_saveexec_b32 s8, vcc_lo
	s_cbranch_execz .LBB0_271
; %bb.270:                              ;   in Loop: Header=BB0_238 Depth=3
	v_lshrrev_b32_e32 v17, 24, v23
	flat_store_b8 v[96:97], v17 offset:7
.LBB0_271:                              ;   in Loop: Header=BB0_238 Depth=3
	s_or_b32 exec_lo, exec_lo, s8
	s_mov_b32 s8, 0
.LBB0_272:                              ;   in Loop: Header=BB0_238 Depth=3
	s_delay_alu instid0(SALU_CYCLE_1)
	s_and_b32 vcc_lo, exec_lo, s8
	s_cbranch_vccz .LBB0_237
; %bb.273:                              ;   in Loop: Header=BB0_238 Depth=3
	v_or_b32_e32 v22, 0, v23
	global_store_b64 v[96:97], v[21:22], off
	s_branch .LBB0_237
.LBB0_274:                              ;   in Loop: Header=BB0_195 Depth=2
	s_or_b32 exec_lo, exec_lo, s20
.LBB0_275:                              ;   in Loop: Header=BB0_195 Depth=2
	s_delay_alu instid0(SALU_CYCLE_1)
	s_or_b32 exec_lo, exec_lo, s19
	s_and_saveexec_b32 s8, s3
	s_cbranch_execz .LBB0_297
; %bb.276:                              ;   in Loop: Header=BB0_195 Depth=2
	s_and_saveexec_b32 s9, s4
	s_delay_alu instid0(SALU_CYCLE_1)
	s_xor_b32 s9, exec_lo, s9
	s_cbranch_execz .LBB0_294
; %bb.277:                              ;   in Loop: Header=BB0_195 Depth=2
	s_and_saveexec_b32 s19, s5
	s_cbranch_execz .LBB0_293
; %bb.278:                              ;   in Loop: Header=BB0_195 Depth=2
	s_mov_b32 s21, exec_lo
	s_mov_b32 s20, exec_lo
	v_mbcnt_lo_u32_b32 v5, s21, 0
	s_waitcnt vmcnt(0) lgkmcnt(0)
	s_waitcnt_vscnt null, 0x0
	buffer_gl1_inv
	buffer_gl0_inv
	v_cmpx_eq_u32_e32 0, v5
	s_cbranch_execz .LBB0_280
; %bb.279:                              ;   in Loop: Header=BB0_195 Depth=2
	s_bcnt1_i32_b32 s21, s21
	s_delay_alu instid0(SALU_CYCLE_1)
	v_mov_b32_e32 v5, s21
	ds_add_u64 v0, v[5:6]
	s_cbranch_execnz .LBB0_435
.LBB0_280:                              ;   in Loop: Header=BB0_195 Depth=2
	s_or_b32 exec_lo, exec_lo, s20
	s_cbranch_execnz .LBB0_423
; %bb.281:                              ;   in Loop: Header=BB0_195 Depth=2
	ds_load_b64 v[17:18], v0
	v_add_co_u32 v2, vcc_lo, v2, v113
	v_add_co_ci_u32_e32 v3, vcc_lo, v3, v115, vcc_lo
	s_mov_b32 s20, exec_lo
	s_waitcnt lgkmcnt(0)
	s_delay_alu instid0(VALU_DEP_1)
	v_cmpx_lt_u64_e64 v[17:18], v[2:3]
	s_cbranch_execz .LBB0_292
; %bb.282:                              ;   in Loop: Header=BB0_195 Depth=2
	s_mov_b32 s21, 0
	s_mov_b32 s24, 0
                                        ; implicit-def: $sgpr22
                                        ; implicit-def: $sgpr23
	s_branch .LBB0_284
.LBB0_283:                              ;   in Loop: Header=BB0_284 Depth=3
	s_or_b32 exec_lo, exec_lo, s27
	s_delay_alu instid0(SALU_CYCLE_1) | instskip(NEXT) | instid1(SALU_CYCLE_1)
	s_and_b32 s25, exec_lo, s26
	s_or_b32 s21, s25, s21
	s_and_not1_b32 s22, s22, exec_lo
	s_and_b32 s25, s23, exec_lo
	s_delay_alu instid0(SALU_CYCLE_1)
	s_or_b32 s22, s22, s25
	s_and_not1_b32 exec_lo, exec_lo, s21
	s_cbranch_execz .LBB0_290
.LBB0_284:                              ;   Parent Loop BB0_66 Depth=1
                                        ;     Parent Loop BB0_195 Depth=2
                                        ; =>    This Inner Loop Header: Depth=3
	s_add_i32 s24, s24, 1
                                        ; implicit-def: $sgpr26
	s_delay_alu instid0(SALU_CYCLE_1) | instskip(SKIP_1) | instid1(SALU_CYCLE_1)
	s_cmpk_lg_i32 s24, 0x2710
	s_cselect_b32 s25, -1, 0
	s_and_b32 vcc_lo, exec_lo, s25
	s_cbranch_vccz .LBB0_288
.LBB0_285:                              ;   in Loop: Header=BB0_284 Depth=3
	s_and_not1_b32 s23, s23, exec_lo
	s_and_b32 s27, s26, exec_lo
	s_mov_b32 s26, -1
	s_or_b32 s23, s23, s27
	s_and_saveexec_b32 s27, s25
	s_cbranch_execz .LBB0_283
; %bb.286:                              ;   in Loop: Header=BB0_284 Depth=3
	s_sleep 1
	s_cbranch_execnz .LBB0_453
; %bb.287:                              ;   in Loop: Header=BB0_284 Depth=3
	ds_load_b64 v[17:18], v0
	s_and_not1_b32 s23, s23, exec_lo
	s_waitcnt lgkmcnt(0)
	v_cmp_ge_u64_e32 vcc_lo, v[17:18], v[2:3]
	s_or_not1_b32 s26, vcc_lo, exec_lo
	s_branch .LBB0_283
.LBB0_288:                              ;   in Loop: Header=BB0_284 Depth=3
	s_cbranch_execnz .LBB0_455
; %bb.289:                              ;   in Loop: Header=BB0_284 Depth=3
	ds_load_b64 v[17:18], v0
	s_and_not1_b32 s25, s25, exec_lo
	s_mov_b32 s24, 0
	s_mov_b32 s26, -1
	s_waitcnt lgkmcnt(0)
	flat_load_b32 v5, v[17:18] glc
	s_waitcnt vmcnt(0) lgkmcnt(0)
	buffer_gl1_inv
	buffer_gl0_inv
	v_cmp_eq_u32_e32 vcc_lo, 0, v5
	s_and_b32 s27, vcc_lo, exec_lo
	s_delay_alu instid0(SALU_CYCLE_1)
	s_or_b32 s25, s25, s27
	s_branch .LBB0_285
.LBB0_290:                              ;   in Loop: Header=BB0_195 Depth=2
	s_or_b32 exec_lo, exec_lo, s21
	s_and_saveexec_b32 s21, s22
	s_delay_alu instid0(SALU_CYCLE_1)
	s_xor_b32 s21, exec_lo, s21
	s_cbranch_execz .LBB0_292
; %bb.291:                              ;   in Loop: Header=BB0_195 Depth=2
	ds_store_b32 v0, v144
	s_cbranch_execnz .LBB0_477
.LBB0_292:                              ;   in Loop: Header=BB0_195 Depth=2
	s_or_b32 exec_lo, exec_lo, s20
	;;#ASMSTART
	s_wakeup
	;;#ASMEND
.LBB0_293:                              ;   in Loop: Header=BB0_195 Depth=2
	s_or_b32 exec_lo, exec_lo, s19
.LBB0_294:                              ;   in Loop: Header=BB0_195 Depth=2
	s_and_not1_saveexec_b32 s9, s9
	s_cbranch_execz .LBB0_296
; %bb.295:                              ;   in Loop: Header=BB0_195 Depth=2
	s_waitcnt vmcnt(0) lgkmcnt(0)
	s_waitcnt_vscnt null, 0x0
	buffer_gl1_inv
	buffer_gl0_inv
	s_barrier
.LBB0_296:                              ;   in Loop: Header=BB0_195 Depth=2
	s_or_b32 exec_lo, exec_lo, s9
.LBB0_297:                              ;   in Loop: Header=BB0_195 Depth=2
	s_delay_alu instid0(SALU_CYCLE_1)
	s_or_b32 exec_lo, exec_lo, s8
	s_and_saveexec_b32 s8, s6
	s_cbranch_execz .LBB0_299
; %bb.298:                              ;   in Loop: Header=BB0_195 Depth=2
	v_add_co_u32 v50, vcc_lo, v50, 1
	v_add_co_ci_u32_e32 v51, vcc_lo, 0, v51, vcc_lo
	s_waitcnt vmcnt(0) lgkmcnt(0)
	s_waitcnt_vscnt null, 0x0
	flat_store_b64 v[38:39], v[50:51]
.LBB0_299:                              ;   in Loop: Header=BB0_195 Depth=2
	s_or_b32 exec_lo, exec_lo, s8
	v_and_b32_e32 v5, 0x7ffffff8, v82
	v_cmp_gt_i32_e64 s8, s14, v86
	s_delay_alu instid0(VALU_DEP_2) | instskip(NEXT) | instid1(VALU_DEP_2)
	v_cmp_eq_u64_e32 vcc_lo, 0x7ffffff8, v[5:6]
	s_and_b32 s8, vcc_lo, s8
	s_delay_alu instid0(SALU_CYCLE_1)
	s_and_saveexec_b32 s9, s8
	s_cbranch_execz .LBB0_302
; %bb.300:                              ;   in Loop: Header=BB0_195 Depth=2
	v_and_b32_e32 v5, 7, v150
	v_ashrrev_i32_e32 v87, 31, v86
	s_mov_b32 s19, 0
	s_delay_alu instid0(VALU_DEP_2) | instskip(SKIP_1) | instid1(VALU_DEP_2)
	v_mul_lo_u32 v17, s14, v5
	s_waitcnt vmcnt(0) lgkmcnt(0)
	v_lshlrev_b64 v[19:20], 4, v[86:87]
	v_mov_b32_e32 v5, v82
	s_delay_alu instid0(VALU_DEP_3) | instskip(NEXT) | instid1(VALU_DEP_1)
	v_ashrrev_i32_e32 v18, 31, v17
	v_lshlrev_b64 v[17:18], 4, v[17:18]
	s_delay_alu instid0(VALU_DEP_1) | instskip(NEXT) | instid1(VALU_DEP_2)
	v_add_co_u32 v19, vcc_lo, v19, v17
	v_add_co_ci_u32_e32 v20, vcc_lo, v20, v18, vcc_lo
	v_add_co_u32 v17, vcc_lo, 0, 0
	v_add_co_ci_u32_e32 v18, vcc_lo, 1, v5, vcc_lo
	s_delay_alu instid0(VALU_DEP_4) | instskip(NEXT) | instid1(VALU_DEP_4)
	v_add_co_u32 v21, vcc_lo, v48, v19
	v_add_co_ci_u32_e32 v22, vcc_lo, v49, v20, vcc_lo
.LBB0_301:                              ;   Parent Loop BB0_66 Depth=1
                                        ;     Parent Loop BB0_195 Depth=2
                                        ; =>    This Inner Loop Header: Depth=3
	s_delay_alu instid0(VALU_DEP_4) | instskip(NEXT) | instid1(VALU_DEP_4)
	v_dual_mov_b32 v19, v17 :: v_dual_add_nc_u32 v86, v86, v1
	v_mov_b32_e32 v20, v18
	s_delay_alu instid0(VALU_DEP_2) | instskip(SKIP_2) | instid1(VALU_DEP_1)
	v_cmp_le_i32_e32 vcc_lo, s14, v86
	global_store_b128 v[21:22], v[17:20], off
	v_add_co_u32 v21, s8, v21, v70
	v_add_co_ci_u32_e64 v22, s8, v22, v71, s8
	s_or_b32 s19, vcc_lo, s19
	s_delay_alu instid0(SALU_CYCLE_1)
	s_and_not1_b32 exec_lo, exec_lo, s19
	s_cbranch_execnz .LBB0_301
.LBB0_302:                              ;   in Loop: Header=BB0_195 Depth=2
	s_or_b32 exec_lo, exec_lo, s9
	v_add_co_u32 v34, vcc_lo, v34, 1
	v_add_co_ci_u32_e32 v35, vcc_lo, 0, v35, vcc_lo
	v_add_co_u32 v82, vcc_lo, v82, 1
	v_add_co_ci_u32_e32 v83, vcc_lo, 0, v83, vcc_lo
	v_add_nc_u16 v150, v150, 1
	s_add_i32 s8, s18, 1
	s_cmp_eq_u32 s18, s17
	s_cbranch_scc1 .LBB0_304
; %bb.303:                              ;   in Loop: Header=BB0_195 Depth=2
	s_mov_b32 s18, s8
	s_branch .LBB0_195
.LBB0_304:                              ;   in Loop: Header=BB0_66 Depth=1
	v_mov_b32_e32 v5, v149
.LBB0_305:                              ;   in Loop: Header=BB0_66 Depth=1
	v_dual_mov_b32 v21, v82 :: v_dual_mov_b32 v22, v83
	s_mov_b32 s9, exec_lo
	s_delay_alu instid0(VALU_DEP_2)
	v_cmpx_lt_i32_e32 0, v5
	s_cbranch_execz .LBB0_345
; %bb.306:                              ;   in Loop: Header=BB0_66 Depth=1
	flat_load_b32 v82, v[25:26] offset:4
	s_waitcnt vmcnt(1) lgkmcnt(1)
	v_add_co_u32 v19, vcc_lo, v9, v146
	v_and_b32_e32 v17, 7, v34
	v_add_co_ci_u32_e32 v20, vcc_lo, v10, v147, vcc_lo
	v_add_nc_u32_e32 v87, 1, v34
	s_mov_b32 s18, 0
	s_waitcnt vmcnt(0) lgkmcnt(0)
	v_ashrrev_i32_e32 v83, 31, v82
	v_mul_lo_u32 v84, v102, v82
	v_mad_u64_u32 v[23:24], null, v0, v82, v[19:20]
	v_mov_b32_e32 v82, v4
	v_mul_lo_u32 v17, v17, s14
	v_mul_lo_u32 v19, v0, v83
	s_delay_alu instid0(VALU_DEP_2) | instskip(NEXT) | instid1(VALU_DEP_2)
	v_ashrrev_i32_e32 v18, 31, v17
	v_add3_u32 v19, v84, v24, v19
	s_delay_alu instid0(VALU_DEP_2) | instskip(NEXT) | instid1(VALU_DEP_1)
	v_lshlrev_b64 v[17:18], 4, v[17:18]
	v_add_co_u32 v96, vcc_lo, v32, v17
	s_delay_alu instid0(VALU_DEP_2)
	v_add_co_ci_u32_e32 v97, vcc_lo, v33, v18, vcc_lo
	v_add_co_u32 v23, vcc_lo, v23, v114
	v_add_co_ci_u32_e32 v24, vcc_lo, v19, v116, vcc_lo
	s_branch .LBB0_308
.LBB0_307:                              ;   in Loop: Header=BB0_308 Depth=2
	v_sub_nc_u32_e32 v5, v5, v117
	v_add_co_u32 v23, s7, v23, v117
	s_delay_alu instid0(VALU_DEP_1) | instskip(NEXT) | instid1(VALU_DEP_3)
	v_add_co_ci_u32_e64 v24, s7, v24, v128, s7
	v_cmp_gt_i32_e32 vcc_lo, 1, v5
	v_add_nc_u32_e32 v82, v82, v1
	s_or_b32 s18, vcc_lo, s18
	s_delay_alu instid0(SALU_CYCLE_1)
	s_and_not1_b32 exec_lo, exec_lo, s18
	s_cbranch_execz .LBB0_344
.LBB0_308:                              ;   Parent Loop BB0_66 Depth=1
                                        ; =>  This Loop Header: Depth=2
                                        ;       Child Loop BB0_312 Depth 3
	s_delay_alu instid0(VALU_DEP_1) | instskip(NEXT) | instid1(VALU_DEP_1)
	v_ashrrev_i32_e32 v83, 31, v82
	v_lshlrev_b64 v[17:18], 4, v[82:83]
	s_delay_alu instid0(VALU_DEP_1) | instskip(NEXT) | instid1(VALU_DEP_2)
	v_add_co_u32 v85, vcc_lo, v96, v17
	v_add_co_ci_u32_e32 v86, vcc_lo, v97, v18, vcc_lo
	;;#ASMSTART
	global_load_b128 v[17:20], v[85:86], off glc slc dlc
s_waitcnt vmcnt(0)

	;;#ASMEND
	v_lshrrev_b64 v[83:84], 24, v[17:18]
	v_cmp_eq_u32_e32 vcc_lo, 0, v145
	v_lshrrev_b32_e32 v98, 8, v17
	v_lshrrev_b32_e32 v84, 16, v17
	s_and_saveexec_b32 s19, vcc_lo
	s_cbranch_execz .LBB0_326
; %bb.309:                              ;   in Loop: Header=BB0_308 Depth=2
	v_cmp_ne_u32_e64 s7, v87, v18
	v_cmp_ne_u32_e64 s8, v87, v20
	v_mov_b32_e32 v145, 0
	s_delay_alu instid0(VALU_DEP_2) | instskip(NEXT) | instid1(SALU_CYCLE_1)
	s_or_b32 s7, s7, s8
	s_and_saveexec_b32 s8, s7
	s_cbranch_execz .LBB0_325
; %bb.310:                              ;   in Loop: Header=BB0_308 Depth=2
	v_cndmask_b32_e64 v83, 0, 1, vcc_lo
	s_mov_b32 s20, 0
                                        ; implicit-def: $sgpr21
                                        ; implicit-def: $sgpr22
	s_branch .LBB0_312
.LBB0_311:                              ;   in Loop: Header=BB0_312 Depth=3
	s_or_b32 exec_lo, exec_lo, s23
	s_delay_alu instid0(SALU_CYCLE_1) | instskip(NEXT) | instid1(SALU_CYCLE_1)
	s_and_b32 s7, exec_lo, s7
	s_or_b32 s20, s7, s20
	s_and_not1_b32 s7, s21, exec_lo
	s_and_b32 s21, s22, exec_lo
	s_delay_alu instid0(SALU_CYCLE_1)
	s_or_b32 s21, s7, s21
	s_and_not1_b32 exec_lo, exec_lo, s20
	s_cbranch_execz .LBB0_320
.LBB0_312:                              ;   Parent Loop BB0_66 Depth=1
                                        ;     Parent Loop BB0_308 Depth=2
                                        ; =>    This Inner Loop Header: Depth=3
	s_delay_alu instid0(VALU_DEP_1)
	v_add_nc_u32_e32 v83, 1, v83
	v_mov_b32_e32 v145, 0
	s_mov_b32 s7, -1
	s_mov_b32 s24, -1
	s_mov_b32 s23, exec_lo
	;;#ASMSTART
	global_load_b128 v[17:20], v[85:86], off glc slc dlc
s_waitcnt vmcnt(0)

	;;#ASMEND
	v_cmpx_eq_u32_e32 0x2710, v83
	s_cbranch_execz .LBB0_318
; %bb.313:                              ;   in Loop: Header=BB0_312 Depth=3
	s_cbranch_execnz .LBB0_388
; %bb.314:                              ;   in Loop: Header=BB0_312 Depth=3
	ds_load_b64 v[83:84], v0
	v_mov_b32_e32 v145, 0
	s_mov_b32 s25, -1
	s_mov_b32 s24, exec_lo
	s_waitcnt lgkmcnt(0)
	s_waitcnt_vscnt null, 0x0
	flat_load_b32 v84, v[83:84] glc
	s_waitcnt vmcnt(0) lgkmcnt(0)
	buffer_gl1_inv
	buffer_gl0_inv
	v_mov_b32_e32 v83, 0
	v_cmpx_ne_u32_e32 0, v84
	s_cbranch_execz .LBB0_317
; %bb.315:                              ;   in Loop: Header=BB0_312 Depth=3
	ds_store_b32 v0, v84
	s_cbranch_execnz .LBB0_400
; %bb.316:                              ;   in Loop: Header=BB0_312 Depth=3
	v_mov_b32_e32 v145, 1
	s_xor_b32 s25, exec_lo, -1
.LBB0_317:                              ;   in Loop: Header=BB0_312 Depth=3
	s_or_b32 exec_lo, exec_lo, s24
	s_delay_alu instid0(SALU_CYCLE_1)
	s_or_not1_b32 s24, s25, exec_lo
.LBB0_318:                              ;   in Loop: Header=BB0_312 Depth=3
	s_or_b32 exec_lo, exec_lo, s23
	s_delay_alu instid0(SALU_CYCLE_1)
	s_or_b32 s22, s22, exec_lo
	s_and_saveexec_b32 s23, s24
	s_cbranch_execz .LBB0_311
; %bb.319:                              ;   in Loop: Header=BB0_312 Depth=3
	v_cmp_eq_u32_e32 vcc_lo, v87, v18
	v_cmp_eq_u32_e64 s7, v87, v20
	s_and_not1_b32 s22, s22, exec_lo
	s_delay_alu instid0(VALU_DEP_1) | instskip(NEXT) | instid1(SALU_CYCLE_1)
	s_and_b32 s7, vcc_lo, s7
	s_or_not1_b32 s7, s7, exec_lo
	s_branch .LBB0_311
.LBB0_320:                              ;   in Loop: Header=BB0_308 Depth=2
	s_or_b32 exec_lo, exec_lo, s20
	s_xor_b32 s7, s21, -1
                                        ; implicit-def: $vgpr83
                                        ; implicit-def: $vgpr84
                                        ; implicit-def: $vgpr98
	s_delay_alu instid0(SALU_CYCLE_1) | instskip(NEXT) | instid1(SALU_CYCLE_1)
	s_and_saveexec_b32 s20, s7
	s_xor_b32 s7, exec_lo, s20
; %bb.321:                              ;   in Loop: Header=BB0_308 Depth=2
	v_lshrrev_b64 v[83:84], 24, v[17:18]
	v_lshrrev_b32_e32 v98, 8, v17
	v_lshrrev_b32_e32 v84, 16, v17
; %bb.322:                              ;   in Loop: Header=BB0_308 Depth=2
	s_and_not1_saveexec_b32 s7, s7
; %bb.323:                              ;   in Loop: Header=BB0_308 Depth=2
	v_lshrrev_b64 v[83:84], 24, v[17:18]
	v_lshrrev_b32_e32 v98, 8, v17
	v_lshrrev_b32_e32 v84, 16, v17
; %bb.324:                              ;   in Loop: Header=BB0_308 Depth=2
	s_or_b32 exec_lo, exec_lo, s7
.LBB0_325:                              ;   in Loop: Header=BB0_308 Depth=2
	s_delay_alu instid0(SALU_CYCLE_1)
	s_or_b32 exec_lo, exec_lo, s8
.LBB0_326:                              ;   in Loop: Header=BB0_308 Depth=2
	s_delay_alu instid0(SALU_CYCLE_1) | instskip(SKIP_3) | instid1(VALU_DEP_1)
	s_or_b32 exec_lo, exec_lo, s19
	v_cmp_lt_u32_e32 vcc_lo, 7, v5
	v_cndmask_b32_e64 v18, 0, 1, vcc_lo
	;;#ASMSTART
	;;#ASMEND
	v_cmp_ne_u32_e64 s7, 0, v18
	s_delay_alu instid0(VALU_DEP_1)
	s_cmp_lg_u32 s7, exec_lo
	s_mov_b32 s7, -1
	s_cbranch_scc0 .LBB0_342
; %bb.327:                              ;   in Loop: Header=BB0_308 Depth=2
	s_mov_b32 s8, exec_lo
	flat_store_b8 v[23:24], v17
	v_cmpx_ne_u32_e32 1, v5
	s_cbranch_execz .LBB0_329
; %bb.328:                              ;   in Loop: Header=BB0_308 Depth=2
	flat_store_b8 v[23:24], v98 offset:1
.LBB0_329:                              ;   in Loop: Header=BB0_308 Depth=2
	s_or_b32 exec_lo, exec_lo, s8
	s_delay_alu instid0(SALU_CYCLE_1)
	s_mov_b32 s8, exec_lo
	v_cmpx_lt_u32_e32 2, v5
	s_cbranch_execz .LBB0_331
; %bb.330:                              ;   in Loop: Header=BB0_308 Depth=2
	flat_store_b8 v[23:24], v84 offset:2
.LBB0_331:                              ;   in Loop: Header=BB0_308 Depth=2
	s_or_b32 exec_lo, exec_lo, s8
	s_delay_alu instid0(SALU_CYCLE_1)
	s_mov_b32 s8, exec_lo
	v_cmpx_lt_u32_e32 3, v5
	;; [unrolled: 8-line block ×4, first 2 shown]
	s_cbranch_execz .LBB0_337
; %bb.336:                              ;   in Loop: Header=BB0_308 Depth=2
	v_lshrrev_b32_e32 v18, 8, v19
	flat_store_b8 v[23:24], v18 offset:5
.LBB0_337:                              ;   in Loop: Header=BB0_308 Depth=2
	s_or_b32 exec_lo, exec_lo, s8
	s_delay_alu instid0(SALU_CYCLE_1)
	s_mov_b32 s8, exec_lo
	v_cmpx_lt_u32_e32 6, v5
	s_cbranch_execz .LBB0_339
; %bb.338:                              ;   in Loop: Header=BB0_308 Depth=2
	flat_store_d16_hi_b8 v[23:24], v19 offset:6
.LBB0_339:                              ;   in Loop: Header=BB0_308 Depth=2
	s_or_b32 exec_lo, exec_lo, s8
	s_and_saveexec_b32 s7, vcc_lo
	s_cbranch_execz .LBB0_341
; %bb.340:                              ;   in Loop: Header=BB0_308 Depth=2
	v_lshrrev_b32_e32 v18, 24, v19
	flat_store_b8 v[23:24], v18 offset:7
.LBB0_341:                              ;   in Loop: Header=BB0_308 Depth=2
	s_or_b32 exec_lo, exec_lo, s7
	s_mov_b32 s7, 0
.LBB0_342:                              ;   in Loop: Header=BB0_308 Depth=2
	s_delay_alu instid0(SALU_CYCLE_1)
	s_and_b32 vcc_lo, exec_lo, s7
	s_cbranch_vccz .LBB0_307
; %bb.343:                              ;   in Loop: Header=BB0_308 Depth=2
	v_mov_b32_e32 v18, v19
	global_store_b64 v[23:24], v[17:18], off
	s_branch .LBB0_307
.LBB0_344:                              ;   in Loop: Header=BB0_66 Depth=1
	s_or_b32 exec_lo, exec_lo, s18
.LBB0_345:                              ;   in Loop: Header=BB0_66 Depth=1
	s_delay_alu instid0(SALU_CYCLE_1)
	s_or_b32 exec_lo, exec_lo, s9
	s_and_saveexec_b32 s7, s3
	s_cbranch_execz .LBB0_367
; %bb.346:                              ;   in Loop: Header=BB0_66 Depth=1
	s_and_saveexec_b32 s8, s4
	s_delay_alu instid0(SALU_CYCLE_1)
	s_xor_b32 s8, exec_lo, s8
	s_cbranch_execz .LBB0_364
; %bb.347:                              ;   in Loop: Header=BB0_66 Depth=1
	s_and_saveexec_b32 s9, s5
	s_cbranch_execz .LBB0_363
; %bb.348:                              ;   in Loop: Header=BB0_66 Depth=1
	s_mov_b32 s19, exec_lo
	s_mov_b32 s18, exec_lo
	v_mbcnt_lo_u32_b32 v5, s19, 0
	s_waitcnt vmcnt(0) lgkmcnt(0)
	s_waitcnt_vscnt null, 0x0
	buffer_gl1_inv
	buffer_gl0_inv
	v_cmpx_eq_u32_e32 0, v5
	s_cbranch_execz .LBB0_350
; %bb.349:                              ;   in Loop: Header=BB0_66 Depth=1
	s_bcnt1_i32_b32 s19, s19
	s_delay_alu instid0(SALU_CYCLE_1)
	v_mov_b32_e32 v5, s19
	ds_add_u64 v0, v[5:6]
	s_cbranch_execnz .LBB0_441
.LBB0_350:                              ;   in Loop: Header=BB0_66 Depth=1
	s_or_b32 exec_lo, exec_lo, s18
	s_cbranch_execnz .LBB0_429
; %bb.351:                              ;   in Loop: Header=BB0_66 Depth=1
	ds_load_b64 v[17:18], v0
	v_add_co_u32 v2, vcc_lo, v2, v113
	v_add_co_ci_u32_e32 v3, vcc_lo, v3, v115, vcc_lo
	s_mov_b32 s18, exec_lo
	s_waitcnt lgkmcnt(0)
	s_delay_alu instid0(VALU_DEP_1)
	v_cmpx_lt_u64_e64 v[17:18], v[2:3]
	s_cbranch_execz .LBB0_362
; %bb.352:                              ;   in Loop: Header=BB0_66 Depth=1
	s_mov_b32 s19, 0
	s_mov_b32 s22, 0
                                        ; implicit-def: $sgpr20
                                        ; implicit-def: $sgpr21
	s_branch .LBB0_354
.LBB0_353:                              ;   in Loop: Header=BB0_354 Depth=2
	s_or_b32 exec_lo, exec_lo, s25
	s_delay_alu instid0(SALU_CYCLE_1) | instskip(NEXT) | instid1(SALU_CYCLE_1)
	s_and_b32 s23, exec_lo, s24
	s_or_b32 s19, s23, s19
	s_and_not1_b32 s20, s20, exec_lo
	s_and_b32 s23, s21, exec_lo
	s_delay_alu instid0(SALU_CYCLE_1)
	s_or_b32 s20, s20, s23
	s_and_not1_b32 exec_lo, exec_lo, s19
	s_cbranch_execz .LBB0_360
.LBB0_354:                              ;   Parent Loop BB0_66 Depth=1
                                        ; =>  This Inner Loop Header: Depth=2
	s_add_i32 s22, s22, 1
                                        ; implicit-def: $sgpr24
	s_delay_alu instid0(SALU_CYCLE_1) | instskip(SKIP_1) | instid1(SALU_CYCLE_1)
	s_cmpk_lg_i32 s22, 0x2710
	s_cselect_b32 s23, -1, 0
	s_and_b32 vcc_lo, exec_lo, s23
	s_cbranch_vccz .LBB0_358
.LBB0_355:                              ;   in Loop: Header=BB0_354 Depth=2
	s_and_not1_b32 s21, s21, exec_lo
	s_and_b32 s25, s24, exec_lo
	s_mov_b32 s24, -1
	s_or_b32 s21, s21, s25
	s_and_saveexec_b32 s25, s23
	s_cbranch_execz .LBB0_353
; %bb.356:                              ;   in Loop: Header=BB0_354 Depth=2
	s_sleep 1
	s_cbranch_execnz .LBB0_457
; %bb.357:                              ;   in Loop: Header=BB0_354 Depth=2
	ds_load_b64 v[17:18], v0
	s_and_not1_b32 s21, s21, exec_lo
	s_waitcnt lgkmcnt(0)
	v_cmp_ge_u64_e32 vcc_lo, v[17:18], v[2:3]
	s_or_not1_b32 s24, vcc_lo, exec_lo
	s_branch .LBB0_353
.LBB0_358:                              ;   in Loop: Header=BB0_354 Depth=2
	s_cbranch_execnz .LBB0_459
; %bb.359:                              ;   in Loop: Header=BB0_354 Depth=2
	ds_load_b64 v[17:18], v0
	s_and_not1_b32 s23, s23, exec_lo
	s_mov_b32 s22, 0
	s_mov_b32 s24, -1
	s_waitcnt lgkmcnt(0)
	flat_load_b32 v5, v[17:18] glc
	s_waitcnt vmcnt(0) lgkmcnt(0)
	buffer_gl1_inv
	buffer_gl0_inv
	v_cmp_eq_u32_e32 vcc_lo, 0, v5
	s_and_b32 s25, vcc_lo, exec_lo
	s_delay_alu instid0(SALU_CYCLE_1)
	s_or_b32 s23, s23, s25
	s_branch .LBB0_355
.LBB0_360:                              ;   in Loop: Header=BB0_66 Depth=1
	s_or_b32 exec_lo, exec_lo, s19
	s_and_saveexec_b32 s19, s20
	s_delay_alu instid0(SALU_CYCLE_1)
	s_xor_b32 s19, exec_lo, s19
	s_cbranch_execz .LBB0_362
; %bb.361:                              ;   in Loop: Header=BB0_66 Depth=1
	ds_store_b32 v0, v144
	s_cbranch_execnz .LBB0_479
.LBB0_362:                              ;   in Loop: Header=BB0_66 Depth=1
	s_or_b32 exec_lo, exec_lo, s18
	;;#ASMSTART
	s_wakeup
	;;#ASMEND
.LBB0_363:                              ;   in Loop: Header=BB0_66 Depth=1
	s_or_b32 exec_lo, exec_lo, s9
.LBB0_364:                              ;   in Loop: Header=BB0_66 Depth=1
	s_and_not1_saveexec_b32 s8, s8
	s_cbranch_execz .LBB0_366
; %bb.365:                              ;   in Loop: Header=BB0_66 Depth=1
	s_waitcnt vmcnt(0) lgkmcnt(0)
	s_waitcnt_vscnt null, 0x0
	buffer_gl1_inv
	buffer_gl0_inv
	s_barrier
.LBB0_366:                              ;   in Loop: Header=BB0_66 Depth=1
	s_or_b32 exec_lo, exec_lo, s8
.LBB0_367:                              ;   in Loop: Header=BB0_66 Depth=1
	s_delay_alu instid0(SALU_CYCLE_1)
	s_or_b32 exec_lo, exec_lo, s7
	s_and_saveexec_b32 s7, s6
	s_cbranch_execz .LBB0_369
; %bb.368:                              ;   in Loop: Header=BB0_66 Depth=1
	v_add_co_u32 v50, vcc_lo, v50, 1
	v_add_co_ci_u32_e32 v51, vcc_lo, 0, v51, vcc_lo
	s_waitcnt vmcnt(0) lgkmcnt(0)
	s_waitcnt_vscnt null, 0x0
	flat_store_b64 v[38:39], v[50:51]
.LBB0_369:                              ;   in Loop: Header=BB0_66 Depth=1
	s_or_b32 exec_lo, exec_lo, s7
	v_add_co_u32 v34, vcc_lo, v34, 1
	v_add_co_ci_u32_e32 v35, vcc_lo, 0, v35, vcc_lo
	v_add_co_u32 v68, vcc_lo, v68, v112
	v_add_co_ci_u32_e32 v69, vcc_lo, 0, v69, vcc_lo
	;; [unrolled: 2-line block ×3, first 2 shown]
	s_delay_alu instid0(VALU_DEP_3) | instskip(SKIP_4) | instid1(SALU_CYCLE_1)
	v_cmp_ge_u64_e32 vcc_lo, v[68:69], v[7:8]
	v_add_co_u32 v66, s7, v66, v112
	v_add_nc_u32_e32 v131, v131, v132
	v_add_co_ci_u32_e64 v67, s7, 0, v67, s7
	s_or_b32 s15, vcc_lo, s15
	s_and_not1_b32 exec_lo, exec_lo, s15
	s_cbranch_execnz .LBB0_66
; %bb.370:
	s_or_b32 exec_lo, exec_lo, s15
.LBB0_371:
	s_delay_alu instid0(SALU_CYCLE_1)
	s_or_b32 exec_lo, exec_lo, s13
; %bb.372:
	s_and_saveexec_b32 s1, s12
	s_cbranch_execz .LBB0_374
; %bb.373:
	s_waitcnt lgkmcnt(0)
	flat_store_b64 v[29:30], v[50:51] offset:104
.LBB0_374:
	s_or_b32 exec_lo, exec_lo, s1
	s_and_saveexec_b32 s1, s0
	s_cbranch_execz .LBB0_376
; %bb.375:
	s_waitcnt lgkmcnt(0)
	flat_store_b64 v[36:37], v[15:16] offset:104
.LBB0_376:
	s_or_b32 exec_lo, exec_lo, s1
	s_delay_alu instid0(SALU_CYCLE_1)
	s_mov_b32 s0, exec_lo
	v_cmpx_ne_u32_e32 32, v1
	s_cbranch_execz .LBB0_467
; %bb.377:
	s_mov_b32 s1, exec_lo
	v_cmpx_ne_u32_e64 v103, v1
	s_xor_b32 s1, exec_lo, s1
	s_cbranch_execz .LBB0_465
; %bb.378:
	v_and_b32_e32 v0, 31, v31
	s_mov_b32 s2, exec_lo
	s_delay_alu instid0(VALU_DEP_1)
	v_cmpx_eq_u32_e32 0, v0
	s_cbranch_execz .LBB0_464
; %bb.379:
	s_mov_b32 s4, exec_lo
	s_mov_b32 s3, exec_lo
	v_mbcnt_lo_u32_b32 v0, s4, 0
	s_waitcnt vmcnt(0) lgkmcnt(0)
	s_waitcnt_vscnt null, 0x0
	buffer_gl1_inv
	buffer_gl0_inv
	v_cmpx_eq_u32_e32 0, v0
	s_cbranch_execz .LBB0_381
; %bb.380:
	s_bcnt1_i32_b32 s4, s4
	s_delay_alu instid0(SALU_CYCLE_1)
	v_dual_mov_b32 v5, 0 :: v_dual_mov_b32 v4, s4
	ds_add_u64 v0, v[4:5]
	s_cbranch_execnz .LBB0_411
.LBB0_381:
	s_or_b32 exec_lo, exec_lo, s3
	s_cbranch_execnz .LBB0_398
; %bb.382:
	v_ashrrev_i32_e32 v0, 31, v1
	s_mov_b32 s3, exec_lo
	s_delay_alu instid0(VALU_DEP_1) | instskip(NEXT) | instid1(VALU_DEP_1)
	v_lshrrev_b32_e32 v0, 27, v0
	v_add_nc_u32_e32 v0, v1, v0
	ds_load_b64 v[4:5], v0
	v_ashrrev_i32_e32 v0, 5, v0
	s_delay_alu instid0(VALU_DEP_1) | instskip(SKIP_1) | instid1(VALU_DEP_2)
	v_ashrrev_i32_e32 v1, 31, v0
	v_add_co_u32 v0, vcc_lo, v2, v0
	v_add_co_ci_u32_e32 v1, vcc_lo, v3, v1, vcc_lo
	s_waitcnt lgkmcnt(0)
	s_delay_alu instid0(VALU_DEP_1)
	v_cmpx_lt_u64_e64 v[4:5], v[0:1]
	s_cbranch_execz .LBB0_463
; %bb.383:
	s_mov_b32 s4, 0
	s_mov_b32 s7, 0
                                        ; implicit-def: $sgpr5
                                        ; implicit-def: $sgpr6
	s_branch .LBB0_403
.LBB0_384:
	s_trap 2
	s_sendmsg_rtn_b32 s0, sendmsg(MSG_RTN_GET_DOORBELL)
	s_mov_b32 ttmp2, m0
	s_waitcnt lgkmcnt(0)
	s_and_b32 s0, s0, 0x3ff
	s_delay_alu instid0(SALU_CYCLE_1) | instskip(NEXT) | instid1(SALU_CYCLE_1)
	s_bitset1_b32 s0, 10
	s_mov_b32 m0, s0
	s_sendmsg sendmsg(MSG_INTERRUPT)
	s_mov_b32 m0, ttmp2
.LBB0_385:                              ; =>This Inner Loop Header: Depth=1
	s_sethalt 5
	s_branch .LBB0_385
.LBB0_386:
	s_trap 2
	s_sendmsg_rtn_b32 s0, sendmsg(MSG_RTN_GET_DOORBELL)
	s_mov_b32 ttmp2, m0
	s_waitcnt lgkmcnt(0)
	s_and_b32 s0, s0, 0x3ff
	s_delay_alu instid0(SALU_CYCLE_1) | instskip(NEXT) | instid1(SALU_CYCLE_1)
	s_bitset1_b32 s0, 10
	s_mov_b32 m0, s0
	s_sendmsg sendmsg(MSG_INTERRUPT)
	s_mov_b32 m0, ttmp2
.LBB0_387:                              ; =>This Inner Loop Header: Depth=1
	s_sethalt 5
	s_branch .LBB0_387
.LBB0_388:
	s_trap 2
	s_sendmsg_rtn_b32 s0, sendmsg(MSG_RTN_GET_DOORBELL)
	s_mov_b32 ttmp2, m0
	s_waitcnt lgkmcnt(0)
	s_and_b32 s0, s0, 0x3ff
	s_delay_alu instid0(SALU_CYCLE_1) | instskip(NEXT) | instid1(SALU_CYCLE_1)
	s_bitset1_b32 s0, 10
	s_mov_b32 m0, s0
	s_sendmsg sendmsg(MSG_INTERRUPT)
	s_mov_b32 m0, ttmp2
.LBB0_389:                              ; =>This Inner Loop Header: Depth=1
	s_sethalt 5
	s_branch .LBB0_389
.LBB0_390:
	s_trap 2
	s_sendmsg_rtn_b32 s0, sendmsg(MSG_RTN_GET_DOORBELL)
	s_mov_b32 ttmp2, m0
	s_waitcnt lgkmcnt(0)
	s_and_b32 s0, s0, 0x3ff
	s_delay_alu instid0(SALU_CYCLE_1) | instskip(NEXT) | instid1(SALU_CYCLE_1)
	s_bitset1_b32 s0, 10
	s_mov_b32 m0, s0
	s_sendmsg sendmsg(MSG_INTERRUPT)
	s_mov_b32 m0, ttmp2
.LBB0_391:                              ; =>This Inner Loop Header: Depth=1
	s_sethalt 5
	s_branch .LBB0_391
.LBB0_392:
	s_trap 2
	s_sendmsg_rtn_b32 s0, sendmsg(MSG_RTN_GET_DOORBELL)
	s_mov_b32 ttmp2, m0
	s_waitcnt lgkmcnt(0)
	s_and_b32 s0, s0, 0x3ff
	s_delay_alu instid0(SALU_CYCLE_1) | instskip(NEXT) | instid1(SALU_CYCLE_1)
	s_bitset1_b32 s0, 10
	s_mov_b32 m0, s0
	s_sendmsg sendmsg(MSG_INTERRUPT)
	s_mov_b32 m0, ttmp2
.LBB0_393:                              ; =>This Inner Loop Header: Depth=1
	s_sethalt 5
	s_branch .LBB0_393
.LBB0_394:
	s_trap 2
	s_sendmsg_rtn_b32 s0, sendmsg(MSG_RTN_GET_DOORBELL)
	s_mov_b32 ttmp2, m0
	s_waitcnt lgkmcnt(0)
	s_and_b32 s0, s0, 0x3ff
	s_delay_alu instid0(SALU_CYCLE_1) | instskip(NEXT) | instid1(SALU_CYCLE_1)
	s_bitset1_b32 s0, 10
	s_mov_b32 m0, s0
	s_sendmsg sendmsg(MSG_INTERRUPT)
	s_mov_b32 m0, ttmp2
.LBB0_395:                              ; =>This Inner Loop Header: Depth=1
	s_sethalt 5
	s_branch .LBB0_395
.LBB0_396:
	s_trap 2
	s_sendmsg_rtn_b32 s0, sendmsg(MSG_RTN_GET_DOORBELL)
	s_mov_b32 ttmp2, m0
	s_waitcnt lgkmcnt(0)
	s_and_b32 s0, s0, 0x3ff
	s_delay_alu instid0(SALU_CYCLE_1) | instskip(NEXT) | instid1(SALU_CYCLE_1)
	s_bitset1_b32 s0, 10
	s_mov_b32 m0, s0
	s_sendmsg sendmsg(MSG_INTERRUPT)
	s_mov_b32 m0, ttmp2
.LBB0_397:                              ; =>This Inner Loop Header: Depth=1
	s_sethalt 5
	s_branch .LBB0_397
.LBB0_398:
	s_trap 2
	s_sendmsg_rtn_b32 s0, sendmsg(MSG_RTN_GET_DOORBELL)
	s_mov_b32 ttmp2, m0
	s_waitcnt lgkmcnt(0)
	s_and_b32 s0, s0, 0x3ff
	s_delay_alu instid0(SALU_CYCLE_1) | instskip(NEXT) | instid1(SALU_CYCLE_1)
	s_bitset1_b32 s0, 10
	s_mov_b32 m0, s0
	s_sendmsg sendmsg(MSG_INTERRUPT)
	s_mov_b32 m0, ttmp2
.LBB0_399:                              ; =>This Inner Loop Header: Depth=1
	s_sethalt 5
	s_branch .LBB0_399
.LBB0_400:
	s_trap 2
	s_sendmsg_rtn_b32 s0, sendmsg(MSG_RTN_GET_DOORBELL)
	s_mov_b32 ttmp2, m0
	s_waitcnt lgkmcnt(0)
	s_and_b32 s0, s0, 0x3ff
	s_delay_alu instid0(SALU_CYCLE_1) | instskip(NEXT) | instid1(SALU_CYCLE_1)
	s_bitset1_b32 s0, 10
	s_mov_b32 m0, s0
	s_sendmsg sendmsg(MSG_INTERRUPT)
	s_mov_b32 m0, ttmp2
.LBB0_401:                              ; =>This Inner Loop Header: Depth=1
	s_sethalt 5
	s_branch .LBB0_401
.LBB0_402:                              ;   in Loop: Header=BB0_403 Depth=1
	s_or_b32 exec_lo, exec_lo, s10
	s_delay_alu instid0(SALU_CYCLE_1) | instskip(NEXT) | instid1(SALU_CYCLE_1)
	s_and_b32 s8, exec_lo, s9
	s_or_b32 s4, s8, s4
	s_and_not1_b32 s5, s5, exec_lo
	s_and_b32 s8, s6, exec_lo
	s_delay_alu instid0(SALU_CYCLE_1)
	s_or_b32 s5, s5, s8
	s_and_not1_b32 exec_lo, exec_lo, s4
	s_cbranch_execz .LBB0_461
.LBB0_403:                              ; =>This Inner Loop Header: Depth=1
	s_add_i32 s7, s7, 1
                                        ; implicit-def: $sgpr9
	s_delay_alu instid0(SALU_CYCLE_1) | instskip(SKIP_1) | instid1(SALU_CYCLE_1)
	s_cmpk_lg_i32 s7, 0x2710
	s_cselect_b32 s8, -1, 0
	s_and_b32 vcc_lo, exec_lo, s8
	s_cbranch_vccz .LBB0_407
.LBB0_404:                              ;   in Loop: Header=BB0_403 Depth=1
	s_and_not1_b32 s6, s6, exec_lo
	s_and_b32 s10, s9, exec_lo
	s_mov_b32 s9, -1
	s_or_b32 s6, s6, s10
	s_and_saveexec_b32 s10, s8
	s_cbranch_execz .LBB0_402
; %bb.405:                              ;   in Loop: Header=BB0_403 Depth=1
	s_sleep 1
	s_cbranch_execnz .LBB0_431
; %bb.406:                              ;   in Loop: Header=BB0_403 Depth=1
	ds_load_b64 v[2:3], v0
	s_and_not1_b32 s6, s6, exec_lo
	s_waitcnt lgkmcnt(0)
	v_cmp_ge_u64_e32 vcc_lo, v[2:3], v[0:1]
	s_or_not1_b32 s9, vcc_lo, exec_lo
	s_branch .LBB0_402
.LBB0_407:                              ;   in Loop: Header=BB0_403 Depth=1
	s_cbranch_execnz .LBB0_437
; %bb.408:                              ;   in Loop: Header=BB0_403 Depth=1
	ds_load_b64 v[2:3], v0
	s_and_not1_b32 s8, s8, exec_lo
	s_mov_b32 s7, 0
	s_mov_b32 s9, -1
	s_waitcnt lgkmcnt(0)
	flat_load_b32 v2, v[2:3] glc
	s_waitcnt vmcnt(0) lgkmcnt(0)
	buffer_gl1_inv
	buffer_gl0_inv
	v_cmp_eq_u32_e32 vcc_lo, 0, v2
	s_and_b32 s10, vcc_lo, exec_lo
	s_delay_alu instid0(SALU_CYCLE_1)
	s_or_b32 s8, s8, s10
	s_branch .LBB0_404
.LBB0_409:
	s_trap 2
	s_sendmsg_rtn_b32 s0, sendmsg(MSG_RTN_GET_DOORBELL)
	s_mov_b32 ttmp2, m0
	s_waitcnt lgkmcnt(0)
	s_and_b32 s0, s0, 0x3ff
	s_delay_alu instid0(SALU_CYCLE_1) | instskip(NEXT) | instid1(SALU_CYCLE_1)
	s_bitset1_b32 s0, 10
	s_mov_b32 m0, s0
	s_sendmsg sendmsg(MSG_INTERRUPT)
	s_mov_b32 m0, ttmp2
.LBB0_410:                              ; =>This Inner Loop Header: Depth=1
	s_sethalt 5
	s_branch .LBB0_410
.LBB0_411:
	s_trap 2
	s_sendmsg_rtn_b32 s0, sendmsg(MSG_RTN_GET_DOORBELL)
	s_mov_b32 ttmp2, m0
	s_waitcnt lgkmcnt(0)
	s_and_b32 s0, s0, 0x3ff
	s_delay_alu instid0(SALU_CYCLE_1) | instskip(NEXT) | instid1(SALU_CYCLE_1)
	s_bitset1_b32 s0, 10
	s_mov_b32 m0, s0
	s_sendmsg sendmsg(MSG_INTERRUPT)
	s_mov_b32 m0, ttmp2
.LBB0_412:                              ; =>This Inner Loop Header: Depth=1
	s_sethalt 5
	s_branch .LBB0_412
.LBB0_413:
	s_trap 2
	s_sendmsg_rtn_b32 s0, sendmsg(MSG_RTN_GET_DOORBELL)
	s_mov_b32 ttmp2, m0
	s_waitcnt lgkmcnt(0)
	s_and_b32 s0, s0, 0x3ff
	s_delay_alu instid0(SALU_CYCLE_1) | instskip(NEXT) | instid1(SALU_CYCLE_1)
	s_bitset1_b32 s0, 10
	s_mov_b32 m0, s0
	s_sendmsg sendmsg(MSG_INTERRUPT)
	s_mov_b32 m0, ttmp2
.LBB0_414:                              ; =>This Inner Loop Header: Depth=1
	s_sethalt 5
	s_branch .LBB0_414
.LBB0_415:
	s_trap 2
	s_sendmsg_rtn_b32 s0, sendmsg(MSG_RTN_GET_DOORBELL)
	s_mov_b32 ttmp2, m0
	s_waitcnt lgkmcnt(0)
	s_and_b32 s0, s0, 0x3ff
	s_delay_alu instid0(SALU_CYCLE_1) | instskip(NEXT) | instid1(SALU_CYCLE_1)
	s_bitset1_b32 s0, 10
	s_mov_b32 m0, s0
	s_sendmsg sendmsg(MSG_INTERRUPT)
	s_mov_b32 m0, ttmp2
.LBB0_416:                              ; =>This Inner Loop Header: Depth=1
	s_sethalt 5
	s_branch .LBB0_416
.LBB0_417:
	s_trap 2
	s_sendmsg_rtn_b32 s0, sendmsg(MSG_RTN_GET_DOORBELL)
	s_mov_b32 ttmp2, m0
	s_waitcnt lgkmcnt(0)
	s_and_b32 s0, s0, 0x3ff
	s_delay_alu instid0(SALU_CYCLE_1) | instskip(NEXT) | instid1(SALU_CYCLE_1)
	s_bitset1_b32 s0, 10
	s_mov_b32 m0, s0
	s_sendmsg sendmsg(MSG_INTERRUPT)
	s_mov_b32 m0, ttmp2
.LBB0_418:                              ; =>This Inner Loop Header: Depth=1
	s_sethalt 5
	s_branch .LBB0_418
.LBB0_419:
	s_trap 2
	s_sendmsg_rtn_b32 s0, sendmsg(MSG_RTN_GET_DOORBELL)
	s_mov_b32 ttmp2, m0
	s_waitcnt lgkmcnt(0)
	s_and_b32 s0, s0, 0x3ff
	s_delay_alu instid0(SALU_CYCLE_1) | instskip(NEXT) | instid1(SALU_CYCLE_1)
	s_bitset1_b32 s0, 10
	s_mov_b32 m0, s0
	s_sendmsg sendmsg(MSG_INTERRUPT)
	s_mov_b32 m0, ttmp2
.LBB0_420:                              ; =>This Inner Loop Header: Depth=1
	s_sethalt 5
	s_branch .LBB0_420
.LBB0_421:
	s_trap 2
	s_sendmsg_rtn_b32 s0, sendmsg(MSG_RTN_GET_DOORBELL)
	s_mov_b32 ttmp2, m0
	s_waitcnt lgkmcnt(0)
	s_and_b32 s0, s0, 0x3ff
	s_delay_alu instid0(SALU_CYCLE_1) | instskip(NEXT) | instid1(SALU_CYCLE_1)
	s_bitset1_b32 s0, 10
	s_mov_b32 m0, s0
	s_sendmsg sendmsg(MSG_INTERRUPT)
	s_mov_b32 m0, ttmp2
.LBB0_422:                              ; =>This Inner Loop Header: Depth=1
	s_sethalt 5
	s_branch .LBB0_422
.LBB0_423:
	s_trap 2
	s_sendmsg_rtn_b32 s0, sendmsg(MSG_RTN_GET_DOORBELL)
	s_mov_b32 ttmp2, m0
	s_waitcnt lgkmcnt(0)
	s_and_b32 s0, s0, 0x3ff
	s_delay_alu instid0(SALU_CYCLE_1) | instskip(NEXT) | instid1(SALU_CYCLE_1)
	s_bitset1_b32 s0, 10
	s_mov_b32 m0, s0
	s_sendmsg sendmsg(MSG_INTERRUPT)
	s_mov_b32 m0, ttmp2
.LBB0_424:                              ; =>This Inner Loop Header: Depth=1
	s_sethalt 5
	s_branch .LBB0_424
.LBB0_425:
	s_trap 2
	s_sendmsg_rtn_b32 s0, sendmsg(MSG_RTN_GET_DOORBELL)
	s_mov_b32 ttmp2, m0
	s_waitcnt lgkmcnt(0)
	s_and_b32 s0, s0, 0x3ff
	s_delay_alu instid0(SALU_CYCLE_1) | instskip(NEXT) | instid1(SALU_CYCLE_1)
	s_bitset1_b32 s0, 10
	s_mov_b32 m0, s0
	s_sendmsg sendmsg(MSG_INTERRUPT)
	s_mov_b32 m0, ttmp2
.LBB0_426:                              ; =>This Inner Loop Header: Depth=1
	s_sethalt 5
	s_branch .LBB0_426
.LBB0_427:
	s_trap 2
	s_sendmsg_rtn_b32 s0, sendmsg(MSG_RTN_GET_DOORBELL)
	s_mov_b32 ttmp2, m0
	s_waitcnt lgkmcnt(0)
	s_and_b32 s0, s0, 0x3ff
	s_delay_alu instid0(SALU_CYCLE_1) | instskip(NEXT) | instid1(SALU_CYCLE_1)
	s_bitset1_b32 s0, 10
	s_mov_b32 m0, s0
	s_sendmsg sendmsg(MSG_INTERRUPT)
	s_mov_b32 m0, ttmp2
.LBB0_428:                              ; =>This Inner Loop Header: Depth=1
	s_sethalt 5
	s_branch .LBB0_428
.LBB0_429:
	s_trap 2
	s_sendmsg_rtn_b32 s0, sendmsg(MSG_RTN_GET_DOORBELL)
	s_mov_b32 ttmp2, m0
	s_waitcnt lgkmcnt(0)
	s_and_b32 s0, s0, 0x3ff
	s_delay_alu instid0(SALU_CYCLE_1) | instskip(NEXT) | instid1(SALU_CYCLE_1)
	s_bitset1_b32 s0, 10
	s_mov_b32 m0, s0
	s_sendmsg sendmsg(MSG_INTERRUPT)
	s_mov_b32 m0, ttmp2
.LBB0_430:                              ; =>This Inner Loop Header: Depth=1
	s_sethalt 5
	s_branch .LBB0_430
.LBB0_431:
	s_trap 2
	s_sendmsg_rtn_b32 s0, sendmsg(MSG_RTN_GET_DOORBELL)
	s_mov_b32 ttmp2, m0
	s_waitcnt lgkmcnt(0)
	s_and_b32 s0, s0, 0x3ff
	s_delay_alu instid0(SALU_CYCLE_1) | instskip(NEXT) | instid1(SALU_CYCLE_1)
	s_bitset1_b32 s0, 10
	s_mov_b32 m0, s0
	s_sendmsg sendmsg(MSG_INTERRUPT)
	s_mov_b32 m0, ttmp2
.LBB0_432:                              ; =>This Inner Loop Header: Depth=1
	s_sethalt 5
	s_branch .LBB0_432
.LBB0_433:
	s_trap 2
	s_sendmsg_rtn_b32 s0, sendmsg(MSG_RTN_GET_DOORBELL)
	s_mov_b32 ttmp2, m0
	s_waitcnt lgkmcnt(0)
	s_and_b32 s0, s0, 0x3ff
	s_delay_alu instid0(SALU_CYCLE_1) | instskip(NEXT) | instid1(SALU_CYCLE_1)
	s_bitset1_b32 s0, 10
	s_mov_b32 m0, s0
	s_sendmsg sendmsg(MSG_INTERRUPT)
	s_mov_b32 m0, ttmp2
.LBB0_434:                              ; =>This Inner Loop Header: Depth=1
	s_sethalt 5
	s_branch .LBB0_434
.LBB0_435:
	s_trap 2
	s_sendmsg_rtn_b32 s0, sendmsg(MSG_RTN_GET_DOORBELL)
	s_mov_b32 ttmp2, m0
	s_waitcnt lgkmcnt(0)
	s_and_b32 s0, s0, 0x3ff
	s_delay_alu instid0(SALU_CYCLE_1) | instskip(NEXT) | instid1(SALU_CYCLE_1)
	s_bitset1_b32 s0, 10
	s_mov_b32 m0, s0
	s_sendmsg sendmsg(MSG_INTERRUPT)
	s_mov_b32 m0, ttmp2
.LBB0_436:                              ; =>This Inner Loop Header: Depth=1
	s_sethalt 5
	s_branch .LBB0_436
.LBB0_437:
	s_trap 2
	s_sendmsg_rtn_b32 s0, sendmsg(MSG_RTN_GET_DOORBELL)
	s_mov_b32 ttmp2, m0
	s_waitcnt lgkmcnt(0)
	s_and_b32 s0, s0, 0x3ff
	s_delay_alu instid0(SALU_CYCLE_1) | instskip(NEXT) | instid1(SALU_CYCLE_1)
	s_bitset1_b32 s0, 10
	s_mov_b32 m0, s0
	s_sendmsg sendmsg(MSG_INTERRUPT)
	s_mov_b32 m0, ttmp2
.LBB0_438:                              ; =>This Inner Loop Header: Depth=1
	s_sethalt 5
	s_branch .LBB0_438
.LBB0_439:
	s_trap 2
	s_sendmsg_rtn_b32 s0, sendmsg(MSG_RTN_GET_DOORBELL)
	s_mov_b32 ttmp2, m0
	s_waitcnt lgkmcnt(0)
	s_and_b32 s0, s0, 0x3ff
	s_delay_alu instid0(SALU_CYCLE_1) | instskip(NEXT) | instid1(SALU_CYCLE_1)
	s_bitset1_b32 s0, 10
	s_mov_b32 m0, s0
	s_sendmsg sendmsg(MSG_INTERRUPT)
	s_mov_b32 m0, ttmp2
.LBB0_440:                              ; =>This Inner Loop Header: Depth=1
	s_sethalt 5
	s_branch .LBB0_440
.LBB0_441:
	s_trap 2
	s_sendmsg_rtn_b32 s0, sendmsg(MSG_RTN_GET_DOORBELL)
	s_mov_b32 ttmp2, m0
	s_waitcnt lgkmcnt(0)
	s_and_b32 s0, s0, 0x3ff
	s_delay_alu instid0(SALU_CYCLE_1) | instskip(NEXT) | instid1(SALU_CYCLE_1)
	s_bitset1_b32 s0, 10
	s_mov_b32 m0, s0
	s_sendmsg sendmsg(MSG_INTERRUPT)
	s_mov_b32 m0, ttmp2
.LBB0_442:                              ; =>This Inner Loop Header: Depth=1
	s_sethalt 5
	s_branch .LBB0_442
.LBB0_443:
	s_trap 2
	s_sendmsg_rtn_b32 s0, sendmsg(MSG_RTN_GET_DOORBELL)
	s_mov_b32 ttmp2, m0
	s_waitcnt lgkmcnt(0)
	s_and_b32 s0, s0, 0x3ff
	s_delay_alu instid0(SALU_CYCLE_1) | instskip(NEXT) | instid1(SALU_CYCLE_1)
	s_bitset1_b32 s0, 10
	s_mov_b32 m0, s0
	s_sendmsg sendmsg(MSG_INTERRUPT)
	s_mov_b32 m0, ttmp2
.LBB0_444:                              ; =>This Inner Loop Header: Depth=1
	s_sethalt 5
	s_branch .LBB0_444
.LBB0_445:
	s_trap 2
	s_sendmsg_rtn_b32 s0, sendmsg(MSG_RTN_GET_DOORBELL)
	s_mov_b32 ttmp2, m0
	s_waitcnt lgkmcnt(0)
	s_and_b32 s0, s0, 0x3ff
	s_delay_alu instid0(SALU_CYCLE_1) | instskip(NEXT) | instid1(SALU_CYCLE_1)
	s_bitset1_b32 s0, 10
	s_mov_b32 m0, s0
	s_sendmsg sendmsg(MSG_INTERRUPT)
	s_mov_b32 m0, ttmp2
.LBB0_446:                              ; =>This Inner Loop Header: Depth=1
	s_sethalt 5
	s_branch .LBB0_446
.LBB0_447:
	s_trap 2
	s_sendmsg_rtn_b32 s0, sendmsg(MSG_RTN_GET_DOORBELL)
	s_mov_b32 ttmp2, m0
	s_waitcnt lgkmcnt(0)
	s_and_b32 s0, s0, 0x3ff
	s_delay_alu instid0(SALU_CYCLE_1) | instskip(NEXT) | instid1(SALU_CYCLE_1)
	s_bitset1_b32 s0, 10
	s_mov_b32 m0, s0
	s_sendmsg sendmsg(MSG_INTERRUPT)
	s_mov_b32 m0, ttmp2
.LBB0_448:                              ; =>This Inner Loop Header: Depth=1
	s_sethalt 5
	s_branch .LBB0_448
.LBB0_449:
	s_trap 2
	s_sendmsg_rtn_b32 s0, sendmsg(MSG_RTN_GET_DOORBELL)
	s_mov_b32 ttmp2, m0
	s_waitcnt lgkmcnt(0)
	s_and_b32 s0, s0, 0x3ff
	s_delay_alu instid0(SALU_CYCLE_1) | instskip(NEXT) | instid1(SALU_CYCLE_1)
	s_bitset1_b32 s0, 10
	s_mov_b32 m0, s0
	s_sendmsg sendmsg(MSG_INTERRUPT)
	s_mov_b32 m0, ttmp2
.LBB0_450:                              ; =>This Inner Loop Header: Depth=1
	s_sethalt 5
	s_branch .LBB0_450
.LBB0_451:
	s_trap 2
	s_sendmsg_rtn_b32 s0, sendmsg(MSG_RTN_GET_DOORBELL)
	s_mov_b32 ttmp2, m0
	s_waitcnt lgkmcnt(0)
	s_and_b32 s0, s0, 0x3ff
	s_delay_alu instid0(SALU_CYCLE_1) | instskip(NEXT) | instid1(SALU_CYCLE_1)
	s_bitset1_b32 s0, 10
	s_mov_b32 m0, s0
	s_sendmsg sendmsg(MSG_INTERRUPT)
	s_mov_b32 m0, ttmp2
.LBB0_452:                              ; =>This Inner Loop Header: Depth=1
	s_sethalt 5
	s_branch .LBB0_452
.LBB0_453:
	s_trap 2
	s_sendmsg_rtn_b32 s0, sendmsg(MSG_RTN_GET_DOORBELL)
	s_mov_b32 ttmp2, m0
	s_waitcnt lgkmcnt(0)
	s_and_b32 s0, s0, 0x3ff
	s_delay_alu instid0(SALU_CYCLE_1) | instskip(NEXT) | instid1(SALU_CYCLE_1)
	s_bitset1_b32 s0, 10
	s_mov_b32 m0, s0
	s_sendmsg sendmsg(MSG_INTERRUPT)
	s_mov_b32 m0, ttmp2
.LBB0_454:                              ; =>This Inner Loop Header: Depth=1
	s_sethalt 5
	s_branch .LBB0_454
.LBB0_455:
	s_trap 2
	s_sendmsg_rtn_b32 s0, sendmsg(MSG_RTN_GET_DOORBELL)
	s_mov_b32 ttmp2, m0
	s_waitcnt lgkmcnt(0)
	s_and_b32 s0, s0, 0x3ff
	s_delay_alu instid0(SALU_CYCLE_1) | instskip(NEXT) | instid1(SALU_CYCLE_1)
	s_bitset1_b32 s0, 10
	s_mov_b32 m0, s0
	s_sendmsg sendmsg(MSG_INTERRUPT)
	s_mov_b32 m0, ttmp2
.LBB0_456:                              ; =>This Inner Loop Header: Depth=1
	s_sethalt 5
	s_branch .LBB0_456
.LBB0_457:
	s_trap 2
	s_sendmsg_rtn_b32 s0, sendmsg(MSG_RTN_GET_DOORBELL)
	s_mov_b32 ttmp2, m0
	s_waitcnt lgkmcnt(0)
	s_and_b32 s0, s0, 0x3ff
	s_delay_alu instid0(SALU_CYCLE_1) | instskip(NEXT) | instid1(SALU_CYCLE_1)
	s_bitset1_b32 s0, 10
	s_mov_b32 m0, s0
	s_sendmsg sendmsg(MSG_INTERRUPT)
	s_mov_b32 m0, ttmp2
.LBB0_458:                              ; =>This Inner Loop Header: Depth=1
	s_sethalt 5
	s_branch .LBB0_458
.LBB0_459:
	s_trap 2
	s_sendmsg_rtn_b32 s0, sendmsg(MSG_RTN_GET_DOORBELL)
	s_mov_b32 ttmp2, m0
	s_waitcnt lgkmcnt(0)
	s_and_b32 s0, s0, 0x3ff
	s_delay_alu instid0(SALU_CYCLE_1) | instskip(NEXT) | instid1(SALU_CYCLE_1)
	s_bitset1_b32 s0, 10
	s_mov_b32 m0, s0
	s_sendmsg sendmsg(MSG_INTERRUPT)
	s_mov_b32 m0, ttmp2
.LBB0_460:                              ; =>This Inner Loop Header: Depth=1
	s_sethalt 5
	s_branch .LBB0_460
.LBB0_461:
	s_or_b32 exec_lo, exec_lo, s4
	s_and_saveexec_b32 s4, s5
	s_delay_alu instid0(SALU_CYCLE_1)
	s_xor_b32 s4, exec_lo, s4
	s_cbranch_execz .LBB0_463
; %bb.462:
	v_mov_b32_e32 v0, 1
	ds_store_b32 v0, v0
	s_cbranch_execnz .LBB0_469
.LBB0_463:
	s_or_b32 exec_lo, exec_lo, s3
	;;#ASMSTART
	s_wakeup
	;;#ASMEND
.LBB0_464:
	s_or_b32 exec_lo, exec_lo, s2
.LBB0_465:
	s_and_not1_saveexec_b32 s1, s1
	s_cbranch_execz .LBB0_467
; %bb.466:
	s_waitcnt vmcnt(0) lgkmcnt(0)
	s_waitcnt_vscnt null, 0x0
	buffer_gl1_inv
	buffer_gl0_inv
	s_barrier
.LBB0_467:
	s_or_b32 exec_lo, exec_lo, s0
.LBB0_468:
	s_delay_alu instid0(SALU_CYCLE_1)
	s_or_b32 exec_lo, exec_lo, s11
	s_waitcnt vmcnt(0) lgkmcnt(0)
	s_setpc_b64 s[30:31]
.LBB0_469:
	s_trap 2
	s_sendmsg_rtn_b32 s0, sendmsg(MSG_RTN_GET_DOORBELL)
	s_mov_b32 ttmp2, m0
	s_waitcnt lgkmcnt(0)
	s_and_b32 s0, s0, 0x3ff
	s_delay_alu instid0(SALU_CYCLE_1) | instskip(NEXT) | instid1(SALU_CYCLE_1)
	s_bitset1_b32 s0, 10
	s_mov_b32 m0, s0
	s_sendmsg sendmsg(MSG_INTERRUPT)
	s_mov_b32 m0, ttmp2
.LBB0_470:                              ; =>This Inner Loop Header: Depth=1
	s_sethalt 5
	s_branch .LBB0_470
.LBB0_471:
	s_trap 2
	s_sendmsg_rtn_b32 s0, sendmsg(MSG_RTN_GET_DOORBELL)
	s_mov_b32 ttmp2, m0
	s_waitcnt lgkmcnt(0)
	s_and_b32 s0, s0, 0x3ff
	s_delay_alu instid0(SALU_CYCLE_1) | instskip(NEXT) | instid1(SALU_CYCLE_1)
	s_bitset1_b32 s0, 10
	s_mov_b32 m0, s0
	s_sendmsg sendmsg(MSG_INTERRUPT)
	s_mov_b32 m0, ttmp2
.LBB0_472:                              ; =>This Inner Loop Header: Depth=1
	s_sethalt 5
	s_branch .LBB0_472
.LBB0_473:
	s_trap 2
	s_sendmsg_rtn_b32 s0, sendmsg(MSG_RTN_GET_DOORBELL)
	s_mov_b32 ttmp2, m0
	s_waitcnt lgkmcnt(0)
	s_and_b32 s0, s0, 0x3ff
	s_delay_alu instid0(SALU_CYCLE_1) | instskip(NEXT) | instid1(SALU_CYCLE_1)
	s_bitset1_b32 s0, 10
	s_mov_b32 m0, s0
	s_sendmsg sendmsg(MSG_INTERRUPT)
	s_mov_b32 m0, ttmp2
.LBB0_474:                              ; =>This Inner Loop Header: Depth=1
	s_sethalt 5
	s_branch .LBB0_474
.LBB0_475:
	s_trap 2
	s_sendmsg_rtn_b32 s0, sendmsg(MSG_RTN_GET_DOORBELL)
	s_mov_b32 ttmp2, m0
	s_waitcnt lgkmcnt(0)
	s_and_b32 s0, s0, 0x3ff
	s_delay_alu instid0(SALU_CYCLE_1) | instskip(NEXT) | instid1(SALU_CYCLE_1)
	s_bitset1_b32 s0, 10
	s_mov_b32 m0, s0
	s_sendmsg sendmsg(MSG_INTERRUPT)
	s_mov_b32 m0, ttmp2
.LBB0_476:                              ; =>This Inner Loop Header: Depth=1
	s_sethalt 5
	s_branch .LBB0_476
.LBB0_477:
	s_trap 2
	s_sendmsg_rtn_b32 s0, sendmsg(MSG_RTN_GET_DOORBELL)
	s_mov_b32 ttmp2, m0
	s_waitcnt lgkmcnt(0)
	s_and_b32 s0, s0, 0x3ff
	s_delay_alu instid0(SALU_CYCLE_1) | instskip(NEXT) | instid1(SALU_CYCLE_1)
	s_bitset1_b32 s0, 10
	s_mov_b32 m0, s0
	s_sendmsg sendmsg(MSG_INTERRUPT)
	s_mov_b32 m0, ttmp2
.LBB0_478:                              ; =>This Inner Loop Header: Depth=1
	s_sethalt 5
	s_branch .LBB0_478
.LBB0_479:
	s_trap 2
	s_sendmsg_rtn_b32 s0, sendmsg(MSG_RTN_GET_DOORBELL)
	s_mov_b32 ttmp2, m0
	s_waitcnt lgkmcnt(0)
	s_and_b32 s0, s0, 0x3ff
	s_delay_alu instid0(SALU_CYCLE_1) | instskip(NEXT) | instid1(SALU_CYCLE_1)
	s_bitset1_b32 s0, 10
	s_mov_b32 m0, s0
	s_sendmsg sendmsg(MSG_INTERRUPT)
	s_mov_b32 m0, ttmp2
.LBB0_480:                              ; =>This Inner Loop Header: Depth=1
	s_sethalt 5
	s_branch .LBB0_480
.Lfunc_end0:
	.size	_ZN12_GLOBAL__N_17runRingIa7FuncSumIaE7ProtoLLLi0ELi1ELi0ELb0EEEviiP15ncclDevWorkColl, .Lfunc_end0-_ZN12_GLOBAL__N_17runRingIa7FuncSumIaE7ProtoLLLi0ELi1ELi0ELb0EEEviiP15ncclDevWorkColl
                                        ; -- End function
	.section	.AMDGPU.csdata,"",@progbits
; Function info:
; codeLenInByte = 13728
; NumSgprs: 34
; NumVgprs: 165
; ScratchSize: 0
; MemoryBound: 0
	.text
	.p2align	2                               ; -- Begin function _Z42ncclDevFunc_AllGather_RING_LL_Sum_i8_0_0_1v
	.type	_Z42ncclDevFunc_AllGather_RING_LL_Sum_i8_0_0_1v,@function
_Z42ncclDevFunc_AllGather_RING_LL_Sum_i8_0_0_1v: ; @_Z42ncclDevFunc_AllGather_RING_LL_Sum_i8_0_0_1v
; %bb.0:
	s_waitcnt vmcnt(0) expcnt(0) lgkmcnt(0)
	s_mov_b32 s0, s33
	s_mov_b32 s33, s32
	s_or_saveexec_b32 s1, -1
	scratch_store_b32 off, v40, s33         ; 4-byte Folded Spill
	s_mov_b32 exec_lo, s1
	v_writelane_b32 v40, s0, 6
	s_add_i32 s32, s32, 16
	v_writelane_b32 v40, s34, 0
	v_writelane_b32 v40, s35, 1
	v_writelane_b32 v40, s36, 2
	v_writelane_b32 v40, s37, 3
	v_writelane_b32 v40, s30, 4
	v_writelane_b32 v40, s31, 5
	s_cbranch_execnz .LBB1_13
; %bb.1:
	ds_load_b32 v0, v0
	s_waitcnt lgkmcnt(0)
	v_cmp_gt_i32_e32 vcc_lo, 1, v0
	s_cbranch_vccnz .LBB1_12
; %bb.2:
	v_and_b32_e32 v165, 0x3ff, v31
	s_mov_b32 s36, 0
	s_mov_b64 s[34:35], src_shared_base
.LBB1_3:                                ; =>This Inner Loop Header: Depth=1
	s_cbranch_execnz .LBB1_15
; %bb.4:                                ;   in Loop: Header=BB1_3 Depth=1
	ds_load_b32 v0, v0
	s_cmp_eq_u32 s36, 0
	s_cbranch_scc1 .LBB1_8
; %bb.5:                                ;   in Loop: Header=BB1_3 Depth=1
	s_cbranch_execnz .LBB1_19
; %bb.6:                                ;   in Loop: Header=BB1_3 Depth=1
	s_waitcnt lgkmcnt(0)
	ds_load_b32 v1, v0
	s_waitcnt lgkmcnt(0)
	v_xor_b32_e32 v1, v1, v0
	s_delay_alu instid0(VALU_DEP_1) | instskip(NEXT) | instid1(VALU_DEP_1)
	v_and_b32_e32 v1, 0xff0000, v1
	v_cmp_eq_u32_e32 vcc_lo, 0, v1
	s_cbranch_vccnz .LBB1_8
; %bb.7:                                ;   in Loop: Header=BB1_3 Depth=1
	s_waitcnt_vscnt null, 0x0
	s_barrier
	buffer_gl0_inv
	ds_load_b32 v0, v0
.LBB1_8:                                ;   in Loop: Header=BB1_3 Depth=1
	s_waitcnt lgkmcnt(0)
	v_lshrrev_b32_e32 v0, 11, v0
	s_mov_b32 s37, exec_lo
	s_delay_alu instid0(VALU_DEP_1) | instskip(NEXT) | instid1(VALU_DEP_1)
	v_and_b32_e32 v1, 0x1fe0, v0
	v_cmpx_lt_u32_e64 v165, v1
	s_cbranch_execz .LBB1_10
; %bb.9:                                ;   in Loop: Header=BB1_3 Depth=1
	v_dual_mov_b32 v166, v31 :: v_dual_mov_b32 v3, s35
	v_mov_b32_e32 v0, v165
	s_getpc_b64 s[0:1]
	s_add_u32 s0, s0, _ZN12_GLOBAL__N_17runRingIa7FuncSumIaE7ProtoLLLi0ELi1ELi0ELb0EEEviiP15ncclDevWorkColl@rel32@lo+4
	s_addc_u32 s1, s1, _ZN12_GLOBAL__N_17runRingIa7FuncSumIaE7ProtoLLLi0ELi1ELi0ELb0EEEviiP15ncclDevWorkColl@rel32@hi+12
	s_mov_b64 s[28:29], s[8:9]
	s_mov_b32 s34, s12
	s_swappc_b64 s[30:31], s[0:1]
	v_mov_b32_e32 v31, v166
	s_mov_b32 s12, s34
	s_mov_b64 s[8:9], s[28:29]
.LBB1_10:                               ;   in Loop: Header=BB1_3 Depth=1
	s_or_b32 exec_lo, exec_lo, s37
	s_cbranch_execnz .LBB1_17
; %bb.11:                               ;   in Loop: Header=BB1_3 Depth=1
	ds_load_b32 v0, v0
	s_add_i32 s36, s36, 1
	s_waitcnt lgkmcnt(0)
	v_cmp_lt_i32_e32 vcc_lo, s36, v0
	s_cbranch_vccnz .LBB1_3
.LBB1_12:
	v_readlane_b32 s30, v40, 4
	v_readlane_b32 s31, v40, 5
	;; [unrolled: 1-line block ×7, first 2 shown]
	s_or_saveexec_b32 s1, -1
	scratch_load_b32 v40, off, s33          ; 4-byte Folded Reload
	s_mov_b32 exec_lo, s1
	s_add_i32 s32, s32, -16
	s_mov_b32 s33, s0
	s_waitcnt vmcnt(0)
	s_setpc_b64 s[30:31]
.LBB1_13:
	s_trap 2
	s_sendmsg_rtn_b32 s0, sendmsg(MSG_RTN_GET_DOORBELL)
	s_mov_b32 ttmp2, m0
	s_waitcnt lgkmcnt(0)
	s_and_b32 s0, s0, 0x3ff
	s_delay_alu instid0(SALU_CYCLE_1) | instskip(NEXT) | instid1(SALU_CYCLE_1)
	s_bitset1_b32 s0, 10
	s_mov_b32 m0, s0
	s_sendmsg sendmsg(MSG_INTERRUPT)
	s_mov_b32 m0, ttmp2
.LBB1_14:                               ; =>This Inner Loop Header: Depth=1
	s_sethalt 5
	s_branch .LBB1_14
.LBB1_15:
	s_trap 2
	s_sendmsg_rtn_b32 s0, sendmsg(MSG_RTN_GET_DOORBELL)
	s_mov_b32 ttmp2, m0
	s_waitcnt lgkmcnt(0)
	s_and_b32 s0, s0, 0x3ff
	s_delay_alu instid0(SALU_CYCLE_1) | instskip(NEXT) | instid1(SALU_CYCLE_1)
	s_bitset1_b32 s0, 10
	s_mov_b32 m0, s0
	s_sendmsg sendmsg(MSG_INTERRUPT)
	s_mov_b32 m0, ttmp2
.LBB1_16:                               ; =>This Inner Loop Header: Depth=1
	s_sethalt 5
	s_branch .LBB1_16
.LBB1_17:
	s_trap 2
	s_sendmsg_rtn_b32 s0, sendmsg(MSG_RTN_GET_DOORBELL)
	s_mov_b32 ttmp2, m0
	s_waitcnt lgkmcnt(0)
	s_and_b32 s0, s0, 0x3ff
	s_delay_alu instid0(SALU_CYCLE_1) | instskip(NEXT) | instid1(SALU_CYCLE_1)
	s_bitset1_b32 s0, 10
	s_mov_b32 m0, s0
	s_sendmsg sendmsg(MSG_INTERRUPT)
	s_mov_b32 m0, ttmp2
.LBB1_18:                               ; =>This Inner Loop Header: Depth=1
	s_sethalt 5
	s_branch .LBB1_18
.LBB1_19:
	s_trap 2
	s_sendmsg_rtn_b32 s0, sendmsg(MSG_RTN_GET_DOORBELL)
	s_mov_b32 ttmp2, m0
	s_waitcnt lgkmcnt(0)
	s_and_b32 s0, s0, 0x3ff
	s_delay_alu instid0(SALU_CYCLE_1) | instskip(NEXT) | instid1(SALU_CYCLE_1)
	s_bitset1_b32 s0, 10
	s_mov_b32 m0, s0
	s_sendmsg sendmsg(MSG_INTERRUPT)
	s_mov_b32 m0, ttmp2
.LBB1_20:                               ; =>This Inner Loop Header: Depth=1
	s_sethalt 5
	s_branch .LBB1_20
.Lfunc_end1:
	.size	_Z42ncclDevFunc_AllGather_RING_LL_Sum_i8_0_0_1v, .Lfunc_end1-_Z42ncclDevFunc_AllGather_RING_LL_Sum_i8_0_0_1v
                                        ; -- End function
	.section	.AMDGPU.csdata,"",@progbits
; Function info:
; codeLenInByte = 636
; NumSgprs: 40
; NumVgprs: 167
; ScratchSize: 16
; MemoryBound: 0
	.text
	.p2align	2                               ; -- Begin function __ockl_fprintf_append_string_n
	.type	__ockl_fprintf_append_string_n,@function
__ockl_fprintf_append_string_n:         ; @__ockl_fprintf_append_string_n
; %bb.0:
	s_waitcnt vmcnt(0) expcnt(0) lgkmcnt(0)
	v_dual_mov_b32 v8, v3 :: v_dual_mov_b32 v7, v2
	v_or_b32_e32 v2, 2, v0
	v_cmp_eq_u32_e32 vcc_lo, 0, v6
	v_mbcnt_lo_u32_b32 v33, -1, 0
	s_mov_b32 s11, 0
	s_mov_b32 s0, exec_lo
	v_cndmask_b32_e32 v0, v2, v0, vcc_lo
	v_cmpx_ne_u64_e32 0, v[7:8]
	s_xor_b32 s10, exec_lo, s0
	s_cbranch_execz .LBB2_86
; %bb.1:
	s_load_b64 s[2:3], s[8:9], 0x50
	v_dual_mov_b32 v11, 2 :: v_dual_and_b32 v6, 2, v0
	v_mov_b32_e32 v10, 0
	v_and_b32_e32 v0, -3, v0
	v_mov_b32_e32 v12, 1
	s_mov_b32 s12, 0
	s_branch .LBB2_3
.LBB2_2:                                ;   in Loop: Header=BB2_3 Depth=1
	s_or_b32 exec_lo, exec_lo, s1
	v_sub_co_u32 v4, vcc_lo, v4, v29
	v_sub_co_ci_u32_e32 v5, vcc_lo, v5, v30, vcc_lo
	v_add_co_u32 v7, s0, v7, v29
	s_delay_alu instid0(VALU_DEP_1) | instskip(NEXT) | instid1(VALU_DEP_3)
	v_add_co_ci_u32_e64 v8, s0, v8, v30, s0
	v_cmp_eq_u64_e32 vcc_lo, 0, v[4:5]
	s_or_b32 s12, vcc_lo, s12
	s_delay_alu instid0(SALU_CYCLE_1)
	s_and_not1_b32 exec_lo, exec_lo, s12
	s_cbranch_execz .LBB2_85
.LBB2_3:                                ; =>This Loop Header: Depth=1
                                        ;     Child Loop BB2_6 Depth 2
                                        ;     Child Loop BB2_14 Depth 2
	;; [unrolled: 1-line block ×11, first 2 shown]
	v_cmp_gt_u64_e32 vcc_lo, 56, v[4:5]
	s_mov_b32 s1, exec_lo
                                        ; implicit-def: $vgpr2_vgpr3
                                        ; implicit-def: $sgpr4
	v_dual_cndmask_b32 v30, 0, v5 :: v_dual_cndmask_b32 v29, 56, v4
	v_cmpx_gt_u64_e32 8, v[4:5]
	s_xor_b32 s1, exec_lo, s1
	s_cbranch_execz .LBB2_9
; %bb.4:                                ;   in Loop: Header=BB2_3 Depth=1
	s_waitcnt vmcnt(0)
	v_mov_b32_e32 v2, 0
	v_mov_b32_e32 v3, 0
	s_mov_b64 s[4:5], 0
	s_mov_b32 s6, exec_lo
	v_cmpx_ne_u64_e32 0, v[4:5]
	s_cbranch_execz .LBB2_8
; %bb.5:                                ;   in Loop: Header=BB2_3 Depth=1
	v_lshlrev_b64 v[13:14], 3, v[29:30]
	v_dual_mov_b32 v2, 0 :: v_dual_mov_b32 v15, v8
	v_dual_mov_b32 v3, 0 :: v_dual_mov_b32 v14, v7
	s_mov_b32 s7, 0
	.p2align	6
.LBB2_6:                                ;   Parent Loop BB2_3 Depth=1
                                        ; =>  This Inner Loop Header: Depth=2
	flat_load_u8 v9, v[14:15]
	v_mov_b32_e32 v17, s11
	v_add_co_u32 v14, vcc_lo, v14, 1
	v_add_co_ci_u32_e32 v15, vcc_lo, 0, v15, vcc_lo
	s_waitcnt vmcnt(0) lgkmcnt(0)
	v_and_b32_e32 v16, 0xffff, v9
	s_delay_alu instid0(VALU_DEP_1) | instskip(SKIP_3) | instid1(VALU_DEP_2)
	v_lshlrev_b64 v[16:17], s4, v[16:17]
	s_add_u32 s4, s4, 8
	s_addc_u32 s5, s5, 0
	v_cmp_eq_u32_e64 s0, s4, v13
	v_or_b32_e32 v3, v17, v3
	s_delay_alu instid0(VALU_DEP_3) | instskip(NEXT) | instid1(VALU_DEP_3)
	v_or_b32_e32 v2, v16, v2
	s_or_b32 s7, s0, s7
	s_delay_alu instid0(SALU_CYCLE_1)
	s_and_not1_b32 exec_lo, exec_lo, s7
	s_cbranch_execnz .LBB2_6
; %bb.7:                                ;   in Loop: Header=BB2_3 Depth=1
	s_or_b32 exec_lo, exec_lo, s7
.LBB2_8:                                ;   in Loop: Header=BB2_3 Depth=1
	s_delay_alu instid0(SALU_CYCLE_1)
	s_or_b32 exec_lo, exec_lo, s6
	s_mov_b32 s4, 0
.LBB2_9:                                ;   in Loop: Header=BB2_3 Depth=1
	s_or_saveexec_b32 s0, s1
	v_dual_mov_b32 v9, s4 :: v_dual_mov_b32 v26, v8
	v_mov_b32_e32 v25, v7
	s_xor_b32 exec_lo, exec_lo, s0
	s_cbranch_execz .LBB2_11
; %bb.10:                               ;   in Loop: Header=BB2_3 Depth=1
	s_waitcnt vmcnt(0)
	flat_load_b64 v[2:3], v[7:8]
	v_add_co_u32 v25, vcc_lo, v7, 8
	v_add_co_ci_u32_e32 v26, vcc_lo, 0, v8, vcc_lo
	s_waitcnt vmcnt(0) lgkmcnt(0)
	v_and_b32_e32 v9, 0xff, v3
	v_and_b32_e32 v13, 0xff00, v3
	;; [unrolled: 1-line block ×4, first 2 shown]
	v_or3_b32 v2, v2, 0, 0
	s_delay_alu instid0(VALU_DEP_4) | instskip(SKIP_1) | instid1(VALU_DEP_2)
	v_or_b32_e32 v13, v9, v13
	v_add_nc_u32_e32 v9, -8, v29
	v_or3_b32 v3, v13, v14, v3
.LBB2_11:                               ;   in Loop: Header=BB2_3 Depth=1
	s_or_b32 exec_lo, exec_lo, s0
                                        ; implicit-def: $vgpr13_vgpr14
                                        ; implicit-def: $sgpr1
	s_delay_alu instid0(SALU_CYCLE_1) | instskip(NEXT) | instid1(VALU_DEP_2)
	s_mov_b32 s0, exec_lo
	v_cmpx_gt_u32_e32 8, v9
	s_xor_b32 s6, exec_lo, s0
	s_cbranch_execz .LBB2_17
; %bb.12:                               ;   in Loop: Header=BB2_3 Depth=1
	v_mov_b32_e32 v13, 0
	v_mov_b32_e32 v14, 0
	s_mov_b32 s7, exec_lo
	v_cmpx_ne_u32_e32 0, v9
	s_cbranch_execz .LBB2_16
; %bb.13:                               ;   in Loop: Header=BB2_3 Depth=1
	v_mov_b32_e32 v13, 0
	v_mov_b32_e32 v14, 0
	s_mov_b64 s[0:1], 0
	s_mov_b32 s13, 0
	s_mov_b64 s[4:5], 0
	.p2align	6
.LBB2_14:                               ;   Parent Loop BB2_3 Depth=1
                                        ; =>  This Inner Loop Header: Depth=2
	s_delay_alu instid0(SALU_CYCLE_1)
	v_add_co_u32 v15, vcc_lo, v25, s4
	v_add_co_ci_u32_e32 v16, vcc_lo, s5, v26, vcc_lo
	s_add_u32 s4, s4, 1
	s_addc_u32 s5, s5, 0
	v_cmp_eq_u32_e32 vcc_lo, s4, v9
	flat_load_u8 v15, v[15:16]
	s_waitcnt vmcnt(0) lgkmcnt(0)
	v_dual_mov_b32 v16, s11 :: v_dual_and_b32 v15, 0xffff, v15
	s_delay_alu instid0(VALU_DEP_1) | instskip(SKIP_3) | instid1(VALU_DEP_1)
	v_lshlrev_b64 v[15:16], s0, v[15:16]
	s_add_u32 s0, s0, 8
	s_addc_u32 s1, s1, 0
	s_or_b32 s13, vcc_lo, s13
	v_or_b32_e32 v14, v16, v14
	s_delay_alu instid0(VALU_DEP_2)
	v_or_b32_e32 v13, v15, v13
	s_and_not1_b32 exec_lo, exec_lo, s13
	s_cbranch_execnz .LBB2_14
; %bb.15:                               ;   in Loop: Header=BB2_3 Depth=1
	s_or_b32 exec_lo, exec_lo, s13
.LBB2_16:                               ;   in Loop: Header=BB2_3 Depth=1
	s_delay_alu instid0(SALU_CYCLE_1)
	s_or_b32 exec_lo, exec_lo, s7
	s_mov_b32 s1, 0
                                        ; implicit-def: $vgpr9
.LBB2_17:                               ;   in Loop: Header=BB2_3 Depth=1
	s_or_saveexec_b32 s0, s6
	v_mov_b32_e32 v17, s1
	s_xor_b32 exec_lo, exec_lo, s0
	s_cbranch_execz .LBB2_19
; %bb.18:                               ;   in Loop: Header=BB2_3 Depth=1
	flat_load_b64 v[13:14], v[25:26]
	v_add_co_u32 v25, vcc_lo, v25, 8
	v_add_nc_u32_e32 v17, -8, v9
	v_add_co_ci_u32_e32 v26, vcc_lo, 0, v26, vcc_lo
	s_waitcnt vmcnt(0) lgkmcnt(0)
	v_and_b32_e32 v15, 0xff, v14
	v_and_b32_e32 v16, 0xff00, v14
	;; [unrolled: 1-line block ×4, first 2 shown]
	v_or3_b32 v13, v13, 0, 0
	s_delay_alu instid0(VALU_DEP_4) | instskip(NEXT) | instid1(VALU_DEP_1)
	v_or_b32_e32 v15, v15, v16
	v_or3_b32 v14, v15, v18, v14
.LBB2_19:                               ;   in Loop: Header=BB2_3 Depth=1
	s_or_b32 exec_lo, exec_lo, s0
                                        ; implicit-def: $sgpr1
	s_delay_alu instid0(SALU_CYCLE_1)
	s_mov_b32 s0, exec_lo
	v_cmpx_gt_u32_e32 8, v17
	s_xor_b32 s6, exec_lo, s0
	s_cbranch_execz .LBB2_25
; %bb.20:                               ;   in Loop: Header=BB2_3 Depth=1
	v_mov_b32_e32 v15, 0
	v_mov_b32_e32 v16, 0
	s_mov_b32 s7, exec_lo
	v_cmpx_ne_u32_e32 0, v17
	s_cbranch_execz .LBB2_24
; %bb.21:                               ;   in Loop: Header=BB2_3 Depth=1
	v_mov_b32_e32 v15, 0
	v_mov_b32_e32 v16, 0
	s_mov_b64 s[0:1], 0
	s_mov_b32 s13, 0
	s_mov_b64 s[4:5], 0
	.p2align	6
.LBB2_22:                               ;   Parent Loop BB2_3 Depth=1
                                        ; =>  This Inner Loop Header: Depth=2
	s_delay_alu instid0(SALU_CYCLE_1)
	v_add_co_u32 v18, vcc_lo, v25, s4
	v_add_co_ci_u32_e32 v19, vcc_lo, s5, v26, vcc_lo
	s_add_u32 s4, s4, 1
	s_addc_u32 s5, s5, 0
	v_cmp_eq_u32_e32 vcc_lo, s4, v17
	flat_load_u8 v9, v[18:19]
	s_waitcnt vmcnt(0) lgkmcnt(0)
	v_dual_mov_b32 v19, s11 :: v_dual_and_b32 v18, 0xffff, v9
	s_delay_alu instid0(VALU_DEP_1) | instskip(SKIP_3) | instid1(VALU_DEP_1)
	v_lshlrev_b64 v[18:19], s0, v[18:19]
	s_add_u32 s0, s0, 8
	s_addc_u32 s1, s1, 0
	s_or_b32 s13, vcc_lo, s13
	v_or_b32_e32 v16, v19, v16
	s_delay_alu instid0(VALU_DEP_2)
	v_or_b32_e32 v15, v18, v15
	s_and_not1_b32 exec_lo, exec_lo, s13
	s_cbranch_execnz .LBB2_22
; %bb.23:                               ;   in Loop: Header=BB2_3 Depth=1
	s_or_b32 exec_lo, exec_lo, s13
.LBB2_24:                               ;   in Loop: Header=BB2_3 Depth=1
	s_delay_alu instid0(SALU_CYCLE_1)
	s_or_b32 exec_lo, exec_lo, s7
	s_mov_b32 s1, 0
                                        ; implicit-def: $vgpr17
.LBB2_25:                               ;   in Loop: Header=BB2_3 Depth=1
	s_or_saveexec_b32 s0, s6
	v_mov_b32_e32 v9, s1
	s_xor_b32 exec_lo, exec_lo, s0
	s_cbranch_execz .LBB2_27
; %bb.26:                               ;   in Loop: Header=BB2_3 Depth=1
	flat_load_b64 v[15:16], v[25:26]
	v_add_co_u32 v25, vcc_lo, v25, 8
	v_add_co_ci_u32_e32 v26, vcc_lo, 0, v26, vcc_lo
	s_waitcnt vmcnt(0) lgkmcnt(0)
	v_and_b32_e32 v9, 0xff, v16
	v_and_b32_e32 v18, 0xff00, v16
	;; [unrolled: 1-line block ×4, first 2 shown]
	v_or3_b32 v15, v15, 0, 0
	s_delay_alu instid0(VALU_DEP_4) | instskip(SKIP_1) | instid1(VALU_DEP_2)
	v_or_b32_e32 v18, v9, v18
	v_add_nc_u32_e32 v9, -8, v17
	v_or3_b32 v16, v18, v19, v16
.LBB2_27:                               ;   in Loop: Header=BB2_3 Depth=1
	s_or_b32 exec_lo, exec_lo, s0
                                        ; implicit-def: $vgpr17_vgpr18
                                        ; implicit-def: $sgpr1
	s_delay_alu instid0(SALU_CYCLE_1) | instskip(NEXT) | instid1(VALU_DEP_1)
	s_mov_b32 s0, exec_lo
	v_cmpx_gt_u32_e32 8, v9
	s_xor_b32 s6, exec_lo, s0
	s_cbranch_execz .LBB2_33
; %bb.28:                               ;   in Loop: Header=BB2_3 Depth=1
	v_mov_b32_e32 v17, 0
	v_mov_b32_e32 v18, 0
	s_mov_b32 s7, exec_lo
	v_cmpx_ne_u32_e32 0, v9
	s_cbranch_execz .LBB2_32
; %bb.29:                               ;   in Loop: Header=BB2_3 Depth=1
	v_mov_b32_e32 v17, 0
	v_mov_b32_e32 v18, 0
	s_mov_b64 s[0:1], 0
	s_mov_b32 s13, 0
	s_mov_b64 s[4:5], 0
	.p2align	6
.LBB2_30:                               ;   Parent Loop BB2_3 Depth=1
                                        ; =>  This Inner Loop Header: Depth=2
	s_delay_alu instid0(SALU_CYCLE_1)
	v_add_co_u32 v19, vcc_lo, v25, s4
	v_add_co_ci_u32_e32 v20, vcc_lo, s5, v26, vcc_lo
	s_add_u32 s4, s4, 1
	s_addc_u32 s5, s5, 0
	v_cmp_eq_u32_e32 vcc_lo, s4, v9
	flat_load_u8 v19, v[19:20]
	s_waitcnt vmcnt(0) lgkmcnt(0)
	v_dual_mov_b32 v20, s11 :: v_dual_and_b32 v19, 0xffff, v19
	s_delay_alu instid0(VALU_DEP_1) | instskip(SKIP_3) | instid1(VALU_DEP_1)
	v_lshlrev_b64 v[19:20], s0, v[19:20]
	s_add_u32 s0, s0, 8
	s_addc_u32 s1, s1, 0
	s_or_b32 s13, vcc_lo, s13
	v_or_b32_e32 v18, v20, v18
	s_delay_alu instid0(VALU_DEP_2)
	v_or_b32_e32 v17, v19, v17
	s_and_not1_b32 exec_lo, exec_lo, s13
	s_cbranch_execnz .LBB2_30
; %bb.31:                               ;   in Loop: Header=BB2_3 Depth=1
	s_or_b32 exec_lo, exec_lo, s13
.LBB2_32:                               ;   in Loop: Header=BB2_3 Depth=1
	s_delay_alu instid0(SALU_CYCLE_1)
	s_or_b32 exec_lo, exec_lo, s7
	s_mov_b32 s1, 0
                                        ; implicit-def: $vgpr9
.LBB2_33:                               ;   in Loop: Header=BB2_3 Depth=1
	s_or_saveexec_b32 s0, s6
	v_mov_b32_e32 v21, s1
	s_xor_b32 exec_lo, exec_lo, s0
	s_cbranch_execz .LBB2_35
; %bb.34:                               ;   in Loop: Header=BB2_3 Depth=1
	flat_load_b64 v[17:18], v[25:26]
	v_add_co_u32 v25, vcc_lo, v25, 8
	v_add_nc_u32_e32 v21, -8, v9
	v_add_co_ci_u32_e32 v26, vcc_lo, 0, v26, vcc_lo
	s_waitcnt vmcnt(0) lgkmcnt(0)
	v_and_b32_e32 v19, 0xff, v18
	v_and_b32_e32 v20, 0xff00, v18
	v_and_b32_e32 v22, 0xff0000, v18
	v_and_b32_e32 v18, 0xff000000, v18
	v_or3_b32 v17, v17, 0, 0
	s_delay_alu instid0(VALU_DEP_4) | instskip(NEXT) | instid1(VALU_DEP_1)
	v_or_b32_e32 v19, v19, v20
	v_or3_b32 v18, v19, v22, v18
.LBB2_35:                               ;   in Loop: Header=BB2_3 Depth=1
	s_or_b32 exec_lo, exec_lo, s0
                                        ; implicit-def: $sgpr1
	s_delay_alu instid0(SALU_CYCLE_1)
	s_mov_b32 s0, exec_lo
	v_cmpx_gt_u32_e32 8, v21
	s_xor_b32 s6, exec_lo, s0
	s_cbranch_execz .LBB2_41
; %bb.36:                               ;   in Loop: Header=BB2_3 Depth=1
	v_mov_b32_e32 v19, 0
	v_mov_b32_e32 v20, 0
	s_mov_b32 s7, exec_lo
	v_cmpx_ne_u32_e32 0, v21
	s_cbranch_execz .LBB2_40
; %bb.37:                               ;   in Loop: Header=BB2_3 Depth=1
	v_mov_b32_e32 v19, 0
	v_mov_b32_e32 v20, 0
	s_mov_b64 s[0:1], 0
	s_mov_b32 s13, 0
	s_mov_b64 s[4:5], 0
	.p2align	6
.LBB2_38:                               ;   Parent Loop BB2_3 Depth=1
                                        ; =>  This Inner Loop Header: Depth=2
	s_delay_alu instid0(SALU_CYCLE_1)
	v_add_co_u32 v22, vcc_lo, v25, s4
	v_add_co_ci_u32_e32 v23, vcc_lo, s5, v26, vcc_lo
	s_add_u32 s4, s4, 1
	s_addc_u32 s5, s5, 0
	v_cmp_eq_u32_e32 vcc_lo, s4, v21
	flat_load_u8 v9, v[22:23]
	s_waitcnt vmcnt(0) lgkmcnt(0)
	v_dual_mov_b32 v23, s11 :: v_dual_and_b32 v22, 0xffff, v9
	s_delay_alu instid0(VALU_DEP_1) | instskip(SKIP_3) | instid1(VALU_DEP_1)
	v_lshlrev_b64 v[22:23], s0, v[22:23]
	s_add_u32 s0, s0, 8
	s_addc_u32 s1, s1, 0
	s_or_b32 s13, vcc_lo, s13
	v_or_b32_e32 v20, v23, v20
	s_delay_alu instid0(VALU_DEP_2)
	v_or_b32_e32 v19, v22, v19
	s_and_not1_b32 exec_lo, exec_lo, s13
	s_cbranch_execnz .LBB2_38
; %bb.39:                               ;   in Loop: Header=BB2_3 Depth=1
	s_or_b32 exec_lo, exec_lo, s13
.LBB2_40:                               ;   in Loop: Header=BB2_3 Depth=1
	s_delay_alu instid0(SALU_CYCLE_1)
	s_or_b32 exec_lo, exec_lo, s7
	s_mov_b32 s1, 0
                                        ; implicit-def: $vgpr21
.LBB2_41:                               ;   in Loop: Header=BB2_3 Depth=1
	s_or_saveexec_b32 s0, s6
	v_mov_b32_e32 v9, s1
	s_xor_b32 exec_lo, exec_lo, s0
	s_cbranch_execz .LBB2_43
; %bb.42:                               ;   in Loop: Header=BB2_3 Depth=1
	flat_load_b64 v[19:20], v[25:26]
	v_add_co_u32 v25, vcc_lo, v25, 8
	v_add_co_ci_u32_e32 v26, vcc_lo, 0, v26, vcc_lo
	s_waitcnt vmcnt(0) lgkmcnt(0)
	v_and_b32_e32 v9, 0xff, v20
	v_and_b32_e32 v22, 0xff00, v20
	;; [unrolled: 1-line block ×4, first 2 shown]
	v_or3_b32 v19, v19, 0, 0
	s_delay_alu instid0(VALU_DEP_4) | instskip(SKIP_1) | instid1(VALU_DEP_2)
	v_or_b32_e32 v22, v9, v22
	v_add_nc_u32_e32 v9, -8, v21
	v_or3_b32 v20, v22, v23, v20
.LBB2_43:                               ;   in Loop: Header=BB2_3 Depth=1
	s_or_b32 exec_lo, exec_lo, s0
                                        ; implicit-def: $vgpr21_vgpr22
                                        ; implicit-def: $sgpr1
	s_delay_alu instid0(SALU_CYCLE_1) | instskip(NEXT) | instid1(VALU_DEP_1)
	s_mov_b32 s0, exec_lo
	v_cmpx_gt_u32_e32 8, v9
	s_xor_b32 s6, exec_lo, s0
	s_cbranch_execz .LBB2_49
; %bb.44:                               ;   in Loop: Header=BB2_3 Depth=1
	v_mov_b32_e32 v21, 0
	v_mov_b32_e32 v22, 0
	s_mov_b32 s7, exec_lo
	v_cmpx_ne_u32_e32 0, v9
	s_cbranch_execz .LBB2_48
; %bb.45:                               ;   in Loop: Header=BB2_3 Depth=1
	v_mov_b32_e32 v21, 0
	v_mov_b32_e32 v22, 0
	s_mov_b64 s[0:1], 0
	s_mov_b32 s13, 0
	s_mov_b64 s[4:5], 0
	.p2align	6
.LBB2_46:                               ;   Parent Loop BB2_3 Depth=1
                                        ; =>  This Inner Loop Header: Depth=2
	s_delay_alu instid0(SALU_CYCLE_1)
	v_add_co_u32 v23, vcc_lo, v25, s4
	v_add_co_ci_u32_e32 v24, vcc_lo, s5, v26, vcc_lo
	s_add_u32 s4, s4, 1
	s_addc_u32 s5, s5, 0
	v_cmp_eq_u32_e32 vcc_lo, s4, v9
	flat_load_u8 v23, v[23:24]
	s_waitcnt vmcnt(0) lgkmcnt(0)
	v_dual_mov_b32 v24, s11 :: v_dual_and_b32 v23, 0xffff, v23
	s_delay_alu instid0(VALU_DEP_1) | instskip(SKIP_3) | instid1(VALU_DEP_1)
	v_lshlrev_b64 v[23:24], s0, v[23:24]
	s_add_u32 s0, s0, 8
	s_addc_u32 s1, s1, 0
	s_or_b32 s13, vcc_lo, s13
	v_or_b32_e32 v22, v24, v22
	s_delay_alu instid0(VALU_DEP_2)
	v_or_b32_e32 v21, v23, v21
	s_and_not1_b32 exec_lo, exec_lo, s13
	s_cbranch_execnz .LBB2_46
; %bb.47:                               ;   in Loop: Header=BB2_3 Depth=1
	s_or_b32 exec_lo, exec_lo, s13
.LBB2_48:                               ;   in Loop: Header=BB2_3 Depth=1
	s_delay_alu instid0(SALU_CYCLE_1)
	s_or_b32 exec_lo, exec_lo, s7
	s_mov_b32 s1, 0
                                        ; implicit-def: $vgpr9
.LBB2_49:                               ;   in Loop: Header=BB2_3 Depth=1
	s_or_saveexec_b32 s0, s6
	v_mov_b32_e32 v27, s1
	s_xor_b32 exec_lo, exec_lo, s0
	s_cbranch_execz .LBB2_51
; %bb.50:                               ;   in Loop: Header=BB2_3 Depth=1
	flat_load_b64 v[21:22], v[25:26]
	v_add_co_u32 v25, vcc_lo, v25, 8
	v_add_nc_u32_e32 v27, -8, v9
	v_add_co_ci_u32_e32 v26, vcc_lo, 0, v26, vcc_lo
	s_waitcnt vmcnt(0) lgkmcnt(0)
	v_and_b32_e32 v23, 0xff, v22
	v_and_b32_e32 v24, 0xff00, v22
	v_and_b32_e32 v28, 0xff0000, v22
	v_and_b32_e32 v22, 0xff000000, v22
	v_or3_b32 v21, v21, 0, 0
	s_delay_alu instid0(VALU_DEP_4) | instskip(NEXT) | instid1(VALU_DEP_1)
	v_or_b32_e32 v23, v23, v24
	v_or3_b32 v22, v23, v28, v22
.LBB2_51:                               ;   in Loop: Header=BB2_3 Depth=1
	s_or_b32 exec_lo, exec_lo, s0
	s_delay_alu instid0(SALU_CYCLE_1)
	s_mov_b32 s0, exec_lo
	v_cmpx_gt_u32_e32 8, v27
	s_xor_b32 s4, exec_lo, s0
	s_cbranch_execz .LBB2_57
; %bb.52:                               ;   in Loop: Header=BB2_3 Depth=1
	v_mov_b32_e32 v23, 0
	v_mov_b32_e32 v24, 0
	s_mov_b32 s5, exec_lo
	v_cmpx_ne_u32_e32 0, v27
	s_cbranch_execz .LBB2_56
; %bb.53:                               ;   in Loop: Header=BB2_3 Depth=1
	v_mov_b32_e32 v23, 0
	v_mov_b32_e32 v24, 0
	s_mov_b64 s[0:1], 0
	s_mov_b32 s6, 0
	.p2align	6
.LBB2_54:                               ;   Parent Loop BB2_3 Depth=1
                                        ; =>  This Inner Loop Header: Depth=2
	flat_load_u8 v9, v[25:26]
	v_dual_mov_b32 v32, s11 :: v_dual_add_nc_u32 v27, -1, v27
	v_add_co_u32 v25, vcc_lo, v25, 1
	v_add_co_ci_u32_e32 v26, vcc_lo, 0, v26, vcc_lo
	s_delay_alu instid0(VALU_DEP_3) | instskip(SKIP_2) | instid1(VALU_DEP_1)
	v_cmp_eq_u32_e32 vcc_lo, 0, v27
	s_waitcnt vmcnt(0) lgkmcnt(0)
	v_and_b32_e32 v31, 0xffff, v9
	v_lshlrev_b64 v[31:32], s0, v[31:32]
	s_add_u32 s0, s0, 8
	s_addc_u32 s1, s1, 0
	s_or_b32 s6, vcc_lo, s6
	s_delay_alu instid0(VALU_DEP_1) | instskip(NEXT) | instid1(VALU_DEP_2)
	v_or_b32_e32 v24, v32, v24
	v_or_b32_e32 v23, v31, v23
	s_and_not1_b32 exec_lo, exec_lo, s6
	s_cbranch_execnz .LBB2_54
; %bb.55:                               ;   in Loop: Header=BB2_3 Depth=1
	s_or_b32 exec_lo, exec_lo, s6
.LBB2_56:                               ;   in Loop: Header=BB2_3 Depth=1
	s_delay_alu instid0(SALU_CYCLE_1)
	s_or_b32 exec_lo, exec_lo, s5
                                        ; implicit-def: $vgpr25_vgpr26
.LBB2_57:                               ;   in Loop: Header=BB2_3 Depth=1
	s_and_not1_saveexec_b32 s0, s4
	s_cbranch_execz .LBB2_59
; %bb.58:                               ;   in Loop: Header=BB2_3 Depth=1
	flat_load_b64 v[23:24], v[25:26]
	s_waitcnt vmcnt(0) lgkmcnt(0)
	v_and_b32_e32 v9, 0xff, v24
	v_and_b32_e32 v25, 0xff00, v24
	;; [unrolled: 1-line block ×4, first 2 shown]
	v_or3_b32 v23, v23, 0, 0
	s_delay_alu instid0(VALU_DEP_4) | instskip(NEXT) | instid1(VALU_DEP_1)
	v_or_b32_e32 v9, v9, v25
	v_or3_b32 v24, v9, v26, v24
.LBB2_59:                               ;   in Loop: Header=BB2_3 Depth=1
	s_or_b32 exec_lo, exec_lo, s0
	v_readfirstlane_b32 s0, v33
	v_mov_b32_e32 v31, 0
	v_mov_b32_e32 v32, 0
	s_delay_alu instid0(VALU_DEP_3) | instskip(NEXT) | instid1(VALU_DEP_1)
	v_cmp_eq_u32_e64 s0, s0, v33
	s_and_saveexec_b32 s1, s0
	s_cbranch_execz .LBB2_65
; %bb.60:                               ;   in Loop: Header=BB2_3 Depth=1
	s_waitcnt lgkmcnt(0)
	global_load_b64 v[27:28], v10, s[2:3] offset:24 glc
	s_waitcnt vmcnt(0)
	buffer_gl1_inv
	buffer_gl0_inv
	s_clause 0x1
	global_load_b64 v[25:26], v10, s[2:3] offset:40
	global_load_b64 v[31:32], v10, s[2:3]
	s_mov_b32 s4, exec_lo
	s_waitcnt vmcnt(1)
	v_and_b32_e32 v9, v26, v28
	v_and_b32_e32 v25, v25, v27
	s_delay_alu instid0(VALU_DEP_2) | instskip(NEXT) | instid1(VALU_DEP_2)
	v_mul_lo_u32 v9, v9, 24
	v_mul_hi_u32 v26, v25, 24
	v_mul_lo_u32 v25, v25, 24
	s_delay_alu instid0(VALU_DEP_2) | instskip(SKIP_1) | instid1(VALU_DEP_2)
	v_add_nc_u32_e32 v9, v26, v9
	s_waitcnt vmcnt(0)
	v_add_co_u32 v25, vcc_lo, v31, v25
	s_delay_alu instid0(VALU_DEP_2)
	v_add_co_ci_u32_e32 v26, vcc_lo, v32, v9, vcc_lo
	global_load_b64 v[25:26], v[25:26], off glc
	s_waitcnt vmcnt(0)
	global_atomic_cmpswap_b64 v[31:32], v10, v[25:28], s[2:3] offset:24 glc
	s_waitcnt vmcnt(0)
	buffer_gl1_inv
	buffer_gl0_inv
	v_cmpx_ne_u64_e64 v[31:32], v[27:28]
	s_cbranch_execz .LBB2_64
; %bb.61:                               ;   in Loop: Header=BB2_3 Depth=1
	s_mov_b32 s5, 0
	.p2align	6
.LBB2_62:                               ;   Parent Loop BB2_3 Depth=1
                                        ; =>  This Inner Loop Header: Depth=2
	s_sleep 1
	s_clause 0x1
	global_load_b64 v[25:26], v10, s[2:3] offset:40
	global_load_b64 v[34:35], v10, s[2:3]
	v_dual_mov_b32 v27, v31 :: v_dual_mov_b32 v28, v32
	s_waitcnt vmcnt(1)
	s_delay_alu instid0(VALU_DEP_1) | instskip(SKIP_1) | instid1(VALU_DEP_1)
	v_and_b32_e32 v9, v25, v27
	s_waitcnt vmcnt(0)
	v_mad_u64_u32 v[31:32], null, v9, 24, v[34:35]
	s_delay_alu instid0(VALU_DEP_1) | instskip(NEXT) | instid1(VALU_DEP_1)
	v_dual_mov_b32 v9, v32 :: v_dual_and_b32 v34, v26, v28
	v_mad_u64_u32 v[25:26], null, v34, 24, v[9:10]
	s_delay_alu instid0(VALU_DEP_1)
	v_mov_b32_e32 v32, v25
	global_load_b64 v[25:26], v[31:32], off glc
	s_waitcnt vmcnt(0)
	global_atomic_cmpswap_b64 v[31:32], v10, v[25:28], s[2:3] offset:24 glc
	s_waitcnt vmcnt(0)
	buffer_gl1_inv
	buffer_gl0_inv
	v_cmp_eq_u64_e32 vcc_lo, v[31:32], v[27:28]
	s_or_b32 s5, vcc_lo, s5
	s_delay_alu instid0(SALU_CYCLE_1)
	s_and_not1_b32 exec_lo, exec_lo, s5
	s_cbranch_execnz .LBB2_62
; %bb.63:                               ;   in Loop: Header=BB2_3 Depth=1
	s_or_b32 exec_lo, exec_lo, s5
.LBB2_64:                               ;   in Loop: Header=BB2_3 Depth=1
	s_delay_alu instid0(SALU_CYCLE_1)
	s_or_b32 exec_lo, exec_lo, s4
.LBB2_65:                               ;   in Loop: Header=BB2_3 Depth=1
	s_delay_alu instid0(SALU_CYCLE_1)
	s_or_b32 exec_lo, exec_lo, s1
	s_waitcnt lgkmcnt(0)
	s_clause 0x1
	global_load_b64 v[34:35], v10, s[2:3] offset:40
	global_load_b128 v[25:28], v10, s[2:3]
	v_readfirstlane_b32 s4, v31
	v_readfirstlane_b32 s5, v32
	s_mov_b32 s1, exec_lo
	s_waitcnt vmcnt(1)
	v_readfirstlane_b32 s6, v34
	v_readfirstlane_b32 s7, v35
	s_delay_alu instid0(VALU_DEP_1) | instskip(NEXT) | instid1(SALU_CYCLE_1)
	s_and_b64 s[6:7], s[4:5], s[6:7]
	s_mul_i32 s13, s7, 24
	s_mul_hi_u32 s14, s6, 24
	s_mul_i32 s15, s6, 24
	s_add_i32 s14, s14, s13
	s_waitcnt vmcnt(0)
	v_add_co_u32 v31, vcc_lo, v25, s15
	v_add_co_ci_u32_e32 v32, vcc_lo, s14, v26, vcc_lo
	s_and_saveexec_b32 s13, s0
	s_cbranch_execz .LBB2_67
; %bb.66:                               ;   in Loop: Header=BB2_3 Depth=1
	v_mov_b32_e32 v9, s1
	global_store_b128 v[31:32], v[9:12], off offset:8
.LBB2_67:                               ;   in Loop: Header=BB2_3 Depth=1
	s_or_b32 exec_lo, exec_lo, s13
	v_cmp_lt_u64_e32 vcc_lo, 56, v[4:5]
	v_or_b32_e32 v9, 0, v1
	v_or_b32_e32 v34, v0, v6
	v_lshl_add_u32 v35, v29, 2, 28
	s_lshl_b64 s[6:7], s[6:7], 12
	s_delay_alu instid0(SALU_CYCLE_1) | instskip(NEXT) | instid1(VALU_DEP_1)
	v_add_co_u32 v27, s1, v27, s6
	v_add_co_ci_u32_e64 v28, s1, s7, v28, s1
	v_dual_cndmask_b32 v1, v9, v1 :: v_dual_cndmask_b32 v0, v34, v0
	v_and_b32_e32 v9, 0x1e0, v35
	v_lshlrev_b32_e32 v34, 6, v33
	v_readfirstlane_b32 s6, v27
	v_readfirstlane_b32 s7, v28
	s_delay_alu instid0(VALU_DEP_4)
	v_and_or_b32 v0, 0xffffff1f, v0, v9
	s_clause 0x3
	global_store_b128 v34, v[0:3], s[6:7]
	global_store_b128 v34, v[13:16], s[6:7] offset:16
	global_store_b128 v34, v[17:20], s[6:7] offset:32
	global_store_b128 v34, v[21:24], s[6:7] offset:48
	s_and_saveexec_b32 s1, s0
	s_cbranch_execz .LBB2_75
; %bb.68:                               ;   in Loop: Header=BB2_3 Depth=1
	s_clause 0x1
	global_load_b64 v[17:18], v10, s[2:3] offset:32 glc
	global_load_b64 v[0:1], v10, s[2:3] offset:40
	v_dual_mov_b32 v15, s4 :: v_dual_mov_b32 v16, s5
	s_waitcnt vmcnt(0)
	v_readfirstlane_b32 s6, v0
	v_readfirstlane_b32 s7, v1
	s_delay_alu instid0(VALU_DEP_1) | instskip(NEXT) | instid1(SALU_CYCLE_1)
	s_and_b64 s[6:7], s[6:7], s[4:5]
	s_mul_i32 s7, s7, 24
	s_mul_hi_u32 s13, s6, 24
	s_mul_i32 s6, s6, 24
	s_add_i32 s13, s13, s7
	v_add_co_u32 v13, vcc_lo, v25, s6
	v_add_co_ci_u32_e32 v14, vcc_lo, s13, v26, vcc_lo
	s_mov_b32 s6, exec_lo
	global_store_b64 v[13:14], v[17:18], off
	s_waitcnt_vscnt null, 0x0
	global_atomic_cmpswap_b64 v[2:3], v10, v[15:18], s[2:3] offset:32 glc
	s_waitcnt vmcnt(0)
	v_cmpx_ne_u64_e64 v[2:3], v[17:18]
	s_cbranch_execz .LBB2_71
; %bb.69:                               ;   in Loop: Header=BB2_3 Depth=1
	s_mov_b32 s7, 0
.LBB2_70:                               ;   Parent Loop BB2_3 Depth=1
                                        ; =>  This Inner Loop Header: Depth=2
	v_dual_mov_b32 v0, s4 :: v_dual_mov_b32 v1, s5
	s_sleep 1
	global_store_b64 v[13:14], v[2:3], off
	s_waitcnt_vscnt null, 0x0
	global_atomic_cmpswap_b64 v[0:1], v10, v[0:3], s[2:3] offset:32 glc
	s_waitcnt vmcnt(0)
	v_cmp_eq_u64_e32 vcc_lo, v[0:1], v[2:3]
	v_dual_mov_b32 v3, v1 :: v_dual_mov_b32 v2, v0
	s_or_b32 s7, vcc_lo, s7
	s_delay_alu instid0(SALU_CYCLE_1)
	s_and_not1_b32 exec_lo, exec_lo, s7
	s_cbranch_execnz .LBB2_70
.LBB2_71:                               ;   in Loop: Header=BB2_3 Depth=1
	s_or_b32 exec_lo, exec_lo, s6
	global_load_b64 v[0:1], v10, s[2:3] offset:16
	s_mov_b32 s7, exec_lo
	s_mov_b32 s6, exec_lo
	v_mbcnt_lo_u32_b32 v2, s7, 0
	s_delay_alu instid0(VALU_DEP_1)
	v_cmpx_eq_u32_e32 0, v2
	s_cbranch_execz .LBB2_73
; %bb.72:                               ;   in Loop: Header=BB2_3 Depth=1
	s_bcnt1_i32_b32 s7, s7
	s_delay_alu instid0(SALU_CYCLE_1)
	v_mov_b32_e32 v9, s7
	s_waitcnt vmcnt(0)
	global_atomic_add_u64 v[0:1], v[9:10], off offset:8
.LBB2_73:                               ;   in Loop: Header=BB2_3 Depth=1
	s_or_b32 exec_lo, exec_lo, s6
	s_waitcnt vmcnt(0)
	global_load_b64 v[2:3], v[0:1], off offset:16
	s_waitcnt vmcnt(0)
	v_cmp_eq_u64_e32 vcc_lo, 0, v[2:3]
	s_cbranch_vccnz .LBB2_75
; %bb.74:                               ;   in Loop: Header=BB2_3 Depth=1
	global_load_b32 v9, v[0:1], off offset:24
	s_waitcnt vmcnt(0)
	v_and_b32_e32 v0, 0xffffff, v9
	s_waitcnt_vscnt null, 0x0
	global_store_b64 v[2:3], v[9:10], off
	v_readfirstlane_b32 m0, v0
	s_sendmsg sendmsg(MSG_INTERRUPT)
.LBB2_75:                               ;   in Loop: Header=BB2_3 Depth=1
	s_or_b32 exec_lo, exec_lo, s1
	v_add_co_u32 v0, vcc_lo, v27, v34
	v_add_co_ci_u32_e32 v1, vcc_lo, 0, v28, vcc_lo
	s_branch .LBB2_79
	.p2align	6
.LBB2_76:                               ;   in Loop: Header=BB2_79 Depth=2
	s_or_b32 exec_lo, exec_lo, s1
	s_delay_alu instid0(VALU_DEP_1) | instskip(NEXT) | instid1(VALU_DEP_1)
	v_readfirstlane_b32 s1, v2
	s_cmp_eq_u32 s1, 0
	s_cbranch_scc1 .LBB2_78
; %bb.77:                               ;   in Loop: Header=BB2_79 Depth=2
	s_sleep 1
	s_cbranch_execnz .LBB2_79
	s_branch .LBB2_81
	.p2align	6
.LBB2_78:                               ;   in Loop: Header=BB2_3 Depth=1
	s_branch .LBB2_81
.LBB2_79:                               ;   Parent Loop BB2_3 Depth=1
                                        ; =>  This Inner Loop Header: Depth=2
	v_mov_b32_e32 v2, 1
	s_and_saveexec_b32 s1, s0
	s_cbranch_execz .LBB2_76
; %bb.80:                               ;   in Loop: Header=BB2_79 Depth=2
	global_load_b32 v2, v[31:32], off offset:20 glc
	s_waitcnt vmcnt(0)
	buffer_gl1_inv
	buffer_gl0_inv
	v_and_b32_e32 v2, 1, v2
	s_branch .LBB2_76
.LBB2_81:                               ;   in Loop: Header=BB2_3 Depth=1
	global_load_b128 v[0:3], v[0:1], off
	s_and_saveexec_b32 s1, s0
	s_cbranch_execz .LBB2_2
; %bb.82:                               ;   in Loop: Header=BB2_3 Depth=1
	s_clause 0x2
	global_load_b64 v[2:3], v10, s[2:3] offset:40
	global_load_b64 v[17:18], v10, s[2:3] offset:24 glc
	global_load_b64 v[15:16], v10, s[2:3]
	s_waitcnt vmcnt(2)
	v_add_co_u32 v9, vcc_lo, v2, 1
	v_add_co_ci_u32_e32 v19, vcc_lo, 0, v3, vcc_lo
	s_delay_alu instid0(VALU_DEP_2) | instskip(NEXT) | instid1(VALU_DEP_2)
	v_add_co_u32 v13, vcc_lo, v9, s4
	v_add_co_ci_u32_e32 v14, vcc_lo, s5, v19, vcc_lo
	s_delay_alu instid0(VALU_DEP_1) | instskip(SKIP_1) | instid1(VALU_DEP_1)
	v_cmp_eq_u64_e32 vcc_lo, 0, v[13:14]
	v_dual_cndmask_b32 v14, v14, v19 :: v_dual_cndmask_b32 v13, v13, v9
	v_and_b32_e32 v3, v14, v3
	s_delay_alu instid0(VALU_DEP_2) | instskip(NEXT) | instid1(VALU_DEP_2)
	v_and_b32_e32 v2, v13, v2
	v_mul_lo_u32 v3, v3, 24
	s_delay_alu instid0(VALU_DEP_2) | instskip(SKIP_1) | instid1(VALU_DEP_2)
	v_mul_hi_u32 v9, v2, 24
	v_mul_lo_u32 v2, v2, 24
	v_add_nc_u32_e32 v3, v9, v3
	s_waitcnt vmcnt(0)
	s_delay_alu instid0(VALU_DEP_2) | instskip(SKIP_1) | instid1(VALU_DEP_3)
	v_add_co_u32 v2, vcc_lo, v15, v2
	v_mov_b32_e32 v15, v17
	v_add_co_ci_u32_e32 v3, vcc_lo, v16, v3, vcc_lo
	v_mov_b32_e32 v16, v18
	global_store_b64 v[2:3], v[17:18], off
	s_waitcnt_vscnt null, 0x0
	global_atomic_cmpswap_b64 v[15:16], v10, v[13:16], s[2:3] offset:24 glc
	s_waitcnt vmcnt(0)
	v_cmp_ne_u64_e32 vcc_lo, v[15:16], v[17:18]
	s_and_b32 exec_lo, exec_lo, vcc_lo
	s_cbranch_execz .LBB2_2
; %bb.83:                               ;   in Loop: Header=BB2_3 Depth=1
	s_mov_b32 s0, 0
.LBB2_84:                               ;   Parent Loop BB2_3 Depth=1
                                        ; =>  This Inner Loop Header: Depth=2
	s_sleep 1
	global_store_b64 v[2:3], v[15:16], off
	s_waitcnt_vscnt null, 0x0
	global_atomic_cmpswap_b64 v[17:18], v10, v[13:16], s[2:3] offset:24 glc
	s_waitcnt vmcnt(0)
	v_cmp_eq_u64_e32 vcc_lo, v[17:18], v[15:16]
	v_dual_mov_b32 v15, v17 :: v_dual_mov_b32 v16, v18
	s_or_b32 s0, vcc_lo, s0
	s_delay_alu instid0(SALU_CYCLE_1)
	s_and_not1_b32 exec_lo, exec_lo, s0
	s_cbranch_execnz .LBB2_84
	s_branch .LBB2_2
.LBB2_85:
	s_or_b32 exec_lo, exec_lo, s12
                                        ; implicit-def: $vgpr0
                                        ; implicit-def: $vgpr33
                                        ; implicit-def: $vgpr1
.LBB2_86:
	s_and_not1_saveexec_b32 s1, s10
	s_cbranch_execz .LBB2_108
; %bb.87:
	s_load_b64 s[2:3], s[8:9], 0x50
	v_readfirstlane_b32 s0, v33
	v_mov_b32_e32 v8, 0
	v_mov_b32_e32 v9, 0
	s_delay_alu instid0(VALU_DEP_3) | instskip(NEXT) | instid1(VALU_DEP_1)
	v_cmp_eq_u32_e64 s0, s0, v33
	s_and_saveexec_b32 s4, s0
	s_cbranch_execz .LBB2_93
; %bb.88:
	s_waitcnt vmcnt(0)
	v_mov_b32_e32 v2, 0
	s_mov_b32 s5, exec_lo
	s_waitcnt lgkmcnt(0)
	global_load_b64 v[5:6], v2, s[2:3] offset:24 glc
	s_waitcnt vmcnt(0)
	buffer_gl1_inv
	buffer_gl0_inv
	s_clause 0x1
	global_load_b64 v[3:4], v2, s[2:3] offset:40
	global_load_b64 v[7:8], v2, s[2:3]
	s_waitcnt vmcnt(1)
	v_and_b32_e32 v3, v3, v5
	v_and_b32_e32 v4, v4, v6
	s_delay_alu instid0(VALU_DEP_2) | instskip(NEXT) | instid1(VALU_DEP_2)
	v_mul_hi_u32 v9, v3, 24
	v_mul_lo_u32 v4, v4, 24
	v_mul_lo_u32 v3, v3, 24
	s_delay_alu instid0(VALU_DEP_2) | instskip(SKIP_1) | instid1(VALU_DEP_2)
	v_add_nc_u32_e32 v4, v9, v4
	s_waitcnt vmcnt(0)
	v_add_co_u32 v3, vcc_lo, v7, v3
	s_delay_alu instid0(VALU_DEP_2)
	v_add_co_ci_u32_e32 v4, vcc_lo, v8, v4, vcc_lo
	global_load_b64 v[3:4], v[3:4], off glc
	s_waitcnt vmcnt(0)
	global_atomic_cmpswap_b64 v[8:9], v2, v[3:6], s[2:3] offset:24 glc
	s_waitcnt vmcnt(0)
	buffer_gl1_inv
	buffer_gl0_inv
	v_cmpx_ne_u64_e64 v[8:9], v[5:6]
	s_cbranch_execz .LBB2_92
; %bb.89:
	s_mov_b32 s6, 0
	.p2align	6
.LBB2_90:                               ; =>This Inner Loop Header: Depth=1
	s_sleep 1
	s_clause 0x1
	global_load_b64 v[3:4], v2, s[2:3] offset:40
	global_load_b64 v[10:11], v2, s[2:3]
	v_dual_mov_b32 v5, v8 :: v_dual_mov_b32 v6, v9
	s_waitcnt vmcnt(1)
	s_delay_alu instid0(VALU_DEP_1) | instskip(NEXT) | instid1(VALU_DEP_2)
	v_and_b32_e32 v3, v3, v5
	v_and_b32_e32 v4, v4, v6
	s_waitcnt vmcnt(0)
	s_delay_alu instid0(VALU_DEP_2) | instskip(NEXT) | instid1(VALU_DEP_1)
	v_mad_u64_u32 v[7:8], null, v3, 24, v[10:11]
	v_mov_b32_e32 v3, v8
	s_delay_alu instid0(VALU_DEP_1)
	v_mad_u64_u32 v[8:9], null, v4, 24, v[3:4]
	global_load_b64 v[3:4], v[7:8], off glc
	s_waitcnt vmcnt(0)
	global_atomic_cmpswap_b64 v[8:9], v2, v[3:6], s[2:3] offset:24 glc
	s_waitcnt vmcnt(0)
	buffer_gl1_inv
	buffer_gl0_inv
	v_cmp_eq_u64_e32 vcc_lo, v[8:9], v[5:6]
	s_or_b32 s6, vcc_lo, s6
	s_delay_alu instid0(SALU_CYCLE_1)
	s_and_not1_b32 exec_lo, exec_lo, s6
	s_cbranch_execnz .LBB2_90
; %bb.91:
	s_or_b32 exec_lo, exec_lo, s6
.LBB2_92:
	s_delay_alu instid0(SALU_CYCLE_1)
	s_or_b32 exec_lo, exec_lo, s5
.LBB2_93:
	s_delay_alu instid0(SALU_CYCLE_1)
	s_or_b32 exec_lo, exec_lo, s4
	s_waitcnt vmcnt(0)
	v_mov_b32_e32 v2, 0
	v_readfirstlane_b32 s4, v8
	v_readfirstlane_b32 s5, v9
	s_mov_b32 s8, exec_lo
	s_waitcnt lgkmcnt(0)
	s_clause 0x1
	global_load_b64 v[10:11], v2, s[2:3] offset:40
	global_load_b128 v[4:7], v2, s[2:3]
	s_waitcnt vmcnt(1)
	v_readfirstlane_b32 s6, v10
	v_readfirstlane_b32 s7, v11
	s_delay_alu instid0(VALU_DEP_1) | instskip(NEXT) | instid1(SALU_CYCLE_1)
	s_and_b64 s[6:7], s[4:5], s[6:7]
	s_mul_i32 s9, s7, 24
	s_mul_hi_u32 s10, s6, 24
	s_mul_i32 s11, s6, 24
	s_add_i32 s10, s10, s9
	s_waitcnt vmcnt(0)
	v_add_co_u32 v8, vcc_lo, v4, s11
	v_add_co_ci_u32_e32 v9, vcc_lo, s10, v5, vcc_lo
	s_and_saveexec_b32 s9, s0
	s_cbranch_execz .LBB2_95
; %bb.94:
	v_dual_mov_b32 v10, s8 :: v_dual_mov_b32 v11, v2
	v_dual_mov_b32 v12, 2 :: v_dual_mov_b32 v13, 1
	global_store_b128 v[8:9], v[10:13], off offset:8
.LBB2_95:
	s_or_b32 exec_lo, exec_lo, s9
	s_lshl_b64 s[6:7], s[6:7], 12
	s_mov_b32 s8, 0
	v_add_co_u32 v6, vcc_lo, v6, s6
	v_add_co_ci_u32_e32 v7, vcc_lo, s7, v7, vcc_lo
	s_mov_b32 s11, s8
	s_mov_b32 s9, s8
	;; [unrolled: 1-line block ×3, first 2 shown]
	v_and_or_b32 v0, 0xffffff1f, v0, 32
	v_dual_mov_b32 v3, v2 :: v_dual_lshlrev_b32 v14, 6, v33
	v_readfirstlane_b32 s6, v6
	v_readfirstlane_b32 s7, v7
	v_dual_mov_b32 v13, s11 :: v_dual_mov_b32 v12, s10
	v_dual_mov_b32 v11, s9 :: v_dual_mov_b32 v10, s8
	s_clause 0x3
	global_store_b128 v14, v[0:3], s[6:7]
	global_store_b128 v14, v[10:13], s[6:7] offset:16
	global_store_b128 v14, v[10:13], s[6:7] offset:32
	;; [unrolled: 1-line block ×3, first 2 shown]
	s_and_saveexec_b32 s6, s0
	s_cbranch_execz .LBB2_102
; %bb.96:
	v_mov_b32_e32 v6, 0
	s_mov_b32 s7, exec_lo
	s_clause 0x1
	global_load_b64 v[12:13], v6, s[2:3] offset:32 glc
	global_load_b64 v[0:1], v6, s[2:3] offset:40
	v_dual_mov_b32 v11, s5 :: v_dual_mov_b32 v10, s4
	s_waitcnt vmcnt(0)
	v_and_b32_e32 v1, s5, v1
	v_and_b32_e32 v0, s4, v0
	s_delay_alu instid0(VALU_DEP_2) | instskip(NEXT) | instid1(VALU_DEP_2)
	v_mul_lo_u32 v1, v1, 24
	v_mul_hi_u32 v2, v0, 24
	v_mul_lo_u32 v0, v0, 24
	s_delay_alu instid0(VALU_DEP_2) | instskip(NEXT) | instid1(VALU_DEP_2)
	v_add_nc_u32_e32 v1, v2, v1
	v_add_co_u32 v4, vcc_lo, v4, v0
	s_delay_alu instid0(VALU_DEP_2)
	v_add_co_ci_u32_e32 v5, vcc_lo, v5, v1, vcc_lo
	global_store_b64 v[4:5], v[12:13], off
	s_waitcnt_vscnt null, 0x0
	global_atomic_cmpswap_b64 v[2:3], v6, v[10:13], s[2:3] offset:32 glc
	s_waitcnt vmcnt(0)
	v_cmpx_ne_u64_e64 v[2:3], v[12:13]
	s_cbranch_execz .LBB2_98
.LBB2_97:                               ; =>This Inner Loop Header: Depth=1
	v_dual_mov_b32 v0, s4 :: v_dual_mov_b32 v1, s5
	s_sleep 1
	global_store_b64 v[4:5], v[2:3], off
	s_waitcnt_vscnt null, 0x0
	global_atomic_cmpswap_b64 v[0:1], v6, v[0:3], s[2:3] offset:32 glc
	s_waitcnt vmcnt(0)
	v_cmp_eq_u64_e32 vcc_lo, v[0:1], v[2:3]
	v_dual_mov_b32 v3, v1 :: v_dual_mov_b32 v2, v0
	s_or_b32 s8, vcc_lo, s8
	s_delay_alu instid0(SALU_CYCLE_1)
	s_and_not1_b32 exec_lo, exec_lo, s8
	s_cbranch_execnz .LBB2_97
.LBB2_98:
	s_or_b32 exec_lo, exec_lo, s7
	v_mov_b32_e32 v3, 0
	s_mov_b32 s8, exec_lo
	s_mov_b32 s7, exec_lo
	v_mbcnt_lo_u32_b32 v2, s8, 0
	global_load_b64 v[0:1], v3, s[2:3] offset:16
	v_cmpx_eq_u32_e32 0, v2
	s_cbranch_execz .LBB2_100
; %bb.99:
	s_bcnt1_i32_b32 s8, s8
	s_delay_alu instid0(SALU_CYCLE_1)
	v_mov_b32_e32 v2, s8
	s_waitcnt vmcnt(0)
	global_atomic_add_u64 v[0:1], v[2:3], off offset:8
.LBB2_100:
	s_or_b32 exec_lo, exec_lo, s7
	s_waitcnt vmcnt(0)
	global_load_b64 v[2:3], v[0:1], off offset:16
	s_waitcnt vmcnt(0)
	v_cmp_eq_u64_e32 vcc_lo, 0, v[2:3]
	s_cbranch_vccnz .LBB2_102
; %bb.101:
	global_load_b32 v0, v[0:1], off offset:24
	s_waitcnt vmcnt(0)
	v_dual_mov_b32 v1, 0 :: v_dual_and_b32 v4, 0xffffff, v0
	s_waitcnt_vscnt null, 0x0
	global_store_b64 v[2:3], v[0:1], off
	v_readfirstlane_b32 m0, v4
	s_sendmsg sendmsg(MSG_INTERRUPT)
.LBB2_102:
	s_or_b32 exec_lo, exec_lo, s6
	s_branch .LBB2_106
	.p2align	6
.LBB2_103:                              ;   in Loop: Header=BB2_106 Depth=1
	s_or_b32 exec_lo, exec_lo, s6
	s_delay_alu instid0(VALU_DEP_1) | instskip(NEXT) | instid1(VALU_DEP_1)
	v_readfirstlane_b32 s6, v0
	s_cmp_eq_u32 s6, 0
	s_cbranch_scc1 .LBB2_105
; %bb.104:                              ;   in Loop: Header=BB2_106 Depth=1
	s_sleep 1
	s_cbranch_execnz .LBB2_106
	s_branch .LBB2_109
	.p2align	6
.LBB2_105:
	s_branch .LBB2_109
.LBB2_106:                              ; =>This Inner Loop Header: Depth=1
	v_mov_b32_e32 v0, 1
	s_and_saveexec_b32 s6, s0
	s_cbranch_execz .LBB2_103
; %bb.107:                              ;   in Loop: Header=BB2_106 Depth=1
	global_load_b32 v0, v[8:9], off offset:20 glc
	s_waitcnt vmcnt(0)
	buffer_gl1_inv
	buffer_gl0_inv
	v_and_b32_e32 v0, 1, v0
	s_branch .LBB2_103
.LBB2_108:
	s_or_b32 exec_lo, exec_lo, s1
	s_waitcnt vmcnt(0) lgkmcnt(0)
	s_setpc_b64 s[30:31]
.LBB2_109:
	s_and_saveexec_b32 s6, s0
	s_cbranch_execz .LBB2_113
; %bb.110:
	v_mov_b32_e32 v6, 0
	s_clause 0x2
	global_load_b64 v[2:3], v6, s[2:3] offset:40
	global_load_b64 v[7:8], v6, s[2:3] offset:24 glc
	global_load_b64 v[4:5], v6, s[2:3]
	s_waitcnt vmcnt(2)
	v_add_co_u32 v9, vcc_lo, v2, 1
	v_add_co_ci_u32_e32 v10, vcc_lo, 0, v3, vcc_lo
	s_delay_alu instid0(VALU_DEP_2) | instskip(NEXT) | instid1(VALU_DEP_2)
	v_add_co_u32 v0, vcc_lo, v9, s4
	v_add_co_ci_u32_e32 v1, vcc_lo, s5, v10, vcc_lo
	s_delay_alu instid0(VALU_DEP_1) | instskip(SKIP_1) | instid1(VALU_DEP_1)
	v_cmp_eq_u64_e32 vcc_lo, 0, v[0:1]
	v_dual_cndmask_b32 v1, v1, v10 :: v_dual_cndmask_b32 v0, v0, v9
	v_and_b32_e32 v3, v1, v3
	s_delay_alu instid0(VALU_DEP_2) | instskip(NEXT) | instid1(VALU_DEP_2)
	v_and_b32_e32 v2, v0, v2
	v_mul_lo_u32 v3, v3, 24
	s_delay_alu instid0(VALU_DEP_2) | instskip(SKIP_1) | instid1(VALU_DEP_2)
	v_mul_hi_u32 v9, v2, 24
	v_mul_lo_u32 v2, v2, 24
	v_add_nc_u32_e32 v3, v9, v3
	s_waitcnt vmcnt(0)
	s_delay_alu instid0(VALU_DEP_2) | instskip(SKIP_1) | instid1(VALU_DEP_3)
	v_add_co_u32 v4, vcc_lo, v4, v2
	v_mov_b32_e32 v2, v7
	v_add_co_ci_u32_e32 v5, vcc_lo, v5, v3, vcc_lo
	v_mov_b32_e32 v3, v8
	global_store_b64 v[4:5], v[7:8], off
	s_waitcnt_vscnt null, 0x0
	global_atomic_cmpswap_b64 v[2:3], v6, v[0:3], s[2:3] offset:24 glc
	s_waitcnt vmcnt(0)
	v_cmp_ne_u64_e32 vcc_lo, v[2:3], v[7:8]
	s_and_b32 exec_lo, exec_lo, vcc_lo
	s_cbranch_execz .LBB2_113
; %bb.111:
	s_mov_b32 s0, 0
.LBB2_112:                              ; =>This Inner Loop Header: Depth=1
	s_sleep 1
	global_store_b64 v[4:5], v[2:3], off
	s_waitcnt_vscnt null, 0x0
	global_atomic_cmpswap_b64 v[7:8], v6, v[0:3], s[2:3] offset:24 glc
	s_waitcnt vmcnt(0)
	v_cmp_eq_u64_e32 vcc_lo, v[7:8], v[2:3]
	v_dual_mov_b32 v2, v7 :: v_dual_mov_b32 v3, v8
	s_or_b32 s0, vcc_lo, s0
	s_delay_alu instid0(SALU_CYCLE_1)
	s_and_not1_b32 exec_lo, exec_lo, s0
	s_cbranch_execnz .LBB2_112
.LBB2_113:
	s_or_b32 exec_lo, exec_lo, s6
	s_delay_alu instid0(SALU_CYCLE_1)
	s_or_b32 exec_lo, exec_lo, s1
	s_waitcnt lgkmcnt(0)
	s_setpc_b64 s[30:31]
.Lfunc_end2:
	.size	__ockl_fprintf_append_string_n, .Lfunc_end2-__ockl_fprintf_append_string_n
                                        ; -- End function
	.section	.AMDGPU.csdata,"",@progbits
; Function info:
; codeLenInByte = 4740
; NumSgprs: 34
; NumVgprs: 36
; ScratchSize: 0
; MemoryBound: 0
	.text
	.p2align	2                               ; -- Begin function __assert_fail
	.type	__assert_fail,@function
__assert_fail:                          ; @__assert_fail
; %bb.0:
	s_waitcnt vmcnt(0) expcnt(0) lgkmcnt(0)
	s_mov_b32 s20, s33
	s_mov_b32 s33, s32
	s_or_saveexec_b32 s0, -1
	scratch_store_b32 off, v40, s33 offset:48 ; 4-byte Folded Spill
	s_mov_b32 exec_lo, s0
	v_writelane_b32 v40, s30, 0
	s_add_i32 s32, s32, 64
	v_writelane_b32 v40, s31, 1
	s_getpc_b64 s[0:1]
	s_add_u32 s0, s0, __const.__assert_fail.fmt@rel32@lo+4
	s_addc_u32 s1, s1, __const.__assert_fail.fmt@rel32@hi+12
	s_getpc_b64 s[2:3]
	s_add_u32 s2, s2, __const.__assert_fail.fmt@rel32@lo+20
	s_addc_u32 s3, s3, __const.__assert_fail.fmt@rel32@hi+28
	v_mbcnt_lo_u32_b32 v35, -1, 0
	s_clause 0x1
	s_load_b128 s[4:7], s[0:1], 0x0
	s_load_b128 s[12:15], s[2:3], 0x0
	s_load_b64 s[2:3], s[8:9], 0x50
	v_dual_mov_b32 v5, v1 :: v_dual_mov_b32 v4, v0
	v_mov_b32_e32 v14, 0x73256020
	v_readfirstlane_b32 s0, v35
	v_mov_b32_e32 v0, 0
	v_dual_mov_b32 v2, 0 :: v_dual_mov_b32 v3, 0xa2e
	v_mov_b32_e32 v15, 0x61662027
	v_dual_mov_b32 v16, 0x64656c69 :: v_dual_mov_b32 v1, 0
	v_cmp_eq_u32_e64 s0, s0, v35
	s_waitcnt lgkmcnt(0)
	v_dual_mov_b32 v9, s7 :: v_dual_mov_b32 v8, s6
	v_dual_mov_b32 v7, s5 :: v_dual_mov_b32 v6, s4
	;; [unrolled: 1-line block ×4, first 2 shown]
	s_clause 0x4
	scratch_store_b128 off, v[6:9], s33
	scratch_store_b128 off, v[10:13], s33 offset:16
	scratch_store_b8 off, v2, s33 offset:46
	scratch_store_b16 off, v3, s33 offset:44
	scratch_store_b96 off, v[14:16], s33 offset:32
	s_and_saveexec_b32 s1, s0
	s_cbranch_execz .LBB3_6
; %bb.1:
	global_load_b64 v[8:9], v2, s[2:3] offset:24 glc
	s_waitcnt vmcnt(0)
	buffer_gl1_inv
	buffer_gl0_inv
	s_clause 0x1
	global_load_b64 v[0:1], v2, s[2:3] offset:40
	global_load_b64 v[6:7], v2, s[2:3]
	s_mov_b32 s4, exec_lo
	s_waitcnt vmcnt(1)
	v_and_b32_e32 v1, v1, v9
	v_and_b32_e32 v0, v0, v8
	s_delay_alu instid0(VALU_DEP_2) | instskip(NEXT) | instid1(VALU_DEP_2)
	v_mul_lo_u32 v1, v1, 24
	v_mul_hi_u32 v3, v0, 24
	v_mul_lo_u32 v0, v0, 24
	s_delay_alu instid0(VALU_DEP_2) | instskip(SKIP_1) | instid1(VALU_DEP_2)
	v_add_nc_u32_e32 v1, v3, v1
	s_waitcnt vmcnt(0)
	v_add_co_u32 v0, vcc_lo, v6, v0
	s_delay_alu instid0(VALU_DEP_2)
	v_add_co_ci_u32_e32 v1, vcc_lo, v7, v1, vcc_lo
	global_load_b64 v[6:7], v[0:1], off glc
	s_waitcnt vmcnt(0)
	global_atomic_cmpswap_b64 v[0:1], v2, v[6:9], s[2:3] offset:24 glc
	s_waitcnt vmcnt(0)
	buffer_gl1_inv
	buffer_gl0_inv
	v_cmpx_ne_u64_e64 v[0:1], v[8:9]
	s_cbranch_execz .LBB3_5
; %bb.2:
	s_mov_b32 s5, 0
	.p2align	6
.LBB3_3:                                ; =>This Inner Loop Header: Depth=1
	s_sleep 1
	s_clause 0x1
	global_load_b64 v[6:7], v2, s[2:3] offset:40
	global_load_b64 v[10:11], v2, s[2:3]
	v_dual_mov_b32 v9, v1 :: v_dual_mov_b32 v8, v0
	s_waitcnt vmcnt(1)
	s_delay_alu instid0(VALU_DEP_1) | instskip(SKIP_1) | instid1(VALU_DEP_1)
	v_and_b32_e32 v3, v6, v8
	s_waitcnt vmcnt(0)
	v_mad_u64_u32 v[0:1], null, v3, 24, v[10:11]
	v_and_b32_e32 v3, v7, v9
	s_delay_alu instid0(VALU_DEP_1) | instskip(NEXT) | instid1(VALU_DEP_1)
	v_mad_u64_u32 v[6:7], null, v3, 24, v[1:2]
	v_mov_b32_e32 v1, v6
	global_load_b64 v[6:7], v[0:1], off glc
	s_waitcnt vmcnt(0)
	global_atomic_cmpswap_b64 v[0:1], v2, v[6:9], s[2:3] offset:24 glc
	s_waitcnt vmcnt(0)
	buffer_gl1_inv
	buffer_gl0_inv
	v_cmp_eq_u64_e32 vcc_lo, v[0:1], v[8:9]
	s_or_b32 s5, vcc_lo, s5
	s_delay_alu instid0(SALU_CYCLE_1)
	s_and_not1_b32 exec_lo, exec_lo, s5
	s_cbranch_execnz .LBB3_3
; %bb.4:
	s_or_b32 exec_lo, exec_lo, s5
.LBB3_5:
	s_delay_alu instid0(SALU_CYCLE_1)
	s_or_b32 exec_lo, exec_lo, s4
.LBB3_6:
	s_delay_alu instid0(SALU_CYCLE_1)
	s_or_b32 exec_lo, exec_lo, s1
	s_clause 0x1
	global_load_b64 v[10:11], v2, s[2:3] offset:40
	global_load_b128 v[6:9], v2, s[2:3]
	v_readfirstlane_b32 s4, v0
	v_readfirstlane_b32 s5, v1
	s_mov_b32 s1, exec_lo
	s_waitcnt vmcnt(1)
	v_readfirstlane_b32 s6, v10
	v_readfirstlane_b32 s7, v11
	s_delay_alu instid0(VALU_DEP_1) | instskip(NEXT) | instid1(SALU_CYCLE_1)
	s_and_b64 s[6:7], s[4:5], s[6:7]
	s_mul_i32 s10, s7, 24
	s_mul_hi_u32 s11, s6, 24
	s_mul_i32 s12, s6, 24
	s_add_i32 s11, s11, s10
	s_waitcnt vmcnt(0)
	v_add_co_u32 v10, vcc_lo, v6, s12
	v_add_co_ci_u32_e32 v11, vcc_lo, s11, v7, vcc_lo
	s_and_saveexec_b32 s10, s0
	s_cbranch_execz .LBB3_8
; %bb.7:
	v_dual_mov_b32 v0, s1 :: v_dual_mov_b32 v1, 0
	v_dual_mov_b32 v2, 2 :: v_dual_mov_b32 v3, 1
	global_store_b128 v[10:11], v[0:3], off offset:8
.LBB3_8:
	s_or_b32 exec_lo, exec_lo, s10
	s_lshl_b64 s[6:7], s[6:7], 12
	v_dual_mov_b32 v1, 0 :: v_dual_lshlrev_b32 v34, 6, v35
	v_add_co_u32 v8, vcc_lo, v8, s6
	v_add_co_ci_u32_e32 v9, vcc_lo, s7, v9, vcc_lo
	s_mov_b32 s12, 0
	s_delay_alu instid0(VALU_DEP_2)
	v_add_co_u32 v12, vcc_lo, v8, v34
	s_mov_b32 s15, s12
	s_mov_b32 s13, s12
	;; [unrolled: 1-line block ×3, first 2 shown]
	v_dual_mov_b32 v0, 33 :: v_dual_mov_b32 v3, v1
	v_dual_mov_b32 v2, 1 :: v_dual_mov_b32 v17, s15
	v_readfirstlane_b32 s6, v8
	v_readfirstlane_b32 s7, v9
	v_add_co_ci_u32_e32 v13, vcc_lo, 0, v9, vcc_lo
	v_dual_mov_b32 v16, s14 :: v_dual_mov_b32 v15, s13
	v_mov_b32_e32 v14, s12
	s_clause 0x3
	global_store_b128 v34, v[0:3], s[6:7]
	global_store_b128 v34, v[14:17], s[6:7] offset:16
	global_store_b128 v34, v[14:17], s[6:7] offset:32
	;; [unrolled: 1-line block ×3, first 2 shown]
	s_and_saveexec_b32 s1, s0
	s_cbranch_execz .LBB3_16
; %bb.9:
	s_clause 0x1
	global_load_b64 v[16:17], v1, s[2:3] offset:32 glc
	global_load_b64 v[2:3], v1, s[2:3] offset:40
	v_mov_b32_e32 v14, s4
	s_mov_b32 s6, exec_lo
	s_waitcnt vmcnt(0)
	v_dual_mov_b32 v15, s5 :: v_dual_and_b32 v0, s5, v3
	v_and_b32_e32 v2, s4, v2
	s_delay_alu instid0(VALU_DEP_2) | instskip(NEXT) | instid1(VALU_DEP_2)
	v_mul_lo_u32 v0, v0, 24
	v_mul_hi_u32 v3, v2, 24
	v_mul_lo_u32 v2, v2, 24
	s_delay_alu instid0(VALU_DEP_2) | instskip(NEXT) | instid1(VALU_DEP_2)
	v_add_nc_u32_e32 v0, v3, v0
	v_add_co_u32 v2, vcc_lo, v6, v2
	s_delay_alu instid0(VALU_DEP_2)
	v_add_co_ci_u32_e32 v3, vcc_lo, v7, v0, vcc_lo
	global_store_b64 v[2:3], v[16:17], off
	s_waitcnt_vscnt null, 0x0
	global_atomic_cmpswap_b64 v[8:9], v1, v[14:17], s[2:3] offset:32 glc
	s_waitcnt vmcnt(0)
	v_cmpx_ne_u64_e64 v[8:9], v[16:17]
	s_cbranch_execz .LBB3_12
; %bb.10:
	s_mov_b32 s7, 0
.LBB3_11:                               ; =>This Inner Loop Header: Depth=1
	v_dual_mov_b32 v6, s4 :: v_dual_mov_b32 v7, s5
	s_sleep 1
	global_store_b64 v[2:3], v[8:9], off
	s_waitcnt_vscnt null, 0x0
	global_atomic_cmpswap_b64 v[6:7], v1, v[6:9], s[2:3] offset:32 glc
	s_waitcnt vmcnt(0)
	v_cmp_eq_u64_e32 vcc_lo, v[6:7], v[8:9]
	v_dual_mov_b32 v9, v7 :: v_dual_mov_b32 v8, v6
	s_or_b32 s7, vcc_lo, s7
	s_delay_alu instid0(SALU_CYCLE_1)
	s_and_not1_b32 exec_lo, exec_lo, s7
	s_cbranch_execnz .LBB3_11
.LBB3_12:
	s_or_b32 exec_lo, exec_lo, s6
	v_mov_b32_e32 v3, 0
	s_mov_b32 s7, exec_lo
	s_mov_b32 s6, exec_lo
	v_mbcnt_lo_u32_b32 v2, s7, 0
	global_load_b64 v[0:1], v3, s[2:3] offset:16
	v_cmpx_eq_u32_e32 0, v2
	s_cbranch_execz .LBB3_14
; %bb.13:
	s_bcnt1_i32_b32 s7, s7
	s_delay_alu instid0(SALU_CYCLE_1)
	v_mov_b32_e32 v2, s7
	s_waitcnt vmcnt(0)
	global_atomic_add_u64 v[0:1], v[2:3], off offset:8
.LBB3_14:
	s_or_b32 exec_lo, exec_lo, s6
	s_waitcnt vmcnt(0)
	global_load_b64 v[2:3], v[0:1], off offset:16
	s_waitcnt vmcnt(0)
	v_cmp_eq_u64_e32 vcc_lo, 0, v[2:3]
	s_cbranch_vccnz .LBB3_16
; %bb.15:
	global_load_b32 v0, v[0:1], off offset:24
	s_waitcnt vmcnt(0)
	v_dual_mov_b32 v1, 0 :: v_dual_and_b32 v6, 0xffffff, v0
	s_waitcnt_vscnt null, 0x0
	global_store_b64 v[2:3], v[0:1], off
	v_readfirstlane_b32 m0, v6
	s_sendmsg sendmsg(MSG_INTERRUPT)
.LBB3_16:
	s_or_b32 exec_lo, exec_lo, s1
	s_branch .LBB3_20
	.p2align	6
.LBB3_17:                               ;   in Loop: Header=BB3_20 Depth=1
	s_or_b32 exec_lo, exec_lo, s1
	s_delay_alu instid0(VALU_DEP_1) | instskip(NEXT) | instid1(VALU_DEP_1)
	v_readfirstlane_b32 s1, v0
	s_cmp_eq_u32 s1, 0
	s_cbranch_scc1 .LBB3_19
; %bb.18:                               ;   in Loop: Header=BB3_20 Depth=1
	s_sleep 1
	s_cbranch_execnz .LBB3_20
	s_branch .LBB3_22
	.p2align	6
.LBB3_19:
	s_branch .LBB3_22
.LBB3_20:                               ; =>This Inner Loop Header: Depth=1
	v_mov_b32_e32 v0, 1
	s_and_saveexec_b32 s1, s0
	s_cbranch_execz .LBB3_17
; %bb.21:                               ;   in Loop: Header=BB3_20 Depth=1
	global_load_b32 v0, v[10:11], off offset:20 glc
	s_waitcnt vmcnt(0)
	buffer_gl1_inv
	buffer_gl0_inv
	v_and_b32_e32 v0, 1, v0
	s_branch .LBB3_17
.LBB3_22:
	global_load_b64 v[6:7], v[12:13], off
	s_and_saveexec_b32 s1, s0
	s_cbranch_execz .LBB3_26
; %bb.23:
	v_mov_b32_e32 v10, 0
	s_clause 0x2
	global_load_b64 v[2:3], v10, s[2:3] offset:40
	global_load_b64 v[11:12], v10, s[2:3] offset:24 glc
	global_load_b64 v[8:9], v10, s[2:3]
	s_waitcnt vmcnt(2)
	v_add_co_u32 v13, vcc_lo, v2, 1
	v_add_co_ci_u32_e32 v14, vcc_lo, 0, v3, vcc_lo
	s_delay_alu instid0(VALU_DEP_2) | instskip(NEXT) | instid1(VALU_DEP_2)
	v_add_co_u32 v0, vcc_lo, v13, s4
	v_add_co_ci_u32_e32 v1, vcc_lo, s5, v14, vcc_lo
	s_delay_alu instid0(VALU_DEP_1) | instskip(SKIP_1) | instid1(VALU_DEP_1)
	v_cmp_eq_u64_e32 vcc_lo, 0, v[0:1]
	v_dual_cndmask_b32 v1, v1, v14 :: v_dual_cndmask_b32 v0, v0, v13
	v_and_b32_e32 v3, v1, v3
	s_delay_alu instid0(VALU_DEP_2) | instskip(NEXT) | instid1(VALU_DEP_2)
	v_and_b32_e32 v2, v0, v2
	v_mul_lo_u32 v3, v3, 24
	s_delay_alu instid0(VALU_DEP_2) | instskip(SKIP_1) | instid1(VALU_DEP_2)
	v_mul_hi_u32 v13, v2, 24
	v_mul_lo_u32 v2, v2, 24
	v_add_nc_u32_e32 v3, v13, v3
	s_waitcnt vmcnt(0)
	s_delay_alu instid0(VALU_DEP_2) | instskip(SKIP_1) | instid1(VALU_DEP_3)
	v_add_co_u32 v8, vcc_lo, v8, v2
	v_mov_b32_e32 v2, v11
	v_add_co_ci_u32_e32 v9, vcc_lo, v9, v3, vcc_lo
	v_mov_b32_e32 v3, v12
	global_store_b64 v[8:9], v[11:12], off
	s_waitcnt_vscnt null, 0x0
	global_atomic_cmpswap_b64 v[2:3], v10, v[0:3], s[2:3] offset:24 glc
	s_waitcnt vmcnt(0)
	v_cmp_ne_u64_e32 vcc_lo, v[2:3], v[11:12]
	s_and_b32 exec_lo, exec_lo, vcc_lo
	s_cbranch_execz .LBB3_26
; %bb.24:
	s_mov_b32 s0, 0
.LBB3_25:                               ; =>This Inner Loop Header: Depth=1
	s_sleep 1
	global_store_b64 v[8:9], v[2:3], off
	s_waitcnt_vscnt null, 0x0
	global_atomic_cmpswap_b64 v[11:12], v10, v[0:3], s[2:3] offset:24 glc
	s_waitcnt vmcnt(0)
	v_cmp_eq_u64_e32 vcc_lo, v[11:12], v[2:3]
	v_dual_mov_b32 v2, v11 :: v_dual_mov_b32 v3, v12
	s_or_b32 s0, vcc_lo, s0
	s_delay_alu instid0(SALU_CYCLE_1)
	s_and_not1_b32 exec_lo, exec_lo, s0
	s_cbranch_execnz .LBB3_25
.LBB3_26:
	s_or_b32 exec_lo, exec_lo, s1
	v_mov_b32_e32 v1, s33
	s_mov_b32 s0, 0
.LBB3_27:                               ; =>This Inner Loop Header: Depth=1
	scratch_load_u8 v2, v1, off
	v_add_nc_u32_e32 v0, 1, v1
	s_delay_alu instid0(VALU_DEP_1) | instskip(SKIP_3) | instid1(SALU_CYCLE_1)
	v_mov_b32_e32 v1, v0
	s_waitcnt vmcnt(0)
	v_cmp_eq_u16_e32 vcc_lo, 0, v2
	s_or_b32 s0, vcc_lo, s0
	s_and_not1_b32 exec_lo, exec_lo, s0
	s_cbranch_execnz .LBB3_27
; %bb.28:
	s_or_b32 exec_lo, exec_lo, s0
	v_cmp_ne_u32_e64 s0, -1, s33
	s_delay_alu instid0(VALU_DEP_1)
	s_and_b32 vcc_lo, exec_lo, s0
	s_cbranch_vccz .LBB3_113
; %bb.29:
	v_subrev_nc_u32_e32 v28, s33, v0
	v_dual_mov_b32 v9, 0 :: v_dual_and_b32 v36, 2, v6
	v_dual_mov_b32 v1, v7 :: v_dual_and_b32 v0, -3, v6
	s_delay_alu instid0(VALU_DEP_3)
	v_ashrrev_i32_e32 v29, 31, v28
	v_dual_mov_b32 v37, s33 :: v_dual_mov_b32 v10, 2
	v_mov_b32_e32 v11, 1
	s_mov_b32 s11, 0
	s_mov_b32 s10, 0
	s_branch .LBB3_31
.LBB3_30:                               ;   in Loop: Header=BB3_31 Depth=1
	s_or_b32 exec_lo, exec_lo, s1
	v_sub_co_u32 v28, vcc_lo, v28, v30
	v_sub_co_ci_u32_e32 v29, vcc_lo, v29, v31, vcc_lo
	v_add_nc_u32_e32 v37, v37, v30
	s_delay_alu instid0(VALU_DEP_2) | instskip(SKIP_1) | instid1(SALU_CYCLE_1)
	v_cmp_eq_u64_e32 vcc_lo, 0, v[28:29]
	s_or_b32 s10, vcc_lo, s10
	s_and_not1_b32 exec_lo, exec_lo, s10
	s_cbranch_execz .LBB3_114
.LBB3_31:                               ; =>This Loop Header: Depth=1
                                        ;     Child Loop BB3_34 Depth 2
                                        ;     Child Loop BB3_42 Depth 2
	;; [unrolled: 1-line block ×11, first 2 shown]
	v_cmp_gt_u64_e32 vcc_lo, 56, v[28:29]
	s_mov_b32 s4, exec_lo
                                        ; implicit-def: $vgpr2_vgpr3
                                        ; implicit-def: $sgpr1
	v_dual_cndmask_b32 v31, 0, v29 :: v_dual_cndmask_b32 v30, 56, v28
	v_cmpx_gt_u64_e32 8, v[28:29]
	s_xor_b32 s4, exec_lo, s4
	s_cbranch_execz .LBB3_37
; %bb.32:                               ;   in Loop: Header=BB3_31 Depth=1
	s_waitcnt vmcnt(0)
	v_mov_b32_e32 v2, 0
	v_mov_b32_e32 v3, 0
	s_mov_b64 s[0:1], 0
	s_mov_b32 s5, exec_lo
	v_cmpx_ne_u64_e32 0, v[28:29]
	s_cbranch_execz .LBB3_36
; %bb.33:                               ;   in Loop: Header=BB3_31 Depth=1
	v_lshlrev_b64 v[12:13], 3, v[30:31]
	v_mov_b32_e32 v2, 0
	v_dual_mov_b32 v3, 0 :: v_dual_mov_b32 v8, v37
	s_mov_b32 s6, 0
.LBB3_34:                               ;   Parent Loop BB3_31 Depth=1
                                        ; =>  This Inner Loop Header: Depth=2
	scratch_load_u8 v13, v8, off
	v_mov_b32_e32 v14, s11
	v_add_nc_u32_e32 v8, 1, v8
	s_waitcnt vmcnt(0)
	v_and_b32_e32 v13, 0xffff, v13
	s_delay_alu instid0(VALU_DEP_1) | instskip(SKIP_3) | instid1(VALU_DEP_2)
	v_lshlrev_b64 v[13:14], s0, v[13:14]
	s_add_u32 s0, s0, 8
	s_addc_u32 s1, s1, 0
	v_cmp_eq_u32_e32 vcc_lo, s0, v12
	v_or_b32_e32 v3, v14, v3
	s_delay_alu instid0(VALU_DEP_3) | instskip(SKIP_1) | instid1(SALU_CYCLE_1)
	v_or_b32_e32 v2, v13, v2
	s_or_b32 s6, vcc_lo, s6
	s_and_not1_b32 exec_lo, exec_lo, s6
	s_cbranch_execnz .LBB3_34
; %bb.35:                               ;   in Loop: Header=BB3_31 Depth=1
	s_or_b32 exec_lo, exec_lo, s6
.LBB3_36:                               ;   in Loop: Header=BB3_31 Depth=1
	s_delay_alu instid0(SALU_CYCLE_1)
	s_or_b32 exec_lo, exec_lo, s5
	s_mov_b32 s1, 0
.LBB3_37:                               ;   in Loop: Header=BB3_31 Depth=1
	s_or_saveexec_b32 s0, s4
	v_mov_b32_e32 v14, s1
	v_mov_b32_e32 v8, v37
	s_xor_b32 exec_lo, exec_lo, s0
	s_cbranch_execz .LBB3_39
; %bb.38:                               ;   in Loop: Header=BB3_31 Depth=1
	scratch_load_b64 v[2:3], v37, off
	v_add_nc_u32_e32 v14, -8, v30
	s_waitcnt vmcnt(0)
	v_and_b32_e32 v8, 0xff, v3
	v_and_b32_e32 v12, 0xff00, v3
	;; [unrolled: 1-line block ×4, first 2 shown]
	v_or3_b32 v2, v2, 0, 0
	s_delay_alu instid0(VALU_DEP_4) | instskip(NEXT) | instid1(VALU_DEP_1)
	v_or_b32_e32 v8, v8, v12
	v_or3_b32 v3, v8, v13, v3
	v_add_nc_u32_e32 v8, 8, v37
.LBB3_39:                               ;   in Loop: Header=BB3_31 Depth=1
	s_or_b32 exec_lo, exec_lo, s0
                                        ; implicit-def: $vgpr12_vgpr13
                                        ; implicit-def: $sgpr1
	s_delay_alu instid0(SALU_CYCLE_1)
	s_mov_b32 s0, exec_lo
	v_cmpx_gt_u32_e32 8, v14
	s_xor_b32 s4, exec_lo, s0
	s_cbranch_execz .LBB3_45
; %bb.40:                               ;   in Loop: Header=BB3_31 Depth=1
	v_mov_b32_e32 v12, 0
	v_mov_b32_e32 v13, 0
	s_mov_b32 s5, exec_lo
	v_cmpx_ne_u32_e32 0, v14
	s_cbranch_execz .LBB3_44
; %bb.41:                               ;   in Loop: Header=BB3_31 Depth=1
	v_mov_b32_e32 v12, 0
	v_mov_b32_e32 v13, 0
	s_mov_b64 s[0:1], 0
	s_mov_b32 s6, 0
	s_mov_b32 s7, 0
	.p2align	6
.LBB3_42:                               ;   Parent Loop BB3_31 Depth=1
                                        ; =>  This Inner Loop Header: Depth=2
	s_delay_alu instid0(SALU_CYCLE_1) | instskip(SKIP_1) | instid1(SALU_CYCLE_1)
	v_dual_mov_b32 v16, s11 :: v_dual_add_nc_u32 v15, s7, v8
	s_add_i32 s7, s7, 1
	v_cmp_eq_u32_e32 vcc_lo, s7, v14
	scratch_load_u8 v15, v15, off
	s_waitcnt vmcnt(0)
	v_and_b32_e32 v15, 0xffff, v15
	s_delay_alu instid0(VALU_DEP_1) | instskip(SKIP_3) | instid1(VALU_DEP_1)
	v_lshlrev_b64 v[15:16], s0, v[15:16]
	s_add_u32 s0, s0, 8
	s_addc_u32 s1, s1, 0
	s_or_b32 s6, vcc_lo, s6
	v_or_b32_e32 v13, v16, v13
	s_delay_alu instid0(VALU_DEP_2)
	v_or_b32_e32 v12, v15, v12
	s_and_not1_b32 exec_lo, exec_lo, s6
	s_cbranch_execnz .LBB3_42
; %bb.43:                               ;   in Loop: Header=BB3_31 Depth=1
	s_or_b32 exec_lo, exec_lo, s6
.LBB3_44:                               ;   in Loop: Header=BB3_31 Depth=1
	s_delay_alu instid0(SALU_CYCLE_1)
	s_or_b32 exec_lo, exec_lo, s5
	s_mov_b32 s1, 0
                                        ; implicit-def: $vgpr14
.LBB3_45:                               ;   in Loop: Header=BB3_31 Depth=1
	s_or_saveexec_b32 s0, s4
	v_mov_b32_e32 v16, s1
	s_xor_b32 exec_lo, exec_lo, s0
	s_cbranch_execz .LBB3_47
; %bb.46:                               ;   in Loop: Header=BB3_31 Depth=1
	scratch_load_b64 v[12:13], v8, off
	v_add_nc_u32_e32 v8, 8, v8
	s_waitcnt vmcnt(0)
	v_and_b32_e32 v15, 0xff, v13
	v_and_b32_e32 v16, 0xff00, v13
	v_and_b32_e32 v17, 0xff0000, v13
	v_and_b32_e32 v13, 0xff000000, v13
	v_or3_b32 v12, v12, 0, 0
	s_delay_alu instid0(VALU_DEP_4) | instskip(SKIP_1) | instid1(VALU_DEP_2)
	v_or_b32_e32 v15, v15, v16
	v_add_nc_u32_e32 v16, -8, v14
	v_or3_b32 v13, v15, v17, v13
.LBB3_47:                               ;   in Loop: Header=BB3_31 Depth=1
	s_or_b32 exec_lo, exec_lo, s0
                                        ; implicit-def: $sgpr1
	s_delay_alu instid0(SALU_CYCLE_1) | instskip(NEXT) | instid1(VALU_DEP_1)
	s_mov_b32 s0, exec_lo
	v_cmpx_gt_u32_e32 8, v16
	s_xor_b32 s4, exec_lo, s0
	s_cbranch_execz .LBB3_53
; %bb.48:                               ;   in Loop: Header=BB3_31 Depth=1
	v_mov_b32_e32 v14, 0
	v_mov_b32_e32 v15, 0
	s_mov_b32 s5, exec_lo
	v_cmpx_ne_u32_e32 0, v16
	s_cbranch_execz .LBB3_52
; %bb.49:                               ;   in Loop: Header=BB3_31 Depth=1
	v_mov_b32_e32 v14, 0
	v_mov_b32_e32 v15, 0
	s_mov_b64 s[0:1], 0
	s_mov_b32 s6, 0
	s_mov_b32 s7, 0
	.p2align	6
.LBB3_50:                               ;   Parent Loop BB3_31 Depth=1
                                        ; =>  This Inner Loop Header: Depth=2
	s_delay_alu instid0(SALU_CYCLE_1) | instskip(SKIP_1) | instid1(SALU_CYCLE_1)
	v_dual_mov_b32 v18, s11 :: v_dual_add_nc_u32 v17, s7, v8
	s_add_i32 s7, s7, 1
	v_cmp_eq_u32_e32 vcc_lo, s7, v16
	scratch_load_u8 v17, v17, off
	s_waitcnt vmcnt(0)
	v_and_b32_e32 v17, 0xffff, v17
	s_delay_alu instid0(VALU_DEP_1) | instskip(SKIP_3) | instid1(VALU_DEP_1)
	v_lshlrev_b64 v[17:18], s0, v[17:18]
	s_add_u32 s0, s0, 8
	s_addc_u32 s1, s1, 0
	s_or_b32 s6, vcc_lo, s6
	v_or_b32_e32 v15, v18, v15
	s_delay_alu instid0(VALU_DEP_2)
	v_or_b32_e32 v14, v17, v14
	s_and_not1_b32 exec_lo, exec_lo, s6
	s_cbranch_execnz .LBB3_50
; %bb.51:                               ;   in Loop: Header=BB3_31 Depth=1
	s_or_b32 exec_lo, exec_lo, s6
.LBB3_52:                               ;   in Loop: Header=BB3_31 Depth=1
	s_delay_alu instid0(SALU_CYCLE_1)
	s_or_b32 exec_lo, exec_lo, s5
	s_mov_b32 s1, 0
                                        ; implicit-def: $vgpr16
.LBB3_53:                               ;   in Loop: Header=BB3_31 Depth=1
	s_or_saveexec_b32 s0, s4
	v_mov_b32_e32 v18, s1
	s_xor_b32 exec_lo, exec_lo, s0
	s_cbranch_execz .LBB3_55
; %bb.54:                               ;   in Loop: Header=BB3_31 Depth=1
	scratch_load_b64 v[14:15], v8, off
	v_add_nc_u32_e32 v8, 8, v8
	s_waitcnt vmcnt(0)
	v_and_b32_e32 v17, 0xff, v15
	v_and_b32_e32 v18, 0xff00, v15
	;; [unrolled: 1-line block ×4, first 2 shown]
	v_or3_b32 v14, v14, 0, 0
	s_delay_alu instid0(VALU_DEP_4) | instskip(SKIP_1) | instid1(VALU_DEP_2)
	v_or_b32_e32 v17, v17, v18
	v_add_nc_u32_e32 v18, -8, v16
	v_or3_b32 v15, v17, v19, v15
.LBB3_55:                               ;   in Loop: Header=BB3_31 Depth=1
	s_or_b32 exec_lo, exec_lo, s0
                                        ; implicit-def: $vgpr16_vgpr17
                                        ; implicit-def: $sgpr1
	s_delay_alu instid0(SALU_CYCLE_1) | instskip(NEXT) | instid1(VALU_DEP_1)
	s_mov_b32 s0, exec_lo
	v_cmpx_gt_u32_e32 8, v18
	s_xor_b32 s4, exec_lo, s0
	s_cbranch_execz .LBB3_61
; %bb.56:                               ;   in Loop: Header=BB3_31 Depth=1
	v_mov_b32_e32 v16, 0
	v_mov_b32_e32 v17, 0
	s_mov_b32 s5, exec_lo
	v_cmpx_ne_u32_e32 0, v18
	s_cbranch_execz .LBB3_60
; %bb.57:                               ;   in Loop: Header=BB3_31 Depth=1
	v_mov_b32_e32 v16, 0
	v_mov_b32_e32 v17, 0
	s_mov_b64 s[0:1], 0
	s_mov_b32 s6, 0
	s_mov_b32 s7, 0
	.p2align	6
.LBB3_58:                               ;   Parent Loop BB3_31 Depth=1
                                        ; =>  This Inner Loop Header: Depth=2
	s_delay_alu instid0(SALU_CYCLE_1) | instskip(SKIP_1) | instid1(SALU_CYCLE_1)
	v_dual_mov_b32 v20, s11 :: v_dual_add_nc_u32 v19, s7, v8
	s_add_i32 s7, s7, 1
	v_cmp_eq_u32_e32 vcc_lo, s7, v18
	scratch_load_u8 v19, v19, off
	s_waitcnt vmcnt(0)
	v_and_b32_e32 v19, 0xffff, v19
	s_delay_alu instid0(VALU_DEP_1) | instskip(SKIP_3) | instid1(VALU_DEP_1)
	v_lshlrev_b64 v[19:20], s0, v[19:20]
	s_add_u32 s0, s0, 8
	s_addc_u32 s1, s1, 0
	s_or_b32 s6, vcc_lo, s6
	v_or_b32_e32 v17, v20, v17
	s_delay_alu instid0(VALU_DEP_2)
	v_or_b32_e32 v16, v19, v16
	s_and_not1_b32 exec_lo, exec_lo, s6
	s_cbranch_execnz .LBB3_58
; %bb.59:                               ;   in Loop: Header=BB3_31 Depth=1
	s_or_b32 exec_lo, exec_lo, s6
.LBB3_60:                               ;   in Loop: Header=BB3_31 Depth=1
	s_delay_alu instid0(SALU_CYCLE_1)
	s_or_b32 exec_lo, exec_lo, s5
	s_mov_b32 s1, 0
                                        ; implicit-def: $vgpr18
.LBB3_61:                               ;   in Loop: Header=BB3_31 Depth=1
	s_or_saveexec_b32 s0, s4
	v_mov_b32_e32 v20, s1
	s_xor_b32 exec_lo, exec_lo, s0
	s_cbranch_execz .LBB3_63
; %bb.62:                               ;   in Loop: Header=BB3_31 Depth=1
	scratch_load_b64 v[16:17], v8, off
	v_add_nc_u32_e32 v8, 8, v8
	s_waitcnt vmcnt(0)
	v_and_b32_e32 v19, 0xff, v17
	v_and_b32_e32 v20, 0xff00, v17
	;; [unrolled: 1-line block ×4, first 2 shown]
	v_or3_b32 v16, v16, 0, 0
	s_delay_alu instid0(VALU_DEP_4) | instskip(SKIP_1) | instid1(VALU_DEP_2)
	v_or_b32_e32 v19, v19, v20
	v_add_nc_u32_e32 v20, -8, v18
	v_or3_b32 v17, v19, v21, v17
.LBB3_63:                               ;   in Loop: Header=BB3_31 Depth=1
	s_or_b32 exec_lo, exec_lo, s0
                                        ; implicit-def: $sgpr1
	s_delay_alu instid0(SALU_CYCLE_1) | instskip(NEXT) | instid1(VALU_DEP_1)
	s_mov_b32 s0, exec_lo
	v_cmpx_gt_u32_e32 8, v20
	s_xor_b32 s4, exec_lo, s0
	s_cbranch_execz .LBB3_69
; %bb.64:                               ;   in Loop: Header=BB3_31 Depth=1
	v_mov_b32_e32 v18, 0
	v_mov_b32_e32 v19, 0
	s_mov_b32 s5, exec_lo
	v_cmpx_ne_u32_e32 0, v20
	s_cbranch_execz .LBB3_68
; %bb.65:                               ;   in Loop: Header=BB3_31 Depth=1
	v_mov_b32_e32 v18, 0
	v_mov_b32_e32 v19, 0
	s_mov_b64 s[0:1], 0
	s_mov_b32 s6, 0
	s_mov_b32 s7, 0
	.p2align	6
.LBB3_66:                               ;   Parent Loop BB3_31 Depth=1
                                        ; =>  This Inner Loop Header: Depth=2
	s_delay_alu instid0(SALU_CYCLE_1) | instskip(SKIP_1) | instid1(SALU_CYCLE_1)
	v_dual_mov_b32 v22, s11 :: v_dual_add_nc_u32 v21, s7, v8
	s_add_i32 s7, s7, 1
	v_cmp_eq_u32_e32 vcc_lo, s7, v20
	scratch_load_u8 v21, v21, off
	s_waitcnt vmcnt(0)
	v_and_b32_e32 v21, 0xffff, v21
	s_delay_alu instid0(VALU_DEP_1) | instskip(SKIP_3) | instid1(VALU_DEP_1)
	v_lshlrev_b64 v[21:22], s0, v[21:22]
	s_add_u32 s0, s0, 8
	s_addc_u32 s1, s1, 0
	s_or_b32 s6, vcc_lo, s6
	v_or_b32_e32 v19, v22, v19
	s_delay_alu instid0(VALU_DEP_2)
	v_or_b32_e32 v18, v21, v18
	s_and_not1_b32 exec_lo, exec_lo, s6
	s_cbranch_execnz .LBB3_66
; %bb.67:                               ;   in Loop: Header=BB3_31 Depth=1
	s_or_b32 exec_lo, exec_lo, s6
.LBB3_68:                               ;   in Loop: Header=BB3_31 Depth=1
	s_delay_alu instid0(SALU_CYCLE_1)
	s_or_b32 exec_lo, exec_lo, s5
	s_mov_b32 s1, 0
                                        ; implicit-def: $vgpr20
.LBB3_69:                               ;   in Loop: Header=BB3_31 Depth=1
	s_or_saveexec_b32 s0, s4
	v_mov_b32_e32 v22, s1
	s_xor_b32 exec_lo, exec_lo, s0
	s_cbranch_execz .LBB3_71
; %bb.70:                               ;   in Loop: Header=BB3_31 Depth=1
	scratch_load_b64 v[18:19], v8, off
	v_add_nc_u32_e32 v8, 8, v8
	s_waitcnt vmcnt(0)
	v_and_b32_e32 v21, 0xff, v19
	v_and_b32_e32 v22, 0xff00, v19
	;; [unrolled: 1-line block ×4, first 2 shown]
	v_or3_b32 v18, v18, 0, 0
	s_delay_alu instid0(VALU_DEP_4) | instskip(SKIP_1) | instid1(VALU_DEP_2)
	v_or_b32_e32 v21, v21, v22
	v_add_nc_u32_e32 v22, -8, v20
	v_or3_b32 v19, v21, v23, v19
.LBB3_71:                               ;   in Loop: Header=BB3_31 Depth=1
	s_or_b32 exec_lo, exec_lo, s0
                                        ; implicit-def: $vgpr20_vgpr21
                                        ; implicit-def: $sgpr1
	s_delay_alu instid0(SALU_CYCLE_1) | instskip(NEXT) | instid1(VALU_DEP_1)
	s_mov_b32 s0, exec_lo
	v_cmpx_gt_u32_e32 8, v22
	s_xor_b32 s4, exec_lo, s0
	s_cbranch_execz .LBB3_77
; %bb.72:                               ;   in Loop: Header=BB3_31 Depth=1
	v_mov_b32_e32 v20, 0
	v_mov_b32_e32 v21, 0
	s_mov_b32 s5, exec_lo
	v_cmpx_ne_u32_e32 0, v22
	s_cbranch_execz .LBB3_76
; %bb.73:                               ;   in Loop: Header=BB3_31 Depth=1
	v_mov_b32_e32 v20, 0
	v_mov_b32_e32 v21, 0
	s_mov_b64 s[0:1], 0
	s_mov_b32 s6, 0
	s_mov_b32 s7, 0
	.p2align	6
.LBB3_74:                               ;   Parent Loop BB3_31 Depth=1
                                        ; =>  This Inner Loop Header: Depth=2
	s_delay_alu instid0(SALU_CYCLE_1) | instskip(SKIP_1) | instid1(SALU_CYCLE_1)
	v_dual_mov_b32 v24, s11 :: v_dual_add_nc_u32 v23, s7, v8
	s_add_i32 s7, s7, 1
	v_cmp_eq_u32_e32 vcc_lo, s7, v22
	scratch_load_u8 v23, v23, off
	s_waitcnt vmcnt(0)
	v_and_b32_e32 v23, 0xffff, v23
	s_delay_alu instid0(VALU_DEP_1) | instskip(SKIP_3) | instid1(VALU_DEP_1)
	v_lshlrev_b64 v[23:24], s0, v[23:24]
	s_add_u32 s0, s0, 8
	s_addc_u32 s1, s1, 0
	s_or_b32 s6, vcc_lo, s6
	v_or_b32_e32 v21, v24, v21
	s_delay_alu instid0(VALU_DEP_2)
	v_or_b32_e32 v20, v23, v20
	s_and_not1_b32 exec_lo, exec_lo, s6
	s_cbranch_execnz .LBB3_74
; %bb.75:                               ;   in Loop: Header=BB3_31 Depth=1
	s_or_b32 exec_lo, exec_lo, s6
.LBB3_76:                               ;   in Loop: Header=BB3_31 Depth=1
	s_delay_alu instid0(SALU_CYCLE_1)
	s_or_b32 exec_lo, exec_lo, s5
	s_mov_b32 s1, 0
                                        ; implicit-def: $vgpr22
.LBB3_77:                               ;   in Loop: Header=BB3_31 Depth=1
	s_or_saveexec_b32 s0, s4
	v_mov_b32_e32 v24, s1
	s_xor_b32 exec_lo, exec_lo, s0
	s_cbranch_execz .LBB3_79
; %bb.78:                               ;   in Loop: Header=BB3_31 Depth=1
	scratch_load_b64 v[20:21], v8, off
	v_add_nc_u32_e32 v8, 8, v8
	s_waitcnt vmcnt(0)
	v_and_b32_e32 v23, 0xff, v21
	v_and_b32_e32 v24, 0xff00, v21
	;; [unrolled: 1-line block ×4, first 2 shown]
	v_or3_b32 v20, v20, 0, 0
	s_delay_alu instid0(VALU_DEP_4) | instskip(SKIP_1) | instid1(VALU_DEP_2)
	v_or_b32_e32 v23, v23, v24
	v_add_nc_u32_e32 v24, -8, v22
	v_or3_b32 v21, v23, v25, v21
.LBB3_79:                               ;   in Loop: Header=BB3_31 Depth=1
	s_or_b32 exec_lo, exec_lo, s0
	s_delay_alu instid0(SALU_CYCLE_1) | instskip(NEXT) | instid1(VALU_DEP_1)
	s_mov_b32 s0, exec_lo
	v_cmpx_gt_u32_e32 8, v24
	s_xor_b32 s4, exec_lo, s0
	s_cbranch_execz .LBB3_85
; %bb.80:                               ;   in Loop: Header=BB3_31 Depth=1
	v_mov_b32_e32 v22, 0
	v_mov_b32_e32 v23, 0
	s_mov_b32 s5, exec_lo
	v_cmpx_ne_u32_e32 0, v24
	s_cbranch_execz .LBB3_84
; %bb.81:                               ;   in Loop: Header=BB3_31 Depth=1
	v_mov_b32_e32 v22, 0
	v_mov_b32_e32 v23, 0
	s_mov_b64 s[0:1], 0
	s_mov_b32 s6, 0
	.p2align	6
.LBB3_82:                               ;   Parent Loop BB3_31 Depth=1
                                        ; =>  This Inner Loop Header: Depth=2
	scratch_load_u8 v25, v8, off
	v_mov_b32_e32 v26, s11
	v_add_nc_u32_e32 v24, -1, v24
	v_add_nc_u32_e32 v8, 1, v8
	s_delay_alu instid0(VALU_DEP_2) | instskip(SKIP_2) | instid1(VALU_DEP_1)
	v_cmp_eq_u32_e32 vcc_lo, 0, v24
	s_waitcnt vmcnt(0)
	v_and_b32_e32 v25, 0xffff, v25
	v_lshlrev_b64 v[25:26], s0, v[25:26]
	s_add_u32 s0, s0, 8
	s_addc_u32 s1, s1, 0
	s_or_b32 s6, vcc_lo, s6
	s_delay_alu instid0(VALU_DEP_1) | instskip(NEXT) | instid1(VALU_DEP_2)
	v_or_b32_e32 v23, v26, v23
	v_or_b32_e32 v22, v25, v22
	s_and_not1_b32 exec_lo, exec_lo, s6
	s_cbranch_execnz .LBB3_82
; %bb.83:                               ;   in Loop: Header=BB3_31 Depth=1
	s_or_b32 exec_lo, exec_lo, s6
.LBB3_84:                               ;   in Loop: Header=BB3_31 Depth=1
	s_delay_alu instid0(SALU_CYCLE_1)
	s_or_b32 exec_lo, exec_lo, s5
                                        ; implicit-def: $vgpr8
.LBB3_85:                               ;   in Loop: Header=BB3_31 Depth=1
	s_and_not1_saveexec_b32 s0, s4
	s_cbranch_execz .LBB3_87
; %bb.86:                               ;   in Loop: Header=BB3_31 Depth=1
	scratch_load_b64 v[22:23], v8, off
	s_waitcnt vmcnt(0)
	v_and_b32_e32 v8, 0xff, v23
	v_and_b32_e32 v24, 0xff00, v23
	;; [unrolled: 1-line block ×4, first 2 shown]
	v_or3_b32 v22, v22, 0, 0
	s_delay_alu instid0(VALU_DEP_4) | instskip(NEXT) | instid1(VALU_DEP_1)
	v_or_b32_e32 v8, v8, v24
	v_or3_b32 v23, v8, v25, v23
.LBB3_87:                               ;   in Loop: Header=BB3_31 Depth=1
	s_or_b32 exec_lo, exec_lo, s0
	v_readfirstlane_b32 s0, v35
	v_mov_b32_e32 v32, 0
	v_mov_b32_e32 v33, 0
	s_delay_alu instid0(VALU_DEP_3) | instskip(NEXT) | instid1(VALU_DEP_1)
	v_cmp_eq_u32_e64 s0, s0, v35
	s_and_saveexec_b32 s1, s0
	s_cbranch_execz .LBB3_93
; %bb.88:                               ;   in Loop: Header=BB3_31 Depth=1
	global_load_b64 v[26:27], v9, s[2:3] offset:24 glc
	s_waitcnt vmcnt(0)
	buffer_gl1_inv
	buffer_gl0_inv
	s_clause 0x1
	global_load_b64 v[24:25], v9, s[2:3] offset:40
	global_load_b64 v[32:33], v9, s[2:3]
	s_mov_b32 s4, exec_lo
	s_waitcnt vmcnt(1)
	v_and_b32_e32 v8, v25, v27
	v_and_b32_e32 v24, v24, v26
	s_delay_alu instid0(VALU_DEP_2) | instskip(NEXT) | instid1(VALU_DEP_2)
	v_mul_lo_u32 v8, v8, 24
	v_mul_hi_u32 v25, v24, 24
	v_mul_lo_u32 v24, v24, 24
	s_delay_alu instid0(VALU_DEP_2) | instskip(SKIP_1) | instid1(VALU_DEP_2)
	v_add_nc_u32_e32 v8, v25, v8
	s_waitcnt vmcnt(0)
	v_add_co_u32 v24, vcc_lo, v32, v24
	s_delay_alu instid0(VALU_DEP_2)
	v_add_co_ci_u32_e32 v25, vcc_lo, v33, v8, vcc_lo
	global_load_b64 v[24:25], v[24:25], off glc
	s_waitcnt vmcnt(0)
	global_atomic_cmpswap_b64 v[32:33], v9, v[24:27], s[2:3] offset:24 glc
	s_waitcnt vmcnt(0)
	buffer_gl1_inv
	buffer_gl0_inv
	v_cmpx_ne_u64_e64 v[32:33], v[26:27]
	s_cbranch_execz .LBB3_92
; %bb.89:                               ;   in Loop: Header=BB3_31 Depth=1
	s_mov_b32 s5, 0
	.p2align	6
.LBB3_90:                               ;   Parent Loop BB3_31 Depth=1
                                        ; =>  This Inner Loop Header: Depth=2
	s_sleep 1
	s_clause 0x1
	global_load_b64 v[24:25], v9, s[2:3] offset:40
	global_load_b64 v[38:39], v9, s[2:3]
	v_dual_mov_b32 v26, v32 :: v_dual_mov_b32 v27, v33
	s_waitcnt vmcnt(1)
	s_delay_alu instid0(VALU_DEP_1) | instskip(SKIP_1) | instid1(VALU_DEP_1)
	v_and_b32_e32 v8, v24, v26
	s_waitcnt vmcnt(0)
	v_mad_u64_u32 v[32:33], null, v8, 24, v[38:39]
	v_and_b32_e32 v38, v25, v27
	s_delay_alu instid0(VALU_DEP_2) | instskip(NEXT) | instid1(VALU_DEP_1)
	v_mov_b32_e32 v8, v33
	v_mad_u64_u32 v[24:25], null, v38, 24, v[8:9]
	s_delay_alu instid0(VALU_DEP_1)
	v_mov_b32_e32 v33, v24
	global_load_b64 v[24:25], v[32:33], off glc
	s_waitcnt vmcnt(0)
	global_atomic_cmpswap_b64 v[32:33], v9, v[24:27], s[2:3] offset:24 glc
	s_waitcnt vmcnt(0)
	buffer_gl1_inv
	buffer_gl0_inv
	v_cmp_eq_u64_e32 vcc_lo, v[32:33], v[26:27]
	s_or_b32 s5, vcc_lo, s5
	s_delay_alu instid0(SALU_CYCLE_1)
	s_and_not1_b32 exec_lo, exec_lo, s5
	s_cbranch_execnz .LBB3_90
; %bb.91:                               ;   in Loop: Header=BB3_31 Depth=1
	s_or_b32 exec_lo, exec_lo, s5
.LBB3_92:                               ;   in Loop: Header=BB3_31 Depth=1
	s_delay_alu instid0(SALU_CYCLE_1)
	s_or_b32 exec_lo, exec_lo, s4
.LBB3_93:                               ;   in Loop: Header=BB3_31 Depth=1
	s_delay_alu instid0(SALU_CYCLE_1)
	s_or_b32 exec_lo, exec_lo, s1
	s_clause 0x1
	global_load_b64 v[38:39], v9, s[2:3] offset:40
	global_load_b128 v[24:27], v9, s[2:3]
	v_readfirstlane_b32 s4, v32
	v_readfirstlane_b32 s5, v33
	s_mov_b32 s1, exec_lo
	s_waitcnt vmcnt(1)
	v_readfirstlane_b32 s6, v38
	v_readfirstlane_b32 s7, v39
	s_delay_alu instid0(VALU_DEP_1) | instskip(NEXT) | instid1(SALU_CYCLE_1)
	s_and_b64 s[6:7], s[4:5], s[6:7]
	s_mul_i32 s12, s7, 24
	s_mul_hi_u32 s13, s6, 24
	s_mul_i32 s14, s6, 24
	s_add_i32 s13, s13, s12
	s_waitcnt vmcnt(0)
	v_add_co_u32 v32, vcc_lo, v24, s14
	v_add_co_ci_u32_e32 v33, vcc_lo, s13, v25, vcc_lo
	s_and_saveexec_b32 s12, s0
	s_cbranch_execz .LBB3_95
; %bb.94:                               ;   in Loop: Header=BB3_31 Depth=1
	v_mov_b32_e32 v8, s1
	global_store_b128 v[32:33], v[8:11], off offset:8
.LBB3_95:                               ;   in Loop: Header=BB3_31 Depth=1
	s_or_b32 exec_lo, exec_lo, s12
	v_cmp_lt_u64_e32 vcc_lo, 56, v[28:29]
	v_or_b32_e32 v8, 0, v1
	v_or_b32_e32 v38, v0, v36
	v_lshl_add_u32 v39, v30, 2, 28
	s_lshl_b64 s[6:7], s[6:7], 12
	s_delay_alu instid0(SALU_CYCLE_1) | instskip(NEXT) | instid1(VALU_DEP_1)
	v_add_co_u32 v26, s1, v26, s6
	v_add_co_ci_u32_e64 v27, s1, s7, v27, s1
	v_dual_cndmask_b32 v1, v8, v1 :: v_dual_cndmask_b32 v0, v38, v0
	v_and_b32_e32 v8, 0x1e0, v39
	s_delay_alu instid0(VALU_DEP_4) | instskip(NEXT) | instid1(VALU_DEP_4)
	v_readfirstlane_b32 s6, v26
	v_readfirstlane_b32 s7, v27
	s_delay_alu instid0(VALU_DEP_3)
	v_and_or_b32 v0, 0xffffff1f, v0, v8
	s_clause 0x3
	global_store_b128 v34, v[0:3], s[6:7]
	global_store_b128 v34, v[12:15], s[6:7] offset:16
	global_store_b128 v34, v[16:19], s[6:7] offset:32
	;; [unrolled: 1-line block ×3, first 2 shown]
	s_and_saveexec_b32 s1, s0
	s_cbranch_execz .LBB3_103
; %bb.96:                               ;   in Loop: Header=BB3_31 Depth=1
	s_clause 0x1
	global_load_b64 v[16:17], v9, s[2:3] offset:32 glc
	global_load_b64 v[0:1], v9, s[2:3] offset:40
	v_dual_mov_b32 v14, s4 :: v_dual_mov_b32 v15, s5
	s_waitcnt vmcnt(0)
	v_readfirstlane_b32 s6, v0
	v_readfirstlane_b32 s7, v1
	s_delay_alu instid0(VALU_DEP_1) | instskip(NEXT) | instid1(SALU_CYCLE_1)
	s_and_b64 s[6:7], s[6:7], s[4:5]
	s_mul_i32 s7, s7, 24
	s_mul_hi_u32 s12, s6, 24
	s_mul_i32 s6, s6, 24
	s_add_i32 s12, s12, s7
	v_add_co_u32 v12, vcc_lo, v24, s6
	v_add_co_ci_u32_e32 v13, vcc_lo, s12, v25, vcc_lo
	s_mov_b32 s6, exec_lo
	global_store_b64 v[12:13], v[16:17], off
	s_waitcnt_vscnt null, 0x0
	global_atomic_cmpswap_b64 v[2:3], v9, v[14:17], s[2:3] offset:32 glc
	s_waitcnt vmcnt(0)
	v_cmpx_ne_u64_e64 v[2:3], v[16:17]
	s_cbranch_execz .LBB3_99
; %bb.97:                               ;   in Loop: Header=BB3_31 Depth=1
	s_mov_b32 s7, 0
.LBB3_98:                               ;   Parent Loop BB3_31 Depth=1
                                        ; =>  This Inner Loop Header: Depth=2
	v_dual_mov_b32 v0, s4 :: v_dual_mov_b32 v1, s5
	s_sleep 1
	global_store_b64 v[12:13], v[2:3], off
	s_waitcnt_vscnt null, 0x0
	global_atomic_cmpswap_b64 v[0:1], v9, v[0:3], s[2:3] offset:32 glc
	s_waitcnt vmcnt(0)
	v_cmp_eq_u64_e32 vcc_lo, v[0:1], v[2:3]
	v_dual_mov_b32 v3, v1 :: v_dual_mov_b32 v2, v0
	s_or_b32 s7, vcc_lo, s7
	s_delay_alu instid0(SALU_CYCLE_1)
	s_and_not1_b32 exec_lo, exec_lo, s7
	s_cbranch_execnz .LBB3_98
.LBB3_99:                               ;   in Loop: Header=BB3_31 Depth=1
	s_or_b32 exec_lo, exec_lo, s6
	global_load_b64 v[0:1], v9, s[2:3] offset:16
	s_mov_b32 s7, exec_lo
	s_mov_b32 s6, exec_lo
	v_mbcnt_lo_u32_b32 v2, s7, 0
	s_delay_alu instid0(VALU_DEP_1)
	v_cmpx_eq_u32_e32 0, v2
	s_cbranch_execz .LBB3_101
; %bb.100:                              ;   in Loop: Header=BB3_31 Depth=1
	s_bcnt1_i32_b32 s7, s7
	s_delay_alu instid0(SALU_CYCLE_1)
	v_mov_b32_e32 v8, s7
	s_waitcnt vmcnt(0)
	global_atomic_add_u64 v[0:1], v[8:9], off offset:8
.LBB3_101:                              ;   in Loop: Header=BB3_31 Depth=1
	s_or_b32 exec_lo, exec_lo, s6
	s_waitcnt vmcnt(0)
	global_load_b64 v[2:3], v[0:1], off offset:16
	s_waitcnt vmcnt(0)
	v_cmp_eq_u64_e32 vcc_lo, 0, v[2:3]
	s_cbranch_vccnz .LBB3_103
; %bb.102:                              ;   in Loop: Header=BB3_31 Depth=1
	global_load_b32 v8, v[0:1], off offset:24
	s_waitcnt vmcnt(0)
	v_and_b32_e32 v0, 0xffffff, v8
	s_waitcnt_vscnt null, 0x0
	global_store_b64 v[2:3], v[8:9], off
	v_readfirstlane_b32 m0, v0
	s_sendmsg sendmsg(MSG_INTERRUPT)
.LBB3_103:                              ;   in Loop: Header=BB3_31 Depth=1
	s_or_b32 exec_lo, exec_lo, s1
	v_add_co_u32 v0, vcc_lo, v26, v34
	v_add_co_ci_u32_e32 v1, vcc_lo, 0, v27, vcc_lo
	s_branch .LBB3_107
	.p2align	6
.LBB3_104:                              ;   in Loop: Header=BB3_107 Depth=2
	s_or_b32 exec_lo, exec_lo, s1
	s_delay_alu instid0(VALU_DEP_1) | instskip(NEXT) | instid1(VALU_DEP_1)
	v_readfirstlane_b32 s1, v2
	s_cmp_eq_u32 s1, 0
	s_cbranch_scc1 .LBB3_106
; %bb.105:                              ;   in Loop: Header=BB3_107 Depth=2
	s_sleep 1
	s_cbranch_execnz .LBB3_107
	s_branch .LBB3_109
	.p2align	6
.LBB3_106:                              ;   in Loop: Header=BB3_31 Depth=1
	s_branch .LBB3_109
.LBB3_107:                              ;   Parent Loop BB3_31 Depth=1
                                        ; =>  This Inner Loop Header: Depth=2
	v_mov_b32_e32 v2, 1
	s_and_saveexec_b32 s1, s0
	s_cbranch_execz .LBB3_104
; %bb.108:                              ;   in Loop: Header=BB3_107 Depth=2
	global_load_b32 v2, v[32:33], off offset:20 glc
	s_waitcnt vmcnt(0)
	buffer_gl1_inv
	buffer_gl0_inv
	v_and_b32_e32 v2, 1, v2
	s_branch .LBB3_104
.LBB3_109:                              ;   in Loop: Header=BB3_31 Depth=1
	global_load_b128 v[0:3], v[0:1], off
	s_and_saveexec_b32 s1, s0
	s_cbranch_execz .LBB3_30
; %bb.110:                              ;   in Loop: Header=BB3_31 Depth=1
	s_clause 0x2
	global_load_b64 v[2:3], v9, s[2:3] offset:40
	global_load_b64 v[16:17], v9, s[2:3] offset:24 glc
	global_load_b64 v[14:15], v9, s[2:3]
	s_waitcnt vmcnt(2)
	v_add_co_u32 v8, vcc_lo, v2, 1
	v_add_co_ci_u32_e32 v18, vcc_lo, 0, v3, vcc_lo
	s_delay_alu instid0(VALU_DEP_2) | instskip(NEXT) | instid1(VALU_DEP_2)
	v_add_co_u32 v12, vcc_lo, v8, s4
	v_add_co_ci_u32_e32 v13, vcc_lo, s5, v18, vcc_lo
	s_delay_alu instid0(VALU_DEP_1) | instskip(SKIP_1) | instid1(VALU_DEP_1)
	v_cmp_eq_u64_e32 vcc_lo, 0, v[12:13]
	v_dual_cndmask_b32 v13, v13, v18 :: v_dual_cndmask_b32 v12, v12, v8
	v_and_b32_e32 v3, v13, v3
	s_delay_alu instid0(VALU_DEP_2) | instskip(NEXT) | instid1(VALU_DEP_1)
	v_and_b32_e32 v2, v12, v2
	v_mul_hi_u32 v8, v2, 24
	v_mul_lo_u32 v2, v2, 24
	s_waitcnt vmcnt(0)
	s_delay_alu instid0(VALU_DEP_1) | instskip(SKIP_2) | instid1(VALU_DEP_1)
	v_add_co_u32 v2, vcc_lo, v14, v2
	v_mov_b32_e32 v14, v16
	v_mul_lo_u32 v3, v3, 24
	v_add_nc_u32_e32 v3, v8, v3
	s_delay_alu instid0(VALU_DEP_1)
	v_add_co_ci_u32_e32 v3, vcc_lo, v15, v3, vcc_lo
	v_mov_b32_e32 v15, v17
	global_store_b64 v[2:3], v[16:17], off
	s_waitcnt_vscnt null, 0x0
	global_atomic_cmpswap_b64 v[14:15], v9, v[12:15], s[2:3] offset:24 glc
	s_waitcnt vmcnt(0)
	v_cmp_ne_u64_e32 vcc_lo, v[14:15], v[16:17]
	s_and_b32 exec_lo, exec_lo, vcc_lo
	s_cbranch_execz .LBB3_30
; %bb.111:                              ;   in Loop: Header=BB3_31 Depth=1
	s_mov_b32 s0, 0
.LBB3_112:                              ;   Parent Loop BB3_31 Depth=1
                                        ; =>  This Inner Loop Header: Depth=2
	s_sleep 1
	global_store_b64 v[2:3], v[14:15], off
	s_waitcnt_vscnt null, 0x0
	global_atomic_cmpswap_b64 v[16:17], v9, v[12:15], s[2:3] offset:24 glc
	s_waitcnt vmcnt(0)
	v_cmp_eq_u64_e32 vcc_lo, v[16:17], v[14:15]
	v_dual_mov_b32 v14, v16 :: v_dual_mov_b32 v15, v17
	s_or_b32 s0, vcc_lo, s0
	s_delay_alu instid0(SALU_CYCLE_1)
	s_and_not1_b32 exec_lo, exec_lo, s0
	s_cbranch_execnz .LBB3_112
	s_branch .LBB3_30
.LBB3_113:
                                        ; implicit-def: $vgpr0_vgpr1
	s_cbranch_execnz .LBB3_115
	s_branch .LBB3_142
.LBB3_114:
	s_or_b32 exec_lo, exec_lo, s10
	s_branch .LBB3_142
.LBB3_115:
	v_readfirstlane_b32 s0, v35
	v_mov_b32_e32 v9, 0
	v_mov_b32_e32 v10, 0
	s_delay_alu instid0(VALU_DEP_3) | instskip(NEXT) | instid1(VALU_DEP_1)
	v_cmp_eq_u32_e64 s0, s0, v35
	s_and_saveexec_b32 s1, s0
	s_cbranch_execz .LBB3_121
; %bb.116:
	s_waitcnt vmcnt(0)
	v_mov_b32_e32 v0, 0
	s_mov_b32 s4, exec_lo
	global_load_b64 v[11:12], v0, s[2:3] offset:24 glc
	s_waitcnt vmcnt(0)
	buffer_gl1_inv
	buffer_gl0_inv
	s_clause 0x1
	global_load_b64 v[1:2], v0, s[2:3] offset:40
	global_load_b64 v[8:9], v0, s[2:3]
	s_waitcnt vmcnt(1)
	v_and_b32_e32 v1, v1, v11
	v_and_b32_e32 v2, v2, v12
	s_delay_alu instid0(VALU_DEP_2) | instskip(NEXT) | instid1(VALU_DEP_2)
	v_mul_hi_u32 v3, v1, 24
	v_mul_lo_u32 v2, v2, 24
	v_mul_lo_u32 v1, v1, 24
	s_delay_alu instid0(VALU_DEP_2) | instskip(SKIP_1) | instid1(VALU_DEP_2)
	v_add_nc_u32_e32 v2, v3, v2
	s_waitcnt vmcnt(0)
	v_add_co_u32 v1, vcc_lo, v8, v1
	s_delay_alu instid0(VALU_DEP_2)
	v_add_co_ci_u32_e32 v2, vcc_lo, v9, v2, vcc_lo
	global_load_b64 v[9:10], v[1:2], off glc
	s_waitcnt vmcnt(0)
	global_atomic_cmpswap_b64 v[9:10], v0, v[9:12], s[2:3] offset:24 glc
	s_waitcnt vmcnt(0)
	buffer_gl1_inv
	buffer_gl0_inv
	v_cmpx_ne_u64_e64 v[9:10], v[11:12]
	s_cbranch_execz .LBB3_120
; %bb.117:
	s_mov_b32 s5, 0
	.p2align	6
.LBB3_118:                              ; =>This Inner Loop Header: Depth=1
	s_sleep 1
	s_clause 0x1
	global_load_b64 v[1:2], v0, s[2:3] offset:40
	global_load_b64 v[13:14], v0, s[2:3]
	v_dual_mov_b32 v12, v10 :: v_dual_mov_b32 v11, v9
	s_waitcnt vmcnt(1)
	s_delay_alu instid0(VALU_DEP_1) | instskip(SKIP_1) | instid1(VALU_DEP_1)
	v_and_b32_e32 v1, v1, v11
	s_waitcnt vmcnt(0)
	v_mad_u64_u32 v[8:9], null, v1, 24, v[13:14]
	s_delay_alu instid0(VALU_DEP_1) | instskip(NEXT) | instid1(VALU_DEP_1)
	v_dual_mov_b32 v1, v9 :: v_dual_and_b32 v10, v2, v12
	v_mad_u64_u32 v[2:3], null, v10, 24, v[1:2]
	s_delay_alu instid0(VALU_DEP_1)
	v_mov_b32_e32 v9, v2
	global_load_b64 v[9:10], v[8:9], off glc
	s_waitcnt vmcnt(0)
	global_atomic_cmpswap_b64 v[9:10], v0, v[9:12], s[2:3] offset:24 glc
	s_waitcnt vmcnt(0)
	buffer_gl1_inv
	buffer_gl0_inv
	v_cmp_eq_u64_e32 vcc_lo, v[9:10], v[11:12]
	s_or_b32 s5, vcc_lo, s5
	s_delay_alu instid0(SALU_CYCLE_1)
	s_and_not1_b32 exec_lo, exec_lo, s5
	s_cbranch_execnz .LBB3_118
; %bb.119:
	s_or_b32 exec_lo, exec_lo, s5
.LBB3_120:
	s_delay_alu instid0(SALU_CYCLE_1)
	s_or_b32 exec_lo, exec_lo, s4
.LBB3_121:
	s_delay_alu instid0(SALU_CYCLE_1)
	s_or_b32 exec_lo, exec_lo, s1
	v_mov_b32_e32 v8, 0
	v_readfirstlane_b32 s4, v9
	v_readfirstlane_b32 s5, v10
	s_mov_b32 s1, exec_lo
	s_clause 0x1
	global_load_b64 v[11:12], v8, s[2:3] offset:40
	global_load_b128 v[0:3], v8, s[2:3]
	s_waitcnt vmcnt(1)
	v_readfirstlane_b32 s6, v11
	v_readfirstlane_b32 s7, v12
	s_delay_alu instid0(VALU_DEP_1) | instskip(NEXT) | instid1(SALU_CYCLE_1)
	s_and_b64 s[6:7], s[4:5], s[6:7]
	s_mul_i32 s10, s7, 24
	s_mul_hi_u32 s11, s6, 24
	s_mul_i32 s12, s6, 24
	s_add_i32 s11, s11, s10
	s_waitcnt vmcnt(0)
	v_add_co_u32 v10, vcc_lo, v0, s12
	v_add_co_ci_u32_e32 v11, vcc_lo, s11, v1, vcc_lo
	s_and_saveexec_b32 s10, s0
	s_cbranch_execz .LBB3_123
; %bb.122:
	v_dual_mov_b32 v12, s1 :: v_dual_mov_b32 v13, v8
	v_dual_mov_b32 v14, 2 :: v_dual_mov_b32 v15, 1
	global_store_b128 v[10:11], v[12:15], off offset:8
.LBB3_123:
	s_or_b32 exec_lo, exec_lo, s10
	s_lshl_b64 s[6:7], s[6:7], 12
	s_mov_b32 s12, 0
	v_add_co_u32 v2, vcc_lo, v2, s6
	v_add_co_ci_u32_e32 v3, vcc_lo, s7, v3, vcc_lo
	s_mov_b32 s15, s12
	s_delay_alu instid0(VALU_DEP_2)
	v_add_co_u32 v12, vcc_lo, v2, v34
	s_mov_b32 s13, s12
	s_mov_b32 s14, s12
	v_and_or_b32 v6, 0xffffff1f, v6, 32
	v_mov_b32_e32 v9, v8
	v_readfirstlane_b32 s6, v2
	v_readfirstlane_b32 s7, v3
	v_dual_mov_b32 v17, s15 :: v_dual_mov_b32 v14, s12
	v_add_co_ci_u32_e32 v13, vcc_lo, 0, v3, vcc_lo
	v_dual_mov_b32 v16, s14 :: v_dual_mov_b32 v15, s13
	s_clause 0x3
	global_store_b128 v34, v[6:9], s[6:7]
	global_store_b128 v34, v[14:17], s[6:7] offset:16
	global_store_b128 v34, v[14:17], s[6:7] offset:32
	;; [unrolled: 1-line block ×3, first 2 shown]
	s_and_saveexec_b32 s1, s0
	s_cbranch_execz .LBB3_131
; %bb.124:
	v_dual_mov_b32 v8, 0 :: v_dual_mov_b32 v15, s5
	v_mov_b32_e32 v14, s4
	s_clause 0x1
	global_load_b64 v[16:17], v8, s[2:3] offset:32 glc
	global_load_b64 v[2:3], v8, s[2:3] offset:40
	s_waitcnt vmcnt(0)
	v_readfirstlane_b32 s6, v2
	v_readfirstlane_b32 s7, v3
	s_delay_alu instid0(VALU_DEP_1) | instskip(NEXT) | instid1(SALU_CYCLE_1)
	s_and_b64 s[6:7], s[6:7], s[4:5]
	s_mul_i32 s7, s7, 24
	s_mul_hi_u32 s10, s6, 24
	s_mul_i32 s6, s6, 24
	s_add_i32 s10, s10, s7
	v_add_co_u32 v6, vcc_lo, v0, s6
	v_add_co_ci_u32_e32 v7, vcc_lo, s10, v1, vcc_lo
	s_mov_b32 s6, exec_lo
	global_store_b64 v[6:7], v[16:17], off
	s_waitcnt_vscnt null, 0x0
	global_atomic_cmpswap_b64 v[2:3], v8, v[14:17], s[2:3] offset:32 glc
	s_waitcnt vmcnt(0)
	v_cmpx_ne_u64_e64 v[2:3], v[16:17]
	s_cbranch_execz .LBB3_127
; %bb.125:
	s_mov_b32 s7, 0
.LBB3_126:                              ; =>This Inner Loop Header: Depth=1
	v_dual_mov_b32 v0, s4 :: v_dual_mov_b32 v1, s5
	s_sleep 1
	global_store_b64 v[6:7], v[2:3], off
	s_waitcnt_vscnt null, 0x0
	global_atomic_cmpswap_b64 v[0:1], v8, v[0:3], s[2:3] offset:32 glc
	s_waitcnt vmcnt(0)
	v_cmp_eq_u64_e32 vcc_lo, v[0:1], v[2:3]
	v_dual_mov_b32 v3, v1 :: v_dual_mov_b32 v2, v0
	s_or_b32 s7, vcc_lo, s7
	s_delay_alu instid0(SALU_CYCLE_1)
	s_and_not1_b32 exec_lo, exec_lo, s7
	s_cbranch_execnz .LBB3_126
.LBB3_127:
	s_or_b32 exec_lo, exec_lo, s6
	v_mov_b32_e32 v3, 0
	s_mov_b32 s7, exec_lo
	s_mov_b32 s6, exec_lo
	v_mbcnt_lo_u32_b32 v2, s7, 0
	global_load_b64 v[0:1], v3, s[2:3] offset:16
	v_cmpx_eq_u32_e32 0, v2
	s_cbranch_execz .LBB3_129
; %bb.128:
	s_bcnt1_i32_b32 s7, s7
	s_delay_alu instid0(SALU_CYCLE_1)
	v_mov_b32_e32 v2, s7
	s_waitcnt vmcnt(0)
	global_atomic_add_u64 v[0:1], v[2:3], off offset:8
.LBB3_129:
	s_or_b32 exec_lo, exec_lo, s6
	s_waitcnt vmcnt(0)
	global_load_b64 v[2:3], v[0:1], off offset:16
	s_waitcnt vmcnt(0)
	v_cmp_eq_u64_e32 vcc_lo, 0, v[2:3]
	s_cbranch_vccnz .LBB3_131
; %bb.130:
	global_load_b32 v0, v[0:1], off offset:24
	s_waitcnt vmcnt(0)
	v_dual_mov_b32 v1, 0 :: v_dual_and_b32 v6, 0xffffff, v0
	s_waitcnt_vscnt null, 0x0
	global_store_b64 v[2:3], v[0:1], off
	v_readfirstlane_b32 m0, v6
	s_sendmsg sendmsg(MSG_INTERRUPT)
.LBB3_131:
	s_or_b32 exec_lo, exec_lo, s1
	s_branch .LBB3_135
	.p2align	6
.LBB3_132:                              ;   in Loop: Header=BB3_135 Depth=1
	s_or_b32 exec_lo, exec_lo, s1
	s_delay_alu instid0(VALU_DEP_1) | instskip(NEXT) | instid1(VALU_DEP_1)
	v_readfirstlane_b32 s1, v0
	s_cmp_eq_u32 s1, 0
	s_cbranch_scc1 .LBB3_134
; %bb.133:                              ;   in Loop: Header=BB3_135 Depth=1
	s_sleep 1
	s_cbranch_execnz .LBB3_135
	s_branch .LBB3_137
	.p2align	6
.LBB3_134:
	s_branch .LBB3_137
.LBB3_135:                              ; =>This Inner Loop Header: Depth=1
	v_mov_b32_e32 v0, 1
	s_and_saveexec_b32 s1, s0
	s_cbranch_execz .LBB3_132
; %bb.136:                              ;   in Loop: Header=BB3_135 Depth=1
	global_load_b32 v0, v[10:11], off offset:20 glc
	s_waitcnt vmcnt(0)
	buffer_gl1_inv
	buffer_gl0_inv
	v_and_b32_e32 v0, 1, v0
	s_branch .LBB3_132
.LBB3_137:
	global_load_b64 v[0:1], v[12:13], off
	s_and_saveexec_b32 s1, s0
	s_cbranch_execz .LBB3_141
; %bb.138:
	v_mov_b32_e32 v10, 0
	s_clause 0x2
	global_load_b64 v[2:3], v10, s[2:3] offset:40
	global_load_b64 v[11:12], v10, s[2:3] offset:24 glc
	global_load_b64 v[8:9], v10, s[2:3]
	s_waitcnt vmcnt(2)
	v_add_co_u32 v13, vcc_lo, v2, 1
	v_add_co_ci_u32_e32 v14, vcc_lo, 0, v3, vcc_lo
	s_delay_alu instid0(VALU_DEP_2) | instskip(NEXT) | instid1(VALU_DEP_2)
	v_add_co_u32 v6, vcc_lo, v13, s4
	v_add_co_ci_u32_e32 v7, vcc_lo, s5, v14, vcc_lo
	s_delay_alu instid0(VALU_DEP_1) | instskip(SKIP_1) | instid1(VALU_DEP_1)
	v_cmp_eq_u64_e32 vcc_lo, 0, v[6:7]
	v_dual_cndmask_b32 v7, v7, v14 :: v_dual_cndmask_b32 v6, v6, v13
	v_and_b32_e32 v3, v7, v3
	s_delay_alu instid0(VALU_DEP_2) | instskip(NEXT) | instid1(VALU_DEP_2)
	v_and_b32_e32 v2, v6, v2
	v_mul_lo_u32 v3, v3, 24
	s_delay_alu instid0(VALU_DEP_2) | instskip(SKIP_1) | instid1(VALU_DEP_2)
	v_mul_hi_u32 v13, v2, 24
	v_mul_lo_u32 v2, v2, 24
	v_add_nc_u32_e32 v3, v13, v3
	s_waitcnt vmcnt(0)
	s_delay_alu instid0(VALU_DEP_2) | instskip(SKIP_1) | instid1(VALU_DEP_3)
	v_add_co_u32 v2, vcc_lo, v8, v2
	v_mov_b32_e32 v8, v11
	v_add_co_ci_u32_e32 v3, vcc_lo, v9, v3, vcc_lo
	v_mov_b32_e32 v9, v12
	global_store_b64 v[2:3], v[11:12], off
	s_waitcnt_vscnt null, 0x0
	global_atomic_cmpswap_b64 v[8:9], v10, v[6:9], s[2:3] offset:24 glc
	s_waitcnt vmcnt(0)
	v_cmp_ne_u64_e32 vcc_lo, v[8:9], v[11:12]
	s_and_b32 exec_lo, exec_lo, vcc_lo
	s_cbranch_execz .LBB3_141
; %bb.139:
	s_mov_b32 s0, 0
.LBB3_140:                              ; =>This Inner Loop Header: Depth=1
	s_sleep 1
	global_store_b64 v[2:3], v[8:9], off
	s_waitcnt_vscnt null, 0x0
	global_atomic_cmpswap_b64 v[11:12], v10, v[6:9], s[2:3] offset:24 glc
	s_waitcnt vmcnt(0)
	v_cmp_eq_u64_e32 vcc_lo, v[11:12], v[8:9]
	v_dual_mov_b32 v8, v11 :: v_dual_mov_b32 v9, v12
	s_or_b32 s0, vcc_lo, s0
	s_delay_alu instid0(SALU_CYCLE_1)
	s_and_not1_b32 exec_lo, exec_lo, s0
	s_cbranch_execnz .LBB3_140
.LBB3_141:
	s_or_b32 exec_lo, exec_lo, s1
.LBB3_142:
	s_getpc_b64 s[4:5]
	s_add_u32 s4, s4, .str.3@rel32@lo+4
	s_addc_u32 s5, s5, .str.3@rel32@hi+12
	s_delay_alu instid0(SALU_CYCLE_1)
	s_cmp_lg_u64 s[4:5], 0
	s_cbranch_scc0 .LBB3_220
; %bb.143:
	s_getpc_b64 s[0:1]
	s_add_u32 s0, s0, .str.3@rel32@lo+80
	s_addc_u32 s1, s1, .str.3@rel32@hi+88
	s_waitcnt vmcnt(0)
	v_dual_mov_b32 v10, 0 :: v_dual_and_b32 v33, 2, v0
	v_dual_mov_b32 v7, v1 :: v_dual_and_b32 v6, -3, v0
	v_dual_mov_b32 v11, 2 :: v_dual_mov_b32 v12, 1
	s_sub_i32 s6, s0, s4
	s_delay_alu instid0(SALU_CYCLE_1)
	s_ashr_i32 s7, s6, 31
	s_branch .LBB3_145
.LBB3_144:                              ;   in Loop: Header=BB3_145 Depth=1
	s_or_b32 exec_lo, exec_lo, s1
	s_sub_u32 s6, s6, s10
	s_subb_u32 s7, s7, s11
	s_add_u32 s4, s4, s10
	s_addc_u32 s5, s5, s11
	s_cmp_lg_u64 s[6:7], 0
	s_cbranch_scc0 .LBB3_221
.LBB3_145:                              ; =>This Loop Header: Depth=1
                                        ;     Child Loop BB3_154 Depth 2
                                        ;     Child Loop BB3_150 Depth 2
	;; [unrolled: 1-line block ×11, first 2 shown]
	v_cmp_lt_u64_e64 s0, s[6:7], 56
	v_cmp_gt_u64_e64 s1, s[6:7], 7
                                        ; implicit-def: $vgpr15_vgpr16
                                        ; implicit-def: $sgpr16
	s_delay_alu instid0(VALU_DEP_2) | instskip(SKIP_2) | instid1(VALU_DEP_1)
	s_and_b32 s0, s0, exec_lo
	s_cselect_b32 s11, s7, 0
	s_cselect_b32 s10, s6, 56
	s_and_b32 vcc_lo, exec_lo, s1
	s_mov_b32 s0, -1
	s_cbranch_vccz .LBB3_152
; %bb.146:                              ;   in Loop: Header=BB3_145 Depth=1
	s_and_not1_b32 vcc_lo, exec_lo, s0
	s_mov_b64 s[0:1], s[4:5]
	s_cbranch_vccz .LBB3_156
.LBB3_147:                              ;   in Loop: Header=BB3_145 Depth=1
	s_cmp_gt_u32 s16, 7
	s_cbranch_scc1 .LBB3_157
.LBB3_148:                              ;   in Loop: Header=BB3_145 Depth=1
	v_mov_b32_e32 v17, 0
	v_mov_b32_e32 v18, 0
	s_cmp_eq_u32 s16, 0
	s_cbranch_scc1 .LBB3_151
; %bb.149:                              ;   in Loop: Header=BB3_145 Depth=1
	s_mov_b64 s[12:13], 0
	s_mov_b64 s[14:15], 0
.LBB3_150:                              ;   Parent Loop BB3_145 Depth=1
                                        ; =>  This Inner Loop Header: Depth=2
	s_delay_alu instid0(SALU_CYCLE_1)
	s_add_u32 s18, s0, s14
	s_addc_u32 s19, s1, s15
	s_add_u32 s14, s14, 1
	global_load_u8 v2, v10, s[18:19]
	s_addc_u32 s15, s15, 0
	s_waitcnt vmcnt(0)
	v_and_b32_e32 v9, 0xffff, v2
	s_delay_alu instid0(VALU_DEP_1) | instskip(SKIP_3) | instid1(VALU_DEP_1)
	v_lshlrev_b64 v[2:3], s12, v[9:10]
	s_add_u32 s12, s12, 8
	s_addc_u32 s13, s13, 0
	s_cmp_lg_u32 s16, s14
	v_or_b32_e32 v17, v2, v17
	s_delay_alu instid0(VALU_DEP_2)
	v_or_b32_e32 v18, v3, v18
	s_cbranch_scc1 .LBB3_150
.LBB3_151:                              ;   in Loop: Header=BB3_145 Depth=1
	s_mov_b32 s17, 0
	s_cbranch_execz .LBB3_158
	s_branch .LBB3_159
.LBB3_152:                              ;   in Loop: Header=BB3_145 Depth=1
	v_mov_b32_e32 v15, 0
	v_mov_b32_e32 v16, 0
	s_cmp_eq_u64 s[6:7], 0
	s_mov_b64 s[0:1], 0
	s_cbranch_scc1 .LBB3_155
; %bb.153:                              ;   in Loop: Header=BB3_145 Depth=1
	v_mov_b32_e32 v15, 0
	v_mov_b32_e32 v16, 0
	s_lshl_b64 s[12:13], s[10:11], 3
	s_mov_b64 s[14:15], s[4:5]
.LBB3_154:                              ;   Parent Loop BB3_145 Depth=1
                                        ; =>  This Inner Loop Header: Depth=2
	global_load_u8 v2, v10, s[14:15]
	s_waitcnt vmcnt(0)
	v_and_b32_e32 v9, 0xffff, v2
	s_delay_alu instid0(VALU_DEP_1)
	v_lshlrev_b64 v[2:3], s0, v[9:10]
	s_add_u32 s0, s0, 8
	s_addc_u32 s1, s1, 0
	s_add_u32 s14, s14, 1
	s_addc_u32 s15, s15, 0
	s_cmp_lg_u32 s12, s0
	v_or_b32_e32 v15, v2, v15
	v_or_b32_e32 v16, v3, v16
	s_cbranch_scc1 .LBB3_154
.LBB3_155:                              ;   in Loop: Header=BB3_145 Depth=1
	s_mov_b32 s16, 0
	s_mov_b64 s[0:1], s[4:5]
	s_cbranch_execnz .LBB3_147
.LBB3_156:                              ;   in Loop: Header=BB3_145 Depth=1
	global_load_b64 v[15:16], v10, s[4:5]
	s_add_i32 s16, s10, -8
	s_add_u32 s0, s4, 8
	s_addc_u32 s1, s5, 0
	s_cmp_gt_u32 s16, 7
	s_cbranch_scc0 .LBB3_148
.LBB3_157:                              ;   in Loop: Header=BB3_145 Depth=1
                                        ; implicit-def: $vgpr17_vgpr18
                                        ; implicit-def: $sgpr17
.LBB3_158:                              ;   in Loop: Header=BB3_145 Depth=1
	global_load_b64 v[17:18], v10, s[0:1]
	s_add_i32 s17, s16, -8
	s_add_u32 s0, s0, 8
	s_addc_u32 s1, s1, 0
.LBB3_159:                              ;   in Loop: Header=BB3_145 Depth=1
	s_cmp_gt_u32 s17, 7
	s_cbranch_scc1 .LBB3_164
; %bb.160:                              ;   in Loop: Header=BB3_145 Depth=1
	v_mov_b32_e32 v19, 0
	v_mov_b32_e32 v20, 0
	s_cmp_eq_u32 s17, 0
	s_cbranch_scc1 .LBB3_163
; %bb.161:                              ;   in Loop: Header=BB3_145 Depth=1
	s_mov_b64 s[12:13], 0
	s_mov_b64 s[14:15], 0
.LBB3_162:                              ;   Parent Loop BB3_145 Depth=1
                                        ; =>  This Inner Loop Header: Depth=2
	s_delay_alu instid0(SALU_CYCLE_1)
	s_add_u32 s18, s0, s14
	s_addc_u32 s19, s1, s15
	s_add_u32 s14, s14, 1
	global_load_u8 v2, v10, s[18:19]
	s_addc_u32 s15, s15, 0
	s_waitcnt vmcnt(0)
	v_and_b32_e32 v9, 0xffff, v2
	s_delay_alu instid0(VALU_DEP_1) | instskip(SKIP_3) | instid1(VALU_DEP_1)
	v_lshlrev_b64 v[2:3], s12, v[9:10]
	s_add_u32 s12, s12, 8
	s_addc_u32 s13, s13, 0
	s_cmp_lg_u32 s17, s14
	v_or_b32_e32 v19, v2, v19
	s_delay_alu instid0(VALU_DEP_2)
	v_or_b32_e32 v20, v3, v20
	s_cbranch_scc1 .LBB3_162
.LBB3_163:                              ;   in Loop: Header=BB3_145 Depth=1
	s_mov_b32 s16, 0
	s_cbranch_execz .LBB3_165
	s_branch .LBB3_166
.LBB3_164:                              ;   in Loop: Header=BB3_145 Depth=1
                                        ; implicit-def: $sgpr16
.LBB3_165:                              ;   in Loop: Header=BB3_145 Depth=1
	global_load_b64 v[19:20], v10, s[0:1]
	s_add_i32 s16, s17, -8
	s_add_u32 s0, s0, 8
	s_addc_u32 s1, s1, 0
.LBB3_166:                              ;   in Loop: Header=BB3_145 Depth=1
	s_cmp_gt_u32 s16, 7
	s_cbranch_scc1 .LBB3_171
; %bb.167:                              ;   in Loop: Header=BB3_145 Depth=1
	v_mov_b32_e32 v21, 0
	v_mov_b32_e32 v22, 0
	s_cmp_eq_u32 s16, 0
	s_cbranch_scc1 .LBB3_170
; %bb.168:                              ;   in Loop: Header=BB3_145 Depth=1
	s_mov_b64 s[12:13], 0
	s_mov_b64 s[14:15], 0
.LBB3_169:                              ;   Parent Loop BB3_145 Depth=1
                                        ; =>  This Inner Loop Header: Depth=2
	s_delay_alu instid0(SALU_CYCLE_1)
	s_add_u32 s18, s0, s14
	s_addc_u32 s19, s1, s15
	s_add_u32 s14, s14, 1
	global_load_u8 v2, v10, s[18:19]
	s_addc_u32 s15, s15, 0
	s_waitcnt vmcnt(0)
	v_and_b32_e32 v9, 0xffff, v2
	s_delay_alu instid0(VALU_DEP_1) | instskip(SKIP_3) | instid1(VALU_DEP_1)
	v_lshlrev_b64 v[2:3], s12, v[9:10]
	s_add_u32 s12, s12, 8
	s_addc_u32 s13, s13, 0
	s_cmp_lg_u32 s16, s14
	v_or_b32_e32 v21, v2, v21
	s_delay_alu instid0(VALU_DEP_2)
	v_or_b32_e32 v22, v3, v22
	s_cbranch_scc1 .LBB3_169
.LBB3_170:                              ;   in Loop: Header=BB3_145 Depth=1
	s_mov_b32 s17, 0
	s_cbranch_execz .LBB3_172
	s_branch .LBB3_173
.LBB3_171:                              ;   in Loop: Header=BB3_145 Depth=1
                                        ; implicit-def: $vgpr21_vgpr22
                                        ; implicit-def: $sgpr17
.LBB3_172:                              ;   in Loop: Header=BB3_145 Depth=1
	global_load_b64 v[21:22], v10, s[0:1]
	s_add_i32 s17, s16, -8
	s_add_u32 s0, s0, 8
	s_addc_u32 s1, s1, 0
.LBB3_173:                              ;   in Loop: Header=BB3_145 Depth=1
	s_cmp_gt_u32 s17, 7
	s_cbranch_scc1 .LBB3_178
; %bb.174:                              ;   in Loop: Header=BB3_145 Depth=1
	v_mov_b32_e32 v23, 0
	v_mov_b32_e32 v24, 0
	s_cmp_eq_u32 s17, 0
	s_cbranch_scc1 .LBB3_177
; %bb.175:                              ;   in Loop: Header=BB3_145 Depth=1
	s_mov_b64 s[12:13], 0
	s_mov_b64 s[14:15], 0
.LBB3_176:                              ;   Parent Loop BB3_145 Depth=1
                                        ; =>  This Inner Loop Header: Depth=2
	s_delay_alu instid0(SALU_CYCLE_1)
	s_add_u32 s18, s0, s14
	s_addc_u32 s19, s1, s15
	s_add_u32 s14, s14, 1
	global_load_u8 v2, v10, s[18:19]
	s_addc_u32 s15, s15, 0
	s_waitcnt vmcnt(0)
	v_and_b32_e32 v9, 0xffff, v2
	s_delay_alu instid0(VALU_DEP_1) | instskip(SKIP_3) | instid1(VALU_DEP_1)
	v_lshlrev_b64 v[2:3], s12, v[9:10]
	s_add_u32 s12, s12, 8
	s_addc_u32 s13, s13, 0
	s_cmp_lg_u32 s17, s14
	v_or_b32_e32 v23, v2, v23
	s_delay_alu instid0(VALU_DEP_2)
	v_or_b32_e32 v24, v3, v24
	s_cbranch_scc1 .LBB3_176
.LBB3_177:                              ;   in Loop: Header=BB3_145 Depth=1
	s_mov_b32 s16, 0
	s_cbranch_execz .LBB3_179
	s_branch .LBB3_180
.LBB3_178:                              ;   in Loop: Header=BB3_145 Depth=1
                                        ; implicit-def: $sgpr16
.LBB3_179:                              ;   in Loop: Header=BB3_145 Depth=1
	global_load_b64 v[23:24], v10, s[0:1]
	s_add_i32 s16, s17, -8
	s_add_u32 s0, s0, 8
	s_addc_u32 s1, s1, 0
.LBB3_180:                              ;   in Loop: Header=BB3_145 Depth=1
	s_cmp_gt_u32 s16, 7
	s_cbranch_scc1 .LBB3_185
; %bb.181:                              ;   in Loop: Header=BB3_145 Depth=1
	v_mov_b32_e32 v25, 0
	v_mov_b32_e32 v26, 0
	s_cmp_eq_u32 s16, 0
	s_cbranch_scc1 .LBB3_184
; %bb.182:                              ;   in Loop: Header=BB3_145 Depth=1
	s_mov_b64 s[12:13], 0
	s_mov_b64 s[14:15], 0
.LBB3_183:                              ;   Parent Loop BB3_145 Depth=1
                                        ; =>  This Inner Loop Header: Depth=2
	s_delay_alu instid0(SALU_CYCLE_1)
	s_add_u32 s18, s0, s14
	s_addc_u32 s19, s1, s15
	s_add_u32 s14, s14, 1
	global_load_u8 v2, v10, s[18:19]
	s_addc_u32 s15, s15, 0
	s_waitcnt vmcnt(0)
	v_and_b32_e32 v9, 0xffff, v2
	s_delay_alu instid0(VALU_DEP_1) | instskip(SKIP_3) | instid1(VALU_DEP_1)
	v_lshlrev_b64 v[2:3], s12, v[9:10]
	s_add_u32 s12, s12, 8
	s_addc_u32 s13, s13, 0
	s_cmp_lg_u32 s16, s14
	v_or_b32_e32 v25, v2, v25
	s_delay_alu instid0(VALU_DEP_2)
	v_or_b32_e32 v26, v3, v26
	s_cbranch_scc1 .LBB3_183
.LBB3_184:                              ;   in Loop: Header=BB3_145 Depth=1
	s_mov_b32 s17, 0
	s_cbranch_execz .LBB3_186
	s_branch .LBB3_187
.LBB3_185:                              ;   in Loop: Header=BB3_145 Depth=1
                                        ; implicit-def: $vgpr25_vgpr26
                                        ; implicit-def: $sgpr17
.LBB3_186:                              ;   in Loop: Header=BB3_145 Depth=1
	global_load_b64 v[25:26], v10, s[0:1]
	s_add_i32 s17, s16, -8
	s_add_u32 s0, s0, 8
	s_addc_u32 s1, s1, 0
.LBB3_187:                              ;   in Loop: Header=BB3_145 Depth=1
	s_cmp_gt_u32 s17, 7
	s_cbranch_scc1 .LBB3_192
; %bb.188:                              ;   in Loop: Header=BB3_145 Depth=1
	v_mov_b32_e32 v27, 0
	v_mov_b32_e32 v28, 0
	s_cmp_eq_u32 s17, 0
	s_cbranch_scc1 .LBB3_191
; %bb.189:                              ;   in Loop: Header=BB3_145 Depth=1
	s_mov_b64 s[12:13], 0
	s_mov_b64 s[14:15], s[0:1]
.LBB3_190:                              ;   Parent Loop BB3_145 Depth=1
                                        ; =>  This Inner Loop Header: Depth=2
	global_load_u8 v2, v10, s[14:15]
	s_add_i32 s17, s17, -1
	s_waitcnt vmcnt(0)
	v_and_b32_e32 v9, 0xffff, v2
	s_delay_alu instid0(VALU_DEP_1)
	v_lshlrev_b64 v[2:3], s12, v[9:10]
	s_add_u32 s12, s12, 8
	s_addc_u32 s13, s13, 0
	s_add_u32 s14, s14, 1
	s_addc_u32 s15, s15, 0
	s_cmp_lg_u32 s17, 0
	v_or_b32_e32 v27, v2, v27
	v_or_b32_e32 v28, v3, v28
	s_cbranch_scc1 .LBB3_190
.LBB3_191:                              ;   in Loop: Header=BB3_145 Depth=1
	s_cbranch_execz .LBB3_193
	s_branch .LBB3_194
.LBB3_192:                              ;   in Loop: Header=BB3_145 Depth=1
.LBB3_193:                              ;   in Loop: Header=BB3_145 Depth=1
	global_load_b64 v[27:28], v10, s[0:1]
.LBB3_194:                              ;   in Loop: Header=BB3_145 Depth=1
	v_readfirstlane_b32 s0, v35
	v_mov_b32_e32 v2, 0
	v_mov_b32_e32 v3, 0
	s_delay_alu instid0(VALU_DEP_3) | instskip(NEXT) | instid1(VALU_DEP_1)
	v_cmp_eq_u32_e64 s0, s0, v35
	s_and_saveexec_b32 s1, s0
	s_cbranch_execz .LBB3_200
; %bb.195:                              ;   in Loop: Header=BB3_145 Depth=1
	global_load_b64 v[31:32], v10, s[2:3] offset:24 glc
	s_waitcnt vmcnt(0)
	buffer_gl1_inv
	buffer_gl0_inv
	s_clause 0x1
	global_load_b64 v[2:3], v10, s[2:3] offset:40
	global_load_b64 v[8:9], v10, s[2:3]
	s_mov_b32 s12, exec_lo
	s_waitcnt vmcnt(1)
	v_and_b32_e32 v3, v3, v32
	v_and_b32_e32 v2, v2, v31
	s_delay_alu instid0(VALU_DEP_2) | instskip(NEXT) | instid1(VALU_DEP_2)
	v_mul_lo_u32 v3, v3, 24
	v_mul_hi_u32 v13, v2, 24
	v_mul_lo_u32 v2, v2, 24
	s_delay_alu instid0(VALU_DEP_2) | instskip(SKIP_1) | instid1(VALU_DEP_2)
	v_add_nc_u32_e32 v3, v13, v3
	s_waitcnt vmcnt(0)
	v_add_co_u32 v2, vcc_lo, v8, v2
	s_delay_alu instid0(VALU_DEP_2)
	v_add_co_ci_u32_e32 v3, vcc_lo, v9, v3, vcc_lo
	global_load_b64 v[29:30], v[2:3], off glc
	s_waitcnt vmcnt(0)
	global_atomic_cmpswap_b64 v[2:3], v10, v[29:32], s[2:3] offset:24 glc
	s_waitcnt vmcnt(0)
	buffer_gl1_inv
	buffer_gl0_inv
	v_cmpx_ne_u64_e64 v[2:3], v[31:32]
	s_cbranch_execz .LBB3_199
; %bb.196:                              ;   in Loop: Header=BB3_145 Depth=1
	s_mov_b32 s13, 0
	.p2align	6
.LBB3_197:                              ;   Parent Loop BB3_145 Depth=1
                                        ; =>  This Inner Loop Header: Depth=2
	s_sleep 1
	s_clause 0x1
	global_load_b64 v[8:9], v10, s[2:3] offset:40
	global_load_b64 v[13:14], v10, s[2:3]
	v_dual_mov_b32 v32, v3 :: v_dual_mov_b32 v31, v2
	s_waitcnt vmcnt(1)
	s_delay_alu instid0(VALU_DEP_1) | instskip(SKIP_1) | instid1(VALU_DEP_1)
	v_and_b32_e32 v8, v8, v31
	s_waitcnt vmcnt(0)
	v_mad_u64_u32 v[2:3], null, v8, 24, v[13:14]
	v_and_b32_e32 v13, v9, v32
	s_delay_alu instid0(VALU_DEP_1) | instskip(NEXT) | instid1(VALU_DEP_1)
	v_mad_u64_u32 v[8:9], null, v13, 24, v[3:4]
	v_mov_b32_e32 v3, v8
	global_load_b64 v[29:30], v[2:3], off glc
	s_waitcnt vmcnt(0)
	global_atomic_cmpswap_b64 v[2:3], v10, v[29:32], s[2:3] offset:24 glc
	s_waitcnt vmcnt(0)
	buffer_gl1_inv
	buffer_gl0_inv
	v_cmp_eq_u64_e32 vcc_lo, v[2:3], v[31:32]
	s_or_b32 s13, vcc_lo, s13
	s_delay_alu instid0(SALU_CYCLE_1)
	s_and_not1_b32 exec_lo, exec_lo, s13
	s_cbranch_execnz .LBB3_197
; %bb.198:                              ;   in Loop: Header=BB3_145 Depth=1
	s_or_b32 exec_lo, exec_lo, s13
.LBB3_199:                              ;   in Loop: Header=BB3_145 Depth=1
	s_delay_alu instid0(SALU_CYCLE_1)
	s_or_b32 exec_lo, exec_lo, s12
.LBB3_200:                              ;   in Loop: Header=BB3_145 Depth=1
	s_delay_alu instid0(SALU_CYCLE_1)
	s_or_b32 exec_lo, exec_lo, s1
	s_clause 0x1
	global_load_b64 v[8:9], v10, s[2:3] offset:40
	global_load_b128 v[29:32], v10, s[2:3]
	v_readfirstlane_b32 s12, v2
	v_readfirstlane_b32 s13, v3
	s_mov_b32 s1, exec_lo
	s_waitcnt vmcnt(1)
	v_readfirstlane_b32 s14, v8
	v_readfirstlane_b32 s15, v9
	s_delay_alu instid0(VALU_DEP_1) | instskip(NEXT) | instid1(SALU_CYCLE_1)
	s_and_b64 s[14:15], s[12:13], s[14:15]
	s_mul_i32 s16, s15, 24
	s_mul_hi_u32 s17, s14, 24
	s_mul_i32 s18, s14, 24
	s_add_i32 s17, s17, s16
	s_waitcnt vmcnt(0)
	v_add_co_u32 v2, vcc_lo, v29, s18
	v_add_co_ci_u32_e32 v3, vcc_lo, s17, v30, vcc_lo
	s_and_saveexec_b32 s16, s0
	s_cbranch_execz .LBB3_202
; %bb.201:                              ;   in Loop: Header=BB3_145 Depth=1
	v_mov_b32_e32 v9, s1
	global_store_b128 v[2:3], v[9:12], off offset:8
.LBB3_202:                              ;   in Loop: Header=BB3_145 Depth=1
	s_or_b32 exec_lo, exec_lo, s16
	s_lshl_b64 s[14:15], s[14:15], 12
	v_cmp_gt_u64_e64 vcc_lo, s[6:7], 56
	v_or_b32_e32 v9, v6, v33
	v_add_co_u32 v31, s1, v31, s14
	s_delay_alu instid0(VALU_DEP_1)
	v_add_co_ci_u32_e64 v32, s1, s15, v32, s1
	s_lshl_b32 s1, s10, 2
	v_or_b32_e32 v8, 0, v7
	v_cndmask_b32_e32 v6, v9, v6, vcc_lo
	s_add_i32 s1, s1, 28
	v_readfirstlane_b32 s14, v31
	s_and_b32 s1, s1, 0x1e0
	v_cndmask_b32_e32 v14, v8, v7, vcc_lo
	v_readfirstlane_b32 s15, v32
	v_and_or_b32 v13, 0xffffff1f, v6, s1
	s_clause 0x3
	global_store_b128 v34, v[13:16], s[14:15]
	global_store_b128 v34, v[17:20], s[14:15] offset:16
	global_store_b128 v34, v[21:24], s[14:15] offset:32
	;; [unrolled: 1-line block ×3, first 2 shown]
	s_and_saveexec_b32 s1, s0
	s_cbranch_execz .LBB3_210
; %bb.203:                              ;   in Loop: Header=BB3_145 Depth=1
	s_clause 0x1
	global_load_b64 v[17:18], v10, s[2:3] offset:32 glc
	global_load_b64 v[6:7], v10, s[2:3] offset:40
	v_dual_mov_b32 v15, s12 :: v_dual_mov_b32 v16, s13
	s_waitcnt vmcnt(0)
	v_readfirstlane_b32 s14, v6
	v_readfirstlane_b32 s15, v7
	s_delay_alu instid0(VALU_DEP_1) | instskip(NEXT) | instid1(SALU_CYCLE_1)
	s_and_b64 s[14:15], s[14:15], s[12:13]
	s_mul_i32 s15, s15, 24
	s_mul_hi_u32 s16, s14, 24
	s_mul_i32 s14, s14, 24
	s_add_i32 s16, s16, s15
	v_add_co_u32 v13, vcc_lo, v29, s14
	v_add_co_ci_u32_e32 v14, vcc_lo, s16, v30, vcc_lo
	s_mov_b32 s14, exec_lo
	global_store_b64 v[13:14], v[17:18], off
	s_waitcnt_vscnt null, 0x0
	global_atomic_cmpswap_b64 v[8:9], v10, v[15:18], s[2:3] offset:32 glc
	s_waitcnt vmcnt(0)
	v_cmpx_ne_u64_e64 v[8:9], v[17:18]
	s_cbranch_execz .LBB3_206
; %bb.204:                              ;   in Loop: Header=BB3_145 Depth=1
	s_mov_b32 s15, 0
.LBB3_205:                              ;   Parent Loop BB3_145 Depth=1
                                        ; =>  This Inner Loop Header: Depth=2
	v_dual_mov_b32 v6, s12 :: v_dual_mov_b32 v7, s13
	s_sleep 1
	global_store_b64 v[13:14], v[8:9], off
	s_waitcnt_vscnt null, 0x0
	global_atomic_cmpswap_b64 v[6:7], v10, v[6:9], s[2:3] offset:32 glc
	s_waitcnt vmcnt(0)
	v_cmp_eq_u64_e32 vcc_lo, v[6:7], v[8:9]
	v_dual_mov_b32 v9, v7 :: v_dual_mov_b32 v8, v6
	s_or_b32 s15, vcc_lo, s15
	s_delay_alu instid0(SALU_CYCLE_1)
	s_and_not1_b32 exec_lo, exec_lo, s15
	s_cbranch_execnz .LBB3_205
.LBB3_206:                              ;   in Loop: Header=BB3_145 Depth=1
	s_or_b32 exec_lo, exec_lo, s14
	global_load_b64 v[6:7], v10, s[2:3] offset:16
	s_mov_b32 s15, exec_lo
	s_mov_b32 s14, exec_lo
	v_mbcnt_lo_u32_b32 v8, s15, 0
	s_delay_alu instid0(VALU_DEP_1)
	v_cmpx_eq_u32_e32 0, v8
	s_cbranch_execz .LBB3_208
; %bb.207:                              ;   in Loop: Header=BB3_145 Depth=1
	s_bcnt1_i32_b32 s15, s15
	s_delay_alu instid0(SALU_CYCLE_1)
	v_mov_b32_e32 v9, s15
	s_waitcnt vmcnt(0)
	global_atomic_add_u64 v[6:7], v[9:10], off offset:8
.LBB3_208:                              ;   in Loop: Header=BB3_145 Depth=1
	s_or_b32 exec_lo, exec_lo, s14
	s_waitcnt vmcnt(0)
	global_load_b64 v[13:14], v[6:7], off offset:16
	s_waitcnt vmcnt(0)
	v_cmp_eq_u64_e32 vcc_lo, 0, v[13:14]
	s_cbranch_vccnz .LBB3_210
; %bb.209:                              ;   in Loop: Header=BB3_145 Depth=1
	global_load_b32 v9, v[6:7], off offset:24
	s_waitcnt vmcnt(0)
	v_and_b32_e32 v6, 0xffffff, v9
	s_waitcnt_vscnt null, 0x0
	global_store_b64 v[13:14], v[9:10], off
	v_readfirstlane_b32 m0, v6
	s_sendmsg sendmsg(MSG_INTERRUPT)
.LBB3_210:                              ;   in Loop: Header=BB3_145 Depth=1
	s_or_b32 exec_lo, exec_lo, s1
	v_add_co_u32 v6, vcc_lo, v31, v34
	v_add_co_ci_u32_e32 v7, vcc_lo, 0, v32, vcc_lo
	s_branch .LBB3_214
	.p2align	6
.LBB3_211:                              ;   in Loop: Header=BB3_214 Depth=2
	s_or_b32 exec_lo, exec_lo, s1
	s_delay_alu instid0(VALU_DEP_1) | instskip(NEXT) | instid1(VALU_DEP_1)
	v_readfirstlane_b32 s1, v8
	s_cmp_eq_u32 s1, 0
	s_cbranch_scc1 .LBB3_213
; %bb.212:                              ;   in Loop: Header=BB3_214 Depth=2
	s_sleep 1
	s_cbranch_execnz .LBB3_214
	s_branch .LBB3_216
	.p2align	6
.LBB3_213:                              ;   in Loop: Header=BB3_145 Depth=1
	s_branch .LBB3_216
.LBB3_214:                              ;   Parent Loop BB3_145 Depth=1
                                        ; =>  This Inner Loop Header: Depth=2
	v_mov_b32_e32 v8, 1
	s_and_saveexec_b32 s1, s0
	s_cbranch_execz .LBB3_211
; %bb.215:                              ;   in Loop: Header=BB3_214 Depth=2
	global_load_b32 v8, v[2:3], off offset:20 glc
	s_waitcnt vmcnt(0)
	buffer_gl1_inv
	buffer_gl0_inv
	v_and_b32_e32 v8, 1, v8
	s_branch .LBB3_211
.LBB3_216:                              ;   in Loop: Header=BB3_145 Depth=1
	global_load_b128 v[6:9], v[6:7], off
	s_and_saveexec_b32 s1, s0
	s_cbranch_execz .LBB3_144
; %bb.217:                              ;   in Loop: Header=BB3_145 Depth=1
	s_clause 0x2
	global_load_b64 v[2:3], v10, s[2:3] offset:40
	global_load_b64 v[8:9], v10, s[2:3] offset:24 glc
	global_load_b64 v[15:16], v10, s[2:3]
	s_waitcnt vmcnt(2)
	v_add_co_u32 v17, vcc_lo, v2, 1
	v_add_co_ci_u32_e32 v18, vcc_lo, 0, v3, vcc_lo
	s_delay_alu instid0(VALU_DEP_2) | instskip(NEXT) | instid1(VALU_DEP_2)
	v_add_co_u32 v13, vcc_lo, v17, s12
	v_add_co_ci_u32_e32 v14, vcc_lo, s13, v18, vcc_lo
	s_delay_alu instid0(VALU_DEP_1) | instskip(SKIP_1) | instid1(VALU_DEP_1)
	v_cmp_eq_u64_e32 vcc_lo, 0, v[13:14]
	v_dual_cndmask_b32 v14, v14, v18 :: v_dual_cndmask_b32 v13, v13, v17
	v_and_b32_e32 v3, v14, v3
	s_delay_alu instid0(VALU_DEP_2) | instskip(NEXT) | instid1(VALU_DEP_2)
	v_and_b32_e32 v2, v13, v2
	v_mul_lo_u32 v3, v3, 24
	s_delay_alu instid0(VALU_DEP_2) | instskip(SKIP_1) | instid1(VALU_DEP_2)
	v_mul_hi_u32 v17, v2, 24
	v_mul_lo_u32 v2, v2, 24
	v_add_nc_u32_e32 v3, v17, v3
	s_waitcnt vmcnt(0)
	s_delay_alu instid0(VALU_DEP_2) | instskip(SKIP_1) | instid1(VALU_DEP_3)
	v_add_co_u32 v2, vcc_lo, v15, v2
	v_mov_b32_e32 v15, v8
	v_add_co_ci_u32_e32 v3, vcc_lo, v16, v3, vcc_lo
	v_mov_b32_e32 v16, v9
	global_store_b64 v[2:3], v[8:9], off
	s_waitcnt_vscnt null, 0x0
	global_atomic_cmpswap_b64 v[15:16], v10, v[13:16], s[2:3] offset:24 glc
	s_waitcnt vmcnt(0)
	v_cmp_ne_u64_e32 vcc_lo, v[15:16], v[8:9]
	s_and_b32 exec_lo, exec_lo, vcc_lo
	s_cbranch_execz .LBB3_144
; %bb.218:                              ;   in Loop: Header=BB3_145 Depth=1
	s_mov_b32 s0, 0
.LBB3_219:                              ;   Parent Loop BB3_145 Depth=1
                                        ; =>  This Inner Loop Header: Depth=2
	s_sleep 1
	global_store_b64 v[2:3], v[15:16], off
	s_waitcnt_vscnt null, 0x0
	global_atomic_cmpswap_b64 v[8:9], v10, v[13:16], s[2:3] offset:24 glc
	s_waitcnt vmcnt(0)
	v_cmp_eq_u64_e32 vcc_lo, v[8:9], v[15:16]
	v_dual_mov_b32 v16, v9 :: v_dual_mov_b32 v15, v8
	s_or_b32 s0, vcc_lo, s0
	s_delay_alu instid0(SALU_CYCLE_1)
	s_and_not1_b32 exec_lo, exec_lo, s0
	s_cbranch_execnz .LBB3_219
	s_branch .LBB3_144
.LBB3_220:
                                        ; implicit-def: $vgpr6_vgpr7
	s_cbranch_execnz .LBB3_222
	s_branch .LBB3_249
.LBB3_221:
	s_branch .LBB3_249
.LBB3_222:
	v_readfirstlane_b32 s0, v35
	v_mov_b32_e32 v10, 0
	v_mov_b32_e32 v11, 0
	s_delay_alu instid0(VALU_DEP_3) | instskip(NEXT) | instid1(VALU_DEP_1)
	v_cmp_eq_u32_e64 s0, s0, v35
	s_and_saveexec_b32 s1, s0
	s_cbranch_execz .LBB3_228
; %bb.223:
	s_waitcnt vmcnt(0)
	v_mov_b32_e32 v2, 0
	s_mov_b32 s4, exec_lo
	global_load_b64 v[8:9], v2, s[2:3] offset:24 glc
	s_waitcnt vmcnt(0)
	buffer_gl1_inv
	buffer_gl0_inv
	s_clause 0x1
	global_load_b64 v[6:7], v2, s[2:3] offset:40
	global_load_b64 v[10:11], v2, s[2:3]
	s_waitcnt vmcnt(1)
	v_and_b32_e32 v3, v7, v9
	v_and_b32_e32 v6, v6, v8
	s_delay_alu instid0(VALU_DEP_2) | instskip(NEXT) | instid1(VALU_DEP_2)
	v_mul_lo_u32 v3, v3, 24
	v_mul_hi_u32 v7, v6, 24
	v_mul_lo_u32 v6, v6, 24
	s_delay_alu instid0(VALU_DEP_2) | instskip(SKIP_1) | instid1(VALU_DEP_2)
	v_add_nc_u32_e32 v3, v7, v3
	s_waitcnt vmcnt(0)
	v_add_co_u32 v6, vcc_lo, v10, v6
	s_delay_alu instid0(VALU_DEP_2)
	v_add_co_ci_u32_e32 v7, vcc_lo, v11, v3, vcc_lo
	global_load_b64 v[6:7], v[6:7], off glc
	s_waitcnt vmcnt(0)
	global_atomic_cmpswap_b64 v[10:11], v2, v[6:9], s[2:3] offset:24 glc
	s_waitcnt vmcnt(0)
	buffer_gl1_inv
	buffer_gl0_inv
	v_cmpx_ne_u64_e64 v[10:11], v[8:9]
	s_cbranch_execz .LBB3_227
; %bb.224:
	s_mov_b32 s5, 0
	.p2align	6
.LBB3_225:                              ; =>This Inner Loop Header: Depth=1
	s_sleep 1
	s_clause 0x1
	global_load_b64 v[6:7], v2, s[2:3] offset:40
	global_load_b64 v[12:13], v2, s[2:3]
	v_dual_mov_b32 v8, v10 :: v_dual_mov_b32 v9, v11
	s_waitcnt vmcnt(1)
	s_delay_alu instid0(VALU_DEP_1) | instskip(SKIP_1) | instid1(VALU_DEP_1)
	v_and_b32_e32 v3, v6, v8
	s_waitcnt vmcnt(0)
	v_mad_u64_u32 v[10:11], null, v3, 24, v[12:13]
	v_and_b32_e32 v12, v7, v9
	s_delay_alu instid0(VALU_DEP_2) | instskip(NEXT) | instid1(VALU_DEP_1)
	v_mov_b32_e32 v3, v11
	v_mad_u64_u32 v[6:7], null, v12, 24, v[3:4]
	s_delay_alu instid0(VALU_DEP_1)
	v_mov_b32_e32 v11, v6
	global_load_b64 v[6:7], v[10:11], off glc
	s_waitcnt vmcnt(0)
	global_atomic_cmpswap_b64 v[10:11], v2, v[6:9], s[2:3] offset:24 glc
	s_waitcnt vmcnt(0)
	buffer_gl1_inv
	buffer_gl0_inv
	v_cmp_eq_u64_e32 vcc_lo, v[10:11], v[8:9]
	s_or_b32 s5, vcc_lo, s5
	s_delay_alu instid0(SALU_CYCLE_1)
	s_and_not1_b32 exec_lo, exec_lo, s5
	s_cbranch_execnz .LBB3_225
; %bb.226:
	s_or_b32 exec_lo, exec_lo, s5
.LBB3_227:
	s_delay_alu instid0(SALU_CYCLE_1)
	s_or_b32 exec_lo, exec_lo, s4
.LBB3_228:
	s_delay_alu instid0(SALU_CYCLE_1)
	s_or_b32 exec_lo, exec_lo, s1
	s_waitcnt vmcnt(0)
	v_mov_b32_e32 v2, 0
	v_readfirstlane_b32 s4, v10
	v_readfirstlane_b32 s5, v11
	s_mov_b32 s1, exec_lo
	s_clause 0x1
	global_load_b64 v[12:13], v2, s[2:3] offset:40
	global_load_b128 v[6:9], v2, s[2:3]
	s_waitcnt vmcnt(1)
	v_readfirstlane_b32 s6, v12
	v_readfirstlane_b32 s7, v13
	s_delay_alu instid0(VALU_DEP_1) | instskip(NEXT) | instid1(SALU_CYCLE_1)
	s_and_b64 s[6:7], s[4:5], s[6:7]
	s_mul_i32 s10, s7, 24
	s_mul_hi_u32 s11, s6, 24
	s_mul_i32 s12, s6, 24
	s_add_i32 s11, s11, s10
	s_waitcnt vmcnt(0)
	v_add_co_u32 v10, vcc_lo, v6, s12
	v_add_co_ci_u32_e32 v11, vcc_lo, s11, v7, vcc_lo
	s_and_saveexec_b32 s10, s0
	s_cbranch_execz .LBB3_230
; %bb.229:
	v_dual_mov_b32 v12, s1 :: v_dual_mov_b32 v13, v2
	v_dual_mov_b32 v14, 2 :: v_dual_mov_b32 v15, 1
	global_store_b128 v[10:11], v[12:15], off offset:8
.LBB3_230:
	s_or_b32 exec_lo, exec_lo, s10
	s_lshl_b64 s[6:7], s[6:7], 12
	s_mov_b32 s12, 0
	v_add_co_u32 v8, vcc_lo, v8, s6
	v_add_co_ci_u32_e32 v9, vcc_lo, s7, v9, vcc_lo
	s_mov_b32 s13, s12
	s_delay_alu instid0(VALU_DEP_2)
	v_readfirstlane_b32 s6, v8
	v_add_co_u32 v8, vcc_lo, v8, v34
	s_mov_b32 s14, s12
	s_mov_b32 s15, s12
	v_and_or_b32 v0, 0xffffff1f, v0, 32
	v_dual_mov_b32 v3, v2 :: v_dual_mov_b32 v12, s12
	v_readfirstlane_b32 s7, v9
	v_add_co_ci_u32_e32 v9, vcc_lo, 0, v9, vcc_lo
	v_dual_mov_b32 v13, s13 :: v_dual_mov_b32 v14, s14
	v_mov_b32_e32 v15, s15
	s_clause 0x3
	global_store_b128 v34, v[0:3], s[6:7]
	global_store_b128 v34, v[12:15], s[6:7] offset:16
	global_store_b128 v34, v[12:15], s[6:7] offset:32
	;; [unrolled: 1-line block ×3, first 2 shown]
	s_and_saveexec_b32 s1, s0
	s_cbranch_execz .LBB3_238
; %bb.231:
	v_dual_mov_b32 v12, 0 :: v_dual_mov_b32 v13, s4
	v_mov_b32_e32 v14, s5
	s_clause 0x1
	global_load_b64 v[15:16], v12, s[2:3] offset:32 glc
	global_load_b64 v[0:1], v12, s[2:3] offset:40
	s_waitcnt vmcnt(0)
	v_readfirstlane_b32 s6, v0
	v_readfirstlane_b32 s7, v1
	s_delay_alu instid0(VALU_DEP_1) | instskip(NEXT) | instid1(SALU_CYCLE_1)
	s_and_b64 s[6:7], s[6:7], s[4:5]
	s_mul_i32 s7, s7, 24
	s_mul_hi_u32 s10, s6, 24
	s_mul_i32 s6, s6, 24
	s_add_i32 s10, s10, s7
	v_add_co_u32 v6, vcc_lo, v6, s6
	v_add_co_ci_u32_e32 v7, vcc_lo, s10, v7, vcc_lo
	s_mov_b32 s6, exec_lo
	global_store_b64 v[6:7], v[15:16], off
	s_waitcnt_vscnt null, 0x0
	global_atomic_cmpswap_b64 v[2:3], v12, v[13:16], s[2:3] offset:32 glc
	s_waitcnt vmcnt(0)
	v_cmpx_ne_u64_e64 v[2:3], v[15:16]
	s_cbranch_execz .LBB3_234
; %bb.232:
	s_mov_b32 s7, 0
.LBB3_233:                              ; =>This Inner Loop Header: Depth=1
	v_dual_mov_b32 v0, s4 :: v_dual_mov_b32 v1, s5
	s_sleep 1
	global_store_b64 v[6:7], v[2:3], off
	s_waitcnt_vscnt null, 0x0
	global_atomic_cmpswap_b64 v[0:1], v12, v[0:3], s[2:3] offset:32 glc
	s_waitcnt vmcnt(0)
	v_cmp_eq_u64_e32 vcc_lo, v[0:1], v[2:3]
	v_dual_mov_b32 v3, v1 :: v_dual_mov_b32 v2, v0
	s_or_b32 s7, vcc_lo, s7
	s_delay_alu instid0(SALU_CYCLE_1)
	s_and_not1_b32 exec_lo, exec_lo, s7
	s_cbranch_execnz .LBB3_233
.LBB3_234:
	s_or_b32 exec_lo, exec_lo, s6
	v_mov_b32_e32 v3, 0
	s_mov_b32 s7, exec_lo
	s_mov_b32 s6, exec_lo
	v_mbcnt_lo_u32_b32 v2, s7, 0
	global_load_b64 v[0:1], v3, s[2:3] offset:16
	v_cmpx_eq_u32_e32 0, v2
	s_cbranch_execz .LBB3_236
; %bb.235:
	s_bcnt1_i32_b32 s7, s7
	s_delay_alu instid0(SALU_CYCLE_1)
	v_mov_b32_e32 v2, s7
	s_waitcnt vmcnt(0)
	global_atomic_add_u64 v[0:1], v[2:3], off offset:8
.LBB3_236:
	s_or_b32 exec_lo, exec_lo, s6
	s_waitcnt vmcnt(0)
	global_load_b64 v[2:3], v[0:1], off offset:16
	s_waitcnt vmcnt(0)
	v_cmp_eq_u64_e32 vcc_lo, 0, v[2:3]
	s_cbranch_vccnz .LBB3_238
; %bb.237:
	global_load_b32 v0, v[0:1], off offset:24
	s_waitcnt vmcnt(0)
	v_dual_mov_b32 v1, 0 :: v_dual_and_b32 v6, 0xffffff, v0
	s_waitcnt_vscnt null, 0x0
	global_store_b64 v[2:3], v[0:1], off
	v_readfirstlane_b32 m0, v6
	s_sendmsg sendmsg(MSG_INTERRUPT)
.LBB3_238:
	s_or_b32 exec_lo, exec_lo, s1
	s_branch .LBB3_242
	.p2align	6
.LBB3_239:                              ;   in Loop: Header=BB3_242 Depth=1
	s_or_b32 exec_lo, exec_lo, s1
	s_delay_alu instid0(VALU_DEP_1) | instskip(NEXT) | instid1(VALU_DEP_1)
	v_readfirstlane_b32 s1, v0
	s_cmp_eq_u32 s1, 0
	s_cbranch_scc1 .LBB3_241
; %bb.240:                              ;   in Loop: Header=BB3_242 Depth=1
	s_sleep 1
	s_cbranch_execnz .LBB3_242
	s_branch .LBB3_244
	.p2align	6
.LBB3_241:
	s_branch .LBB3_244
.LBB3_242:                              ; =>This Inner Loop Header: Depth=1
	v_mov_b32_e32 v0, 1
	s_and_saveexec_b32 s1, s0
	s_cbranch_execz .LBB3_239
; %bb.243:                              ;   in Loop: Header=BB3_242 Depth=1
	global_load_b32 v0, v[10:11], off offset:20 glc
	s_waitcnt vmcnt(0)
	buffer_gl1_inv
	buffer_gl0_inv
	v_and_b32_e32 v0, 1, v0
	s_branch .LBB3_239
.LBB3_244:
	global_load_b64 v[6:7], v[8:9], off
	s_and_saveexec_b32 s1, s0
	s_cbranch_execz .LBB3_248
; %bb.245:
	v_mov_b32_e32 v10, 0
	s_clause 0x2
	global_load_b64 v[2:3], v10, s[2:3] offset:40
	global_load_b64 v[11:12], v10, s[2:3] offset:24 glc
	global_load_b64 v[8:9], v10, s[2:3]
	s_waitcnt vmcnt(2)
	v_add_co_u32 v13, vcc_lo, v2, 1
	v_add_co_ci_u32_e32 v14, vcc_lo, 0, v3, vcc_lo
	s_delay_alu instid0(VALU_DEP_2) | instskip(NEXT) | instid1(VALU_DEP_2)
	v_add_co_u32 v0, vcc_lo, v13, s4
	v_add_co_ci_u32_e32 v1, vcc_lo, s5, v14, vcc_lo
	s_delay_alu instid0(VALU_DEP_1) | instskip(SKIP_1) | instid1(VALU_DEP_1)
	v_cmp_eq_u64_e32 vcc_lo, 0, v[0:1]
	v_dual_cndmask_b32 v1, v1, v14 :: v_dual_cndmask_b32 v0, v0, v13
	v_and_b32_e32 v3, v1, v3
	s_delay_alu instid0(VALU_DEP_2) | instskip(NEXT) | instid1(VALU_DEP_2)
	v_and_b32_e32 v2, v0, v2
	v_mul_lo_u32 v3, v3, 24
	s_delay_alu instid0(VALU_DEP_2) | instskip(SKIP_1) | instid1(VALU_DEP_2)
	v_mul_hi_u32 v13, v2, 24
	v_mul_lo_u32 v2, v2, 24
	v_add_nc_u32_e32 v3, v13, v3
	s_waitcnt vmcnt(0)
	s_delay_alu instid0(VALU_DEP_2) | instskip(SKIP_1) | instid1(VALU_DEP_3)
	v_add_co_u32 v8, vcc_lo, v8, v2
	v_mov_b32_e32 v2, v11
	v_add_co_ci_u32_e32 v9, vcc_lo, v9, v3, vcc_lo
	v_mov_b32_e32 v3, v12
	global_store_b64 v[8:9], v[11:12], off
	s_waitcnt_vscnt null, 0x0
	global_atomic_cmpswap_b64 v[2:3], v10, v[0:3], s[2:3] offset:24 glc
	s_waitcnt vmcnt(0)
	v_cmp_ne_u64_e32 vcc_lo, v[2:3], v[11:12]
	s_and_b32 exec_lo, exec_lo, vcc_lo
	s_cbranch_execz .LBB3_248
; %bb.246:
	s_mov_b32 s0, 0
.LBB3_247:                              ; =>This Inner Loop Header: Depth=1
	s_sleep 1
	global_store_b64 v[8:9], v[2:3], off
	s_waitcnt_vscnt null, 0x0
	global_atomic_cmpswap_b64 v[11:12], v10, v[0:3], s[2:3] offset:24 glc
	s_waitcnt vmcnt(0)
	v_cmp_eq_u64_e32 vcc_lo, v[11:12], v[2:3]
	v_dual_mov_b32 v2, v11 :: v_dual_mov_b32 v3, v12
	s_or_b32 s0, vcc_lo, s0
	s_delay_alu instid0(SALU_CYCLE_1)
	s_and_not1_b32 exec_lo, exec_lo, s0
	s_cbranch_execnz .LBB3_247
.LBB3_248:
	s_or_b32 exec_lo, exec_lo, s1
.LBB3_249:
	v_readfirstlane_b32 s0, v35
	v_mov_b32_e32 v10, 0
	v_mov_b32_e32 v11, 0
	s_delay_alu instid0(VALU_DEP_3) | instskip(NEXT) | instid1(VALU_DEP_1)
	v_cmp_eq_u32_e64 s0, s0, v35
	s_and_saveexec_b32 s1, s0
	s_cbranch_execz .LBB3_255
; %bb.250:
	s_waitcnt vmcnt(0)
	v_mov_b32_e32 v0, 0
	s_mov_b32 s4, exec_lo
	global_load_b64 v[12:13], v0, s[2:3] offset:24 glc
	s_waitcnt vmcnt(0)
	buffer_gl1_inv
	buffer_gl0_inv
	s_clause 0x1
	global_load_b64 v[1:2], v0, s[2:3] offset:40
	global_load_b64 v[8:9], v0, s[2:3]
	s_waitcnt vmcnt(1)
	v_and_b32_e32 v1, v1, v12
	v_and_b32_e32 v2, v2, v13
	s_delay_alu instid0(VALU_DEP_2) | instskip(NEXT) | instid1(VALU_DEP_2)
	v_mul_hi_u32 v3, v1, 24
	v_mul_lo_u32 v2, v2, 24
	v_mul_lo_u32 v1, v1, 24
	s_delay_alu instid0(VALU_DEP_2) | instskip(SKIP_1) | instid1(VALU_DEP_2)
	v_add_nc_u32_e32 v2, v3, v2
	s_waitcnt vmcnt(0)
	v_add_co_u32 v1, vcc_lo, v8, v1
	s_delay_alu instid0(VALU_DEP_2)
	v_add_co_ci_u32_e32 v2, vcc_lo, v9, v2, vcc_lo
	global_load_b64 v[10:11], v[1:2], off glc
	s_waitcnt vmcnt(0)
	global_atomic_cmpswap_b64 v[10:11], v0, v[10:13], s[2:3] offset:24 glc
	s_waitcnt vmcnt(0)
	buffer_gl1_inv
	buffer_gl0_inv
	v_cmpx_ne_u64_e64 v[10:11], v[12:13]
	s_cbranch_execz .LBB3_254
; %bb.251:
	s_mov_b32 s5, 0
	.p2align	6
.LBB3_252:                              ; =>This Inner Loop Header: Depth=1
	s_sleep 1
	s_clause 0x1
	global_load_b64 v[1:2], v0, s[2:3] offset:40
	global_load_b64 v[8:9], v0, s[2:3]
	v_dual_mov_b32 v13, v11 :: v_dual_mov_b32 v12, v10
	s_waitcnt vmcnt(1)
	s_delay_alu instid0(VALU_DEP_1) | instskip(SKIP_1) | instid1(VALU_DEP_1)
	v_and_b32_e32 v1, v1, v12
	s_waitcnt vmcnt(0)
	v_mad_u64_u32 v[10:11], null, v1, 24, v[8:9]
	s_delay_alu instid0(VALU_DEP_1) | instskip(NEXT) | instid1(VALU_DEP_1)
	v_dual_mov_b32 v1, v11 :: v_dual_and_b32 v8, v2, v13
	v_mad_u64_u32 v[2:3], null, v8, 24, v[1:2]
	s_delay_alu instid0(VALU_DEP_1)
	v_mov_b32_e32 v11, v2
	global_load_b64 v[10:11], v[10:11], off glc
	s_waitcnt vmcnt(0)
	global_atomic_cmpswap_b64 v[10:11], v0, v[10:13], s[2:3] offset:24 glc
	s_waitcnt vmcnt(0)
	buffer_gl1_inv
	buffer_gl0_inv
	v_cmp_eq_u64_e32 vcc_lo, v[10:11], v[12:13]
	s_or_b32 s5, vcc_lo, s5
	s_delay_alu instid0(SALU_CYCLE_1)
	s_and_not1_b32 exec_lo, exec_lo, s5
	s_cbranch_execnz .LBB3_252
; %bb.253:
	s_or_b32 exec_lo, exec_lo, s5
.LBB3_254:
	s_delay_alu instid0(SALU_CYCLE_1)
	s_or_b32 exec_lo, exec_lo, s4
.LBB3_255:
	s_delay_alu instid0(SALU_CYCLE_1)
	s_or_b32 exec_lo, exec_lo, s1
	s_waitcnt vmcnt(0)
	v_mov_b32_e32 v9, 0
	v_readfirstlane_b32 s4, v10
	v_readfirstlane_b32 s5, v11
	s_mov_b32 s1, exec_lo
	s_clause 0x1
	global_load_b64 v[12:13], v9, s[2:3] offset:40
	global_load_b128 v[0:3], v9, s[2:3]
	s_waitcnt vmcnt(1)
	v_readfirstlane_b32 s6, v12
	v_readfirstlane_b32 s7, v13
	s_delay_alu instid0(VALU_DEP_1) | instskip(NEXT) | instid1(SALU_CYCLE_1)
	s_and_b64 s[6:7], s[4:5], s[6:7]
	s_mul_i32 s10, s7, 24
	s_mul_hi_u32 s11, s6, 24
	s_mul_i32 s12, s6, 24
	s_add_i32 s11, s11, s10
	s_waitcnt vmcnt(0)
	v_add_co_u32 v10, vcc_lo, v0, s12
	v_add_co_ci_u32_e32 v11, vcc_lo, s11, v1, vcc_lo
	s_and_saveexec_b32 s10, s0
	s_cbranch_execz .LBB3_257
; %bb.256:
	v_dual_mov_b32 v8, s1 :: v_dual_mov_b32 v15, 1
	v_dual_mov_b32 v14, 2 :: v_dual_mov_b32 v13, v9
	s_delay_alu instid0(VALU_DEP_2)
	v_mov_b32_e32 v12, v8
	global_store_b128 v[10:11], v[12:15], off offset:8
.LBB3_257:
	s_or_b32 exec_lo, exec_lo, s10
	s_lshl_b64 s[6:7], s[6:7], 12
	s_mov_b32 s12, 0
	v_add_co_u32 v2, vcc_lo, v2, s6
	v_add_co_ci_u32_e32 v3, vcc_lo, s7, v3, vcc_lo
	s_mov_b32 s15, s12
	s_delay_alu instid0(VALU_DEP_2)
	v_add_co_u32 v12, vcc_lo, v2, v34
	s_mov_b32 s13, s12
	s_mov_b32 s14, s12
	v_and_or_b32 v6, 0xffffff1f, v6, 32
	v_dual_mov_b32 v8, 0x331 :: v_dual_mov_b32 v17, s15
	v_readfirstlane_b32 s6, v2
	v_readfirstlane_b32 s7, v3
	v_add_co_ci_u32_e32 v13, vcc_lo, 0, v3, vcc_lo
	v_dual_mov_b32 v16, s14 :: v_dual_mov_b32 v15, s13
	v_mov_b32_e32 v14, s12
	s_clause 0x3
	global_store_b128 v34, v[6:9], s[6:7]
	global_store_b128 v34, v[14:17], s[6:7] offset:16
	global_store_b128 v34, v[14:17], s[6:7] offset:32
	;; [unrolled: 1-line block ×3, first 2 shown]
	s_and_saveexec_b32 s1, s0
	s_cbranch_execz .LBB3_265
; %bb.258:
	v_dual_mov_b32 v8, 0 :: v_dual_mov_b32 v15, s5
	v_mov_b32_e32 v14, s4
	s_clause 0x1
	global_load_b64 v[16:17], v8, s[2:3] offset:32 glc
	global_load_b64 v[2:3], v8, s[2:3] offset:40
	s_waitcnt vmcnt(0)
	v_readfirstlane_b32 s6, v2
	v_readfirstlane_b32 s7, v3
	s_delay_alu instid0(VALU_DEP_1) | instskip(NEXT) | instid1(SALU_CYCLE_1)
	s_and_b64 s[6:7], s[6:7], s[4:5]
	s_mul_i32 s7, s7, 24
	s_mul_hi_u32 s10, s6, 24
	s_mul_i32 s6, s6, 24
	s_add_i32 s10, s10, s7
	v_add_co_u32 v6, vcc_lo, v0, s6
	v_add_co_ci_u32_e32 v7, vcc_lo, s10, v1, vcc_lo
	s_mov_b32 s6, exec_lo
	global_store_b64 v[6:7], v[16:17], off
	s_waitcnt_vscnt null, 0x0
	global_atomic_cmpswap_b64 v[2:3], v8, v[14:17], s[2:3] offset:32 glc
	s_waitcnt vmcnt(0)
	v_cmpx_ne_u64_e64 v[2:3], v[16:17]
	s_cbranch_execz .LBB3_261
; %bb.259:
	s_mov_b32 s7, 0
.LBB3_260:                              ; =>This Inner Loop Header: Depth=1
	v_dual_mov_b32 v0, s4 :: v_dual_mov_b32 v1, s5
	s_sleep 1
	global_store_b64 v[6:7], v[2:3], off
	s_waitcnt_vscnt null, 0x0
	global_atomic_cmpswap_b64 v[0:1], v8, v[0:3], s[2:3] offset:32 glc
	s_waitcnt vmcnt(0)
	v_cmp_eq_u64_e32 vcc_lo, v[0:1], v[2:3]
	v_dual_mov_b32 v3, v1 :: v_dual_mov_b32 v2, v0
	s_or_b32 s7, vcc_lo, s7
	s_delay_alu instid0(SALU_CYCLE_1)
	s_and_not1_b32 exec_lo, exec_lo, s7
	s_cbranch_execnz .LBB3_260
.LBB3_261:
	s_or_b32 exec_lo, exec_lo, s6
	v_mov_b32_e32 v3, 0
	s_mov_b32 s7, exec_lo
	s_mov_b32 s6, exec_lo
	v_mbcnt_lo_u32_b32 v2, s7, 0
	global_load_b64 v[0:1], v3, s[2:3] offset:16
	v_cmpx_eq_u32_e32 0, v2
	s_cbranch_execz .LBB3_263
; %bb.262:
	s_bcnt1_i32_b32 s7, s7
	s_delay_alu instid0(SALU_CYCLE_1)
	v_mov_b32_e32 v2, s7
	s_waitcnt vmcnt(0)
	global_atomic_add_u64 v[0:1], v[2:3], off offset:8
.LBB3_263:
	s_or_b32 exec_lo, exec_lo, s6
	s_waitcnt vmcnt(0)
	global_load_b64 v[2:3], v[0:1], off offset:16
	s_waitcnt vmcnt(0)
	v_cmp_eq_u64_e32 vcc_lo, 0, v[2:3]
	s_cbranch_vccnz .LBB3_265
; %bb.264:
	global_load_b32 v0, v[0:1], off offset:24
	s_waitcnt vmcnt(0)
	v_dual_mov_b32 v1, 0 :: v_dual_and_b32 v6, 0xffffff, v0
	s_waitcnt_vscnt null, 0x0
	global_store_b64 v[2:3], v[0:1], off
	v_readfirstlane_b32 m0, v6
	s_sendmsg sendmsg(MSG_INTERRUPT)
.LBB3_265:
	s_or_b32 exec_lo, exec_lo, s1
	s_branch .LBB3_269
	.p2align	6
.LBB3_266:                              ;   in Loop: Header=BB3_269 Depth=1
	s_or_b32 exec_lo, exec_lo, s1
	s_delay_alu instid0(VALU_DEP_1) | instskip(NEXT) | instid1(VALU_DEP_1)
	v_readfirstlane_b32 s1, v0
	s_cmp_eq_u32 s1, 0
	s_cbranch_scc1 .LBB3_268
; %bb.267:                              ;   in Loop: Header=BB3_269 Depth=1
	s_sleep 1
	s_cbranch_execnz .LBB3_269
	s_branch .LBB3_271
	.p2align	6
.LBB3_268:
	s_branch .LBB3_271
.LBB3_269:                              ; =>This Inner Loop Header: Depth=1
	v_mov_b32_e32 v0, 1
	s_and_saveexec_b32 s1, s0
	s_cbranch_execz .LBB3_266
; %bb.270:                              ;   in Loop: Header=BB3_269 Depth=1
	global_load_b32 v0, v[10:11], off offset:20 glc
	s_waitcnt vmcnt(0)
	buffer_gl1_inv
	buffer_gl0_inv
	v_and_b32_e32 v0, 1, v0
	s_branch .LBB3_266
.LBB3_271:
	global_load_b64 v[0:1], v[12:13], off
	s_and_saveexec_b32 s1, s0
	s_cbranch_execz .LBB3_275
; %bb.272:
	v_mov_b32_e32 v10, 0
	s_clause 0x2
	global_load_b64 v[2:3], v10, s[2:3] offset:40
	global_load_b64 v[11:12], v10, s[2:3] offset:24 glc
	global_load_b64 v[8:9], v10, s[2:3]
	s_waitcnt vmcnt(2)
	v_add_co_u32 v13, vcc_lo, v2, 1
	v_add_co_ci_u32_e32 v14, vcc_lo, 0, v3, vcc_lo
	s_delay_alu instid0(VALU_DEP_2) | instskip(NEXT) | instid1(VALU_DEP_2)
	v_add_co_u32 v6, vcc_lo, v13, s4
	v_add_co_ci_u32_e32 v7, vcc_lo, s5, v14, vcc_lo
	s_delay_alu instid0(VALU_DEP_1) | instskip(SKIP_1) | instid1(VALU_DEP_1)
	v_cmp_eq_u64_e32 vcc_lo, 0, v[6:7]
	v_dual_cndmask_b32 v7, v7, v14 :: v_dual_cndmask_b32 v6, v6, v13
	v_and_b32_e32 v3, v7, v3
	s_delay_alu instid0(VALU_DEP_2) | instskip(NEXT) | instid1(VALU_DEP_2)
	v_and_b32_e32 v2, v6, v2
	v_mul_lo_u32 v3, v3, 24
	s_delay_alu instid0(VALU_DEP_2) | instskip(SKIP_1) | instid1(VALU_DEP_2)
	v_mul_hi_u32 v13, v2, 24
	v_mul_lo_u32 v2, v2, 24
	v_add_nc_u32_e32 v3, v13, v3
	s_waitcnt vmcnt(0)
	s_delay_alu instid0(VALU_DEP_2) | instskip(SKIP_1) | instid1(VALU_DEP_3)
	v_add_co_u32 v2, vcc_lo, v8, v2
	v_mov_b32_e32 v8, v11
	v_add_co_ci_u32_e32 v3, vcc_lo, v9, v3, vcc_lo
	v_mov_b32_e32 v9, v12
	global_store_b64 v[2:3], v[11:12], off
	s_waitcnt_vscnt null, 0x0
	global_atomic_cmpswap_b64 v[8:9], v10, v[6:9], s[2:3] offset:24 glc
	s_waitcnt vmcnt(0)
	v_cmp_ne_u64_e32 vcc_lo, v[8:9], v[11:12]
	s_and_b32 exec_lo, exec_lo, vcc_lo
	s_cbranch_execz .LBB3_275
; %bb.273:
	s_mov_b32 s0, 0
.LBB3_274:                              ; =>This Inner Loop Header: Depth=1
	s_sleep 1
	global_store_b64 v[2:3], v[8:9], off
	s_waitcnt_vscnt null, 0x0
	global_atomic_cmpswap_b64 v[11:12], v10, v[6:9], s[2:3] offset:24 glc
	s_waitcnt vmcnt(0)
	v_cmp_eq_u64_e32 vcc_lo, v[11:12], v[8:9]
	v_dual_mov_b32 v8, v11 :: v_dual_mov_b32 v9, v12
	s_or_b32 s0, vcc_lo, s0
	s_delay_alu instid0(SALU_CYCLE_1)
	s_and_not1_b32 exec_lo, exec_lo, s0
	s_cbranch_execnz .LBB3_274
.LBB3_275:
	s_or_b32 exec_lo, exec_lo, s1
	v_dual_mov_b32 v7, v5 :: v_dual_mov_b32 v6, v4
	s_mov_b32 s0, 0
.LBB3_276:                              ; =>This Inner Loop Header: Depth=1
	flat_load_u8 v8, v[6:7]
	v_add_co_u32 v2, vcc_lo, v6, 1
	v_add_co_ci_u32_e32 v3, vcc_lo, 0, v7, vcc_lo
	s_delay_alu instid0(VALU_DEP_1) | instskip(SKIP_3) | instid1(SALU_CYCLE_1)
	v_dual_mov_b32 v7, v3 :: v_dual_mov_b32 v6, v2
	s_waitcnt vmcnt(0) lgkmcnt(0)
	v_cmp_eq_u16_e32 vcc_lo, 0, v8
	s_or_b32 s0, vcc_lo, s0
	s_and_not1_b32 exec_lo, exec_lo, s0
	s_cbranch_execnz .LBB3_276
; %bb.277:
	s_or_b32 exec_lo, exec_lo, s0
	s_delay_alu instid0(SALU_CYCLE_1)
	s_mov_b32 s0, exec_lo
	v_cmpx_ne_u64_e32 0, v[4:5]
	s_xor_b32 s10, exec_lo, s0
	s_cbranch_execz .LBB3_363
; %bb.278:
	v_sub_nc_u32_e32 v26, v2, v4
	v_dual_mov_b32 v7, 0 :: v_dual_and_b32 v32, 2, v0
	v_dual_mov_b32 v9, 1 :: v_dual_and_b32 v0, -3, v0
	v_mov_b32_e32 v8, 2
	s_delay_alu instid0(VALU_DEP_4)
	v_ashrrev_i32_e32 v27, 31, v26
	s_mov_b32 s12, 0
	s_mov_b32 s11, 0
	s_branch .LBB3_280
.LBB3_279:                              ;   in Loop: Header=BB3_280 Depth=1
	s_or_b32 exec_lo, exec_lo, s1
	v_sub_co_u32 v26, vcc_lo, v26, v28
	v_sub_co_ci_u32_e32 v27, vcc_lo, v27, v29, vcc_lo
	v_add_co_u32 v4, s0, v4, v28
	s_delay_alu instid0(VALU_DEP_1) | instskip(NEXT) | instid1(VALU_DEP_3)
	v_add_co_ci_u32_e64 v5, s0, v5, v29, s0
	v_cmp_eq_u64_e32 vcc_lo, 0, v[26:27]
	s_or_b32 s11, vcc_lo, s11
	s_delay_alu instid0(SALU_CYCLE_1)
	s_and_not1_b32 exec_lo, exec_lo, s11
	s_cbranch_execz .LBB3_362
.LBB3_280:                              ; =>This Loop Header: Depth=1
                                        ;     Child Loop BB3_283 Depth 2
                                        ;     Child Loop BB3_291 Depth 2
	;; [unrolled: 1-line block ×11, first 2 shown]
	s_delay_alu instid0(VALU_DEP_1)
	v_cmp_gt_u64_e32 vcc_lo, 56, v[26:27]
	s_mov_b32 s1, exec_lo
                                        ; implicit-def: $vgpr2_vgpr3
                                        ; implicit-def: $sgpr4
	v_dual_cndmask_b32 v29, 0, v27 :: v_dual_cndmask_b32 v28, 56, v26
	v_cmpx_gt_u64_e32 8, v[26:27]
	s_xor_b32 s1, exec_lo, s1
	s_cbranch_execz .LBB3_286
; %bb.281:                              ;   in Loop: Header=BB3_280 Depth=1
	s_waitcnt vmcnt(0)
	v_mov_b32_e32 v2, 0
	v_mov_b32_e32 v3, 0
	s_mov_b64 s[4:5], 0
	s_mov_b32 s6, exec_lo
	v_cmpx_ne_u64_e32 0, v[26:27]
	s_cbranch_execz .LBB3_285
; %bb.282:                              ;   in Loop: Header=BB3_280 Depth=1
	v_lshlrev_b64 v[10:11], 3, v[28:29]
	v_mov_b32_e32 v2, 0
	v_dual_mov_b32 v3, 0 :: v_dual_mov_b32 v12, v5
	v_mov_b32_e32 v11, v4
	s_mov_b32 s7, 0
	.p2align	6
.LBB3_283:                              ;   Parent Loop BB3_280 Depth=1
                                        ; =>  This Inner Loop Header: Depth=2
	flat_load_u8 v6, v[11:12]
	v_mov_b32_e32 v14, s12
	v_add_co_u32 v11, vcc_lo, v11, 1
	v_add_co_ci_u32_e32 v12, vcc_lo, 0, v12, vcc_lo
	s_waitcnt vmcnt(0) lgkmcnt(0)
	v_and_b32_e32 v13, 0xffff, v6
	s_delay_alu instid0(VALU_DEP_1) | instskip(SKIP_3) | instid1(VALU_DEP_2)
	v_lshlrev_b64 v[13:14], s4, v[13:14]
	s_add_u32 s4, s4, 8
	s_addc_u32 s5, s5, 0
	v_cmp_eq_u32_e64 s0, s4, v10
	v_or_b32_e32 v3, v14, v3
	s_delay_alu instid0(VALU_DEP_3) | instskip(NEXT) | instid1(VALU_DEP_3)
	v_or_b32_e32 v2, v13, v2
	s_or_b32 s7, s0, s7
	s_delay_alu instid0(SALU_CYCLE_1)
	s_and_not1_b32 exec_lo, exec_lo, s7
	s_cbranch_execnz .LBB3_283
; %bb.284:                              ;   in Loop: Header=BB3_280 Depth=1
	s_or_b32 exec_lo, exec_lo, s7
.LBB3_285:                              ;   in Loop: Header=BB3_280 Depth=1
	s_delay_alu instid0(SALU_CYCLE_1)
	s_or_b32 exec_lo, exec_lo, s6
	s_mov_b32 s4, 0
.LBB3_286:                              ;   in Loop: Header=BB3_280 Depth=1
	s_or_saveexec_b32 s0, s1
	v_dual_mov_b32 v6, s4 :: v_dual_mov_b32 v23, v5
	v_mov_b32_e32 v22, v4
	s_xor_b32 exec_lo, exec_lo, s0
	s_cbranch_execz .LBB3_288
; %bb.287:                              ;   in Loop: Header=BB3_280 Depth=1
	s_waitcnt vmcnt(0)
	flat_load_b64 v[2:3], v[4:5]
	v_add_co_u32 v22, vcc_lo, v4, 8
	v_add_co_ci_u32_e32 v23, vcc_lo, 0, v5, vcc_lo
	s_waitcnt vmcnt(0) lgkmcnt(0)
	v_and_b32_e32 v6, 0xff, v3
	v_and_b32_e32 v10, 0xff00, v3
	;; [unrolled: 1-line block ×4, first 2 shown]
	v_or3_b32 v2, v2, 0, 0
	s_delay_alu instid0(VALU_DEP_4) | instskip(SKIP_1) | instid1(VALU_DEP_2)
	v_or_b32_e32 v10, v6, v10
	v_add_nc_u32_e32 v6, -8, v28
	v_or3_b32 v3, v10, v11, v3
.LBB3_288:                              ;   in Loop: Header=BB3_280 Depth=1
	s_or_b32 exec_lo, exec_lo, s0
                                        ; implicit-def: $vgpr10_vgpr11
                                        ; implicit-def: $sgpr1
	s_delay_alu instid0(SALU_CYCLE_1) | instskip(NEXT) | instid1(VALU_DEP_2)
	s_mov_b32 s0, exec_lo
	v_cmpx_gt_u32_e32 8, v6
	s_xor_b32 s6, exec_lo, s0
	s_cbranch_execz .LBB3_294
; %bb.289:                              ;   in Loop: Header=BB3_280 Depth=1
	v_mov_b32_e32 v10, 0
	v_mov_b32_e32 v11, 0
	s_mov_b32 s7, exec_lo
	v_cmpx_ne_u32_e32 0, v6
	s_cbranch_execz .LBB3_293
; %bb.290:                              ;   in Loop: Header=BB3_280 Depth=1
	v_mov_b32_e32 v10, 0
	v_mov_b32_e32 v11, 0
	s_mov_b64 s[0:1], 0
	s_mov_b32 s13, 0
	s_mov_b64 s[4:5], 0
	.p2align	6
.LBB3_291:                              ;   Parent Loop BB3_280 Depth=1
                                        ; =>  This Inner Loop Header: Depth=2
	s_delay_alu instid0(SALU_CYCLE_1)
	v_add_co_u32 v12, vcc_lo, v22, s4
	v_add_co_ci_u32_e32 v13, vcc_lo, s5, v23, vcc_lo
	s_add_u32 s4, s4, 1
	s_addc_u32 s5, s5, 0
	v_cmp_eq_u32_e32 vcc_lo, s4, v6
	flat_load_u8 v12, v[12:13]
	s_waitcnt vmcnt(0) lgkmcnt(0)
	v_dual_mov_b32 v13, s12 :: v_dual_and_b32 v12, 0xffff, v12
	s_delay_alu instid0(VALU_DEP_1) | instskip(SKIP_3) | instid1(VALU_DEP_1)
	v_lshlrev_b64 v[12:13], s0, v[12:13]
	s_add_u32 s0, s0, 8
	s_addc_u32 s1, s1, 0
	s_or_b32 s13, vcc_lo, s13
	v_or_b32_e32 v11, v13, v11
	s_delay_alu instid0(VALU_DEP_2)
	v_or_b32_e32 v10, v12, v10
	s_and_not1_b32 exec_lo, exec_lo, s13
	s_cbranch_execnz .LBB3_291
; %bb.292:                              ;   in Loop: Header=BB3_280 Depth=1
	s_or_b32 exec_lo, exec_lo, s13
.LBB3_293:                              ;   in Loop: Header=BB3_280 Depth=1
	s_delay_alu instid0(SALU_CYCLE_1)
	s_or_b32 exec_lo, exec_lo, s7
	s_mov_b32 s1, 0
                                        ; implicit-def: $vgpr6
.LBB3_294:                              ;   in Loop: Header=BB3_280 Depth=1
	s_or_saveexec_b32 s0, s6
	v_mov_b32_e32 v14, s1
	s_xor_b32 exec_lo, exec_lo, s0
	s_cbranch_execz .LBB3_296
; %bb.295:                              ;   in Loop: Header=BB3_280 Depth=1
	flat_load_b64 v[10:11], v[22:23]
	v_add_co_u32 v22, vcc_lo, v22, 8
	v_add_nc_u32_e32 v14, -8, v6
	v_add_co_ci_u32_e32 v23, vcc_lo, 0, v23, vcc_lo
	s_waitcnt vmcnt(0) lgkmcnt(0)
	v_and_b32_e32 v12, 0xff, v11
	v_and_b32_e32 v13, 0xff00, v11
	;; [unrolled: 1-line block ×4, first 2 shown]
	v_or3_b32 v10, v10, 0, 0
	s_delay_alu instid0(VALU_DEP_4) | instskip(NEXT) | instid1(VALU_DEP_1)
	v_or_b32_e32 v12, v12, v13
	v_or3_b32 v11, v12, v15, v11
.LBB3_296:                              ;   in Loop: Header=BB3_280 Depth=1
	s_or_b32 exec_lo, exec_lo, s0
                                        ; implicit-def: $sgpr1
	s_delay_alu instid0(SALU_CYCLE_1)
	s_mov_b32 s0, exec_lo
	v_cmpx_gt_u32_e32 8, v14
	s_xor_b32 s6, exec_lo, s0
	s_cbranch_execz .LBB3_302
; %bb.297:                              ;   in Loop: Header=BB3_280 Depth=1
	v_mov_b32_e32 v12, 0
	v_mov_b32_e32 v13, 0
	s_mov_b32 s7, exec_lo
	v_cmpx_ne_u32_e32 0, v14
	s_cbranch_execz .LBB3_301
; %bb.298:                              ;   in Loop: Header=BB3_280 Depth=1
	v_mov_b32_e32 v12, 0
	v_mov_b32_e32 v13, 0
	s_mov_b64 s[0:1], 0
	s_mov_b32 s13, 0
	s_mov_b64 s[4:5], 0
	.p2align	6
.LBB3_299:                              ;   Parent Loop BB3_280 Depth=1
                                        ; =>  This Inner Loop Header: Depth=2
	s_delay_alu instid0(SALU_CYCLE_1)
	v_add_co_u32 v15, vcc_lo, v22, s4
	v_add_co_ci_u32_e32 v16, vcc_lo, s5, v23, vcc_lo
	s_add_u32 s4, s4, 1
	s_addc_u32 s5, s5, 0
	v_cmp_eq_u32_e32 vcc_lo, s4, v14
	flat_load_u8 v6, v[15:16]
	s_waitcnt vmcnt(0) lgkmcnt(0)
	v_dual_mov_b32 v16, s12 :: v_dual_and_b32 v15, 0xffff, v6
	s_delay_alu instid0(VALU_DEP_1) | instskip(SKIP_3) | instid1(VALU_DEP_1)
	v_lshlrev_b64 v[15:16], s0, v[15:16]
	s_add_u32 s0, s0, 8
	s_addc_u32 s1, s1, 0
	s_or_b32 s13, vcc_lo, s13
	v_or_b32_e32 v13, v16, v13
	s_delay_alu instid0(VALU_DEP_2)
	v_or_b32_e32 v12, v15, v12
	s_and_not1_b32 exec_lo, exec_lo, s13
	s_cbranch_execnz .LBB3_299
; %bb.300:                              ;   in Loop: Header=BB3_280 Depth=1
	s_or_b32 exec_lo, exec_lo, s13
.LBB3_301:                              ;   in Loop: Header=BB3_280 Depth=1
	s_delay_alu instid0(SALU_CYCLE_1)
	s_or_b32 exec_lo, exec_lo, s7
	s_mov_b32 s1, 0
                                        ; implicit-def: $vgpr14
.LBB3_302:                              ;   in Loop: Header=BB3_280 Depth=1
	s_or_saveexec_b32 s0, s6
	v_mov_b32_e32 v6, s1
	s_xor_b32 exec_lo, exec_lo, s0
	s_cbranch_execz .LBB3_304
; %bb.303:                              ;   in Loop: Header=BB3_280 Depth=1
	flat_load_b64 v[12:13], v[22:23]
	v_add_co_u32 v22, vcc_lo, v22, 8
	v_add_co_ci_u32_e32 v23, vcc_lo, 0, v23, vcc_lo
	s_waitcnt vmcnt(0) lgkmcnt(0)
	v_and_b32_e32 v6, 0xff, v13
	v_and_b32_e32 v15, 0xff00, v13
	v_and_b32_e32 v16, 0xff0000, v13
	v_and_b32_e32 v13, 0xff000000, v13
	v_or3_b32 v12, v12, 0, 0
	s_delay_alu instid0(VALU_DEP_4) | instskip(SKIP_1) | instid1(VALU_DEP_2)
	v_or_b32_e32 v15, v6, v15
	v_add_nc_u32_e32 v6, -8, v14
	v_or3_b32 v13, v15, v16, v13
.LBB3_304:                              ;   in Loop: Header=BB3_280 Depth=1
	s_or_b32 exec_lo, exec_lo, s0
                                        ; implicit-def: $vgpr14_vgpr15
                                        ; implicit-def: $sgpr1
	s_delay_alu instid0(SALU_CYCLE_1) | instskip(NEXT) | instid1(VALU_DEP_1)
	s_mov_b32 s0, exec_lo
	v_cmpx_gt_u32_e32 8, v6
	s_xor_b32 s6, exec_lo, s0
	s_cbranch_execz .LBB3_310
; %bb.305:                              ;   in Loop: Header=BB3_280 Depth=1
	v_mov_b32_e32 v14, 0
	v_mov_b32_e32 v15, 0
	s_mov_b32 s7, exec_lo
	v_cmpx_ne_u32_e32 0, v6
	s_cbranch_execz .LBB3_309
; %bb.306:                              ;   in Loop: Header=BB3_280 Depth=1
	v_mov_b32_e32 v14, 0
	v_mov_b32_e32 v15, 0
	s_mov_b64 s[0:1], 0
	s_mov_b32 s13, 0
	s_mov_b64 s[4:5], 0
	.p2align	6
.LBB3_307:                              ;   Parent Loop BB3_280 Depth=1
                                        ; =>  This Inner Loop Header: Depth=2
	s_delay_alu instid0(SALU_CYCLE_1)
	v_add_co_u32 v16, vcc_lo, v22, s4
	v_add_co_ci_u32_e32 v17, vcc_lo, s5, v23, vcc_lo
	s_add_u32 s4, s4, 1
	s_addc_u32 s5, s5, 0
	v_cmp_eq_u32_e32 vcc_lo, s4, v6
	flat_load_u8 v16, v[16:17]
	s_waitcnt vmcnt(0) lgkmcnt(0)
	v_dual_mov_b32 v17, s12 :: v_dual_and_b32 v16, 0xffff, v16
	s_delay_alu instid0(VALU_DEP_1) | instskip(SKIP_3) | instid1(VALU_DEP_1)
	v_lshlrev_b64 v[16:17], s0, v[16:17]
	s_add_u32 s0, s0, 8
	s_addc_u32 s1, s1, 0
	s_or_b32 s13, vcc_lo, s13
	v_or_b32_e32 v15, v17, v15
	s_delay_alu instid0(VALU_DEP_2)
	v_or_b32_e32 v14, v16, v14
	s_and_not1_b32 exec_lo, exec_lo, s13
	s_cbranch_execnz .LBB3_307
; %bb.308:                              ;   in Loop: Header=BB3_280 Depth=1
	s_or_b32 exec_lo, exec_lo, s13
.LBB3_309:                              ;   in Loop: Header=BB3_280 Depth=1
	s_delay_alu instid0(SALU_CYCLE_1)
	s_or_b32 exec_lo, exec_lo, s7
	s_mov_b32 s1, 0
                                        ; implicit-def: $vgpr6
.LBB3_310:                              ;   in Loop: Header=BB3_280 Depth=1
	s_or_saveexec_b32 s0, s6
	v_mov_b32_e32 v18, s1
	s_xor_b32 exec_lo, exec_lo, s0
	s_cbranch_execz .LBB3_312
; %bb.311:                              ;   in Loop: Header=BB3_280 Depth=1
	flat_load_b64 v[14:15], v[22:23]
	v_add_co_u32 v22, vcc_lo, v22, 8
	v_add_nc_u32_e32 v18, -8, v6
	v_add_co_ci_u32_e32 v23, vcc_lo, 0, v23, vcc_lo
	s_waitcnt vmcnt(0) lgkmcnt(0)
	v_and_b32_e32 v16, 0xff, v15
	v_and_b32_e32 v17, 0xff00, v15
	;; [unrolled: 1-line block ×4, first 2 shown]
	v_or3_b32 v14, v14, 0, 0
	s_delay_alu instid0(VALU_DEP_4) | instskip(NEXT) | instid1(VALU_DEP_1)
	v_or_b32_e32 v16, v16, v17
	v_or3_b32 v15, v16, v19, v15
.LBB3_312:                              ;   in Loop: Header=BB3_280 Depth=1
	s_or_b32 exec_lo, exec_lo, s0
                                        ; implicit-def: $sgpr1
	s_delay_alu instid0(SALU_CYCLE_1)
	s_mov_b32 s0, exec_lo
	v_cmpx_gt_u32_e32 8, v18
	s_xor_b32 s6, exec_lo, s0
	s_cbranch_execz .LBB3_318
; %bb.313:                              ;   in Loop: Header=BB3_280 Depth=1
	v_mov_b32_e32 v16, 0
	v_mov_b32_e32 v17, 0
	s_mov_b32 s7, exec_lo
	v_cmpx_ne_u32_e32 0, v18
	s_cbranch_execz .LBB3_317
; %bb.314:                              ;   in Loop: Header=BB3_280 Depth=1
	v_mov_b32_e32 v16, 0
	v_mov_b32_e32 v17, 0
	s_mov_b64 s[0:1], 0
	s_mov_b32 s13, 0
	s_mov_b64 s[4:5], 0
	.p2align	6
.LBB3_315:                              ;   Parent Loop BB3_280 Depth=1
                                        ; =>  This Inner Loop Header: Depth=2
	s_delay_alu instid0(SALU_CYCLE_1)
	v_add_co_u32 v19, vcc_lo, v22, s4
	v_add_co_ci_u32_e32 v20, vcc_lo, s5, v23, vcc_lo
	s_add_u32 s4, s4, 1
	s_addc_u32 s5, s5, 0
	v_cmp_eq_u32_e32 vcc_lo, s4, v18
	flat_load_u8 v6, v[19:20]
	s_waitcnt vmcnt(0) lgkmcnt(0)
	v_dual_mov_b32 v20, s12 :: v_dual_and_b32 v19, 0xffff, v6
	s_delay_alu instid0(VALU_DEP_1) | instskip(SKIP_3) | instid1(VALU_DEP_1)
	v_lshlrev_b64 v[19:20], s0, v[19:20]
	s_add_u32 s0, s0, 8
	s_addc_u32 s1, s1, 0
	s_or_b32 s13, vcc_lo, s13
	v_or_b32_e32 v17, v20, v17
	s_delay_alu instid0(VALU_DEP_2)
	v_or_b32_e32 v16, v19, v16
	s_and_not1_b32 exec_lo, exec_lo, s13
	s_cbranch_execnz .LBB3_315
; %bb.316:                              ;   in Loop: Header=BB3_280 Depth=1
	s_or_b32 exec_lo, exec_lo, s13
.LBB3_317:                              ;   in Loop: Header=BB3_280 Depth=1
	s_delay_alu instid0(SALU_CYCLE_1)
	s_or_b32 exec_lo, exec_lo, s7
	s_mov_b32 s1, 0
                                        ; implicit-def: $vgpr18
.LBB3_318:                              ;   in Loop: Header=BB3_280 Depth=1
	s_or_saveexec_b32 s0, s6
	v_mov_b32_e32 v6, s1
	s_xor_b32 exec_lo, exec_lo, s0
	s_cbranch_execz .LBB3_320
; %bb.319:                              ;   in Loop: Header=BB3_280 Depth=1
	flat_load_b64 v[16:17], v[22:23]
	v_add_co_u32 v22, vcc_lo, v22, 8
	v_add_co_ci_u32_e32 v23, vcc_lo, 0, v23, vcc_lo
	s_waitcnt vmcnt(0) lgkmcnt(0)
	v_and_b32_e32 v6, 0xff, v17
	v_and_b32_e32 v19, 0xff00, v17
	;; [unrolled: 1-line block ×4, first 2 shown]
	v_or3_b32 v16, v16, 0, 0
	s_delay_alu instid0(VALU_DEP_4) | instskip(SKIP_1) | instid1(VALU_DEP_2)
	v_or_b32_e32 v19, v6, v19
	v_add_nc_u32_e32 v6, -8, v18
	v_or3_b32 v17, v19, v20, v17
.LBB3_320:                              ;   in Loop: Header=BB3_280 Depth=1
	s_or_b32 exec_lo, exec_lo, s0
                                        ; implicit-def: $vgpr18_vgpr19
                                        ; implicit-def: $sgpr1
	s_delay_alu instid0(SALU_CYCLE_1) | instskip(NEXT) | instid1(VALU_DEP_1)
	s_mov_b32 s0, exec_lo
	v_cmpx_gt_u32_e32 8, v6
	s_xor_b32 s6, exec_lo, s0
	s_cbranch_execz .LBB3_326
; %bb.321:                              ;   in Loop: Header=BB3_280 Depth=1
	v_mov_b32_e32 v18, 0
	v_mov_b32_e32 v19, 0
	s_mov_b32 s7, exec_lo
	v_cmpx_ne_u32_e32 0, v6
	s_cbranch_execz .LBB3_325
; %bb.322:                              ;   in Loop: Header=BB3_280 Depth=1
	v_mov_b32_e32 v18, 0
	v_mov_b32_e32 v19, 0
	s_mov_b64 s[0:1], 0
	s_mov_b32 s13, 0
	s_mov_b64 s[4:5], 0
	.p2align	6
.LBB3_323:                              ;   Parent Loop BB3_280 Depth=1
                                        ; =>  This Inner Loop Header: Depth=2
	s_delay_alu instid0(SALU_CYCLE_1)
	v_add_co_u32 v20, vcc_lo, v22, s4
	v_add_co_ci_u32_e32 v21, vcc_lo, s5, v23, vcc_lo
	s_add_u32 s4, s4, 1
	s_addc_u32 s5, s5, 0
	v_cmp_eq_u32_e32 vcc_lo, s4, v6
	flat_load_u8 v20, v[20:21]
	s_waitcnt vmcnt(0) lgkmcnt(0)
	v_dual_mov_b32 v21, s12 :: v_dual_and_b32 v20, 0xffff, v20
	s_delay_alu instid0(VALU_DEP_1) | instskip(SKIP_3) | instid1(VALU_DEP_1)
	v_lshlrev_b64 v[20:21], s0, v[20:21]
	s_add_u32 s0, s0, 8
	s_addc_u32 s1, s1, 0
	s_or_b32 s13, vcc_lo, s13
	v_or_b32_e32 v19, v21, v19
	s_delay_alu instid0(VALU_DEP_2)
	v_or_b32_e32 v18, v20, v18
	s_and_not1_b32 exec_lo, exec_lo, s13
	s_cbranch_execnz .LBB3_323
; %bb.324:                              ;   in Loop: Header=BB3_280 Depth=1
	s_or_b32 exec_lo, exec_lo, s13
.LBB3_325:                              ;   in Loop: Header=BB3_280 Depth=1
	s_delay_alu instid0(SALU_CYCLE_1)
	s_or_b32 exec_lo, exec_lo, s7
	s_mov_b32 s1, 0
                                        ; implicit-def: $vgpr6
.LBB3_326:                              ;   in Loop: Header=BB3_280 Depth=1
	s_or_saveexec_b32 s0, s6
	v_mov_b32_e32 v24, s1
	s_xor_b32 exec_lo, exec_lo, s0
	s_cbranch_execz .LBB3_328
; %bb.327:                              ;   in Loop: Header=BB3_280 Depth=1
	flat_load_b64 v[18:19], v[22:23]
	v_add_co_u32 v22, vcc_lo, v22, 8
	v_add_nc_u32_e32 v24, -8, v6
	v_add_co_ci_u32_e32 v23, vcc_lo, 0, v23, vcc_lo
	s_waitcnt vmcnt(0) lgkmcnt(0)
	v_and_b32_e32 v20, 0xff, v19
	v_and_b32_e32 v21, 0xff00, v19
	v_and_b32_e32 v25, 0xff0000, v19
	v_and_b32_e32 v19, 0xff000000, v19
	v_or3_b32 v18, v18, 0, 0
	s_delay_alu instid0(VALU_DEP_4) | instskip(NEXT) | instid1(VALU_DEP_1)
	v_or_b32_e32 v20, v20, v21
	v_or3_b32 v19, v20, v25, v19
.LBB3_328:                              ;   in Loop: Header=BB3_280 Depth=1
	s_or_b32 exec_lo, exec_lo, s0
	s_delay_alu instid0(SALU_CYCLE_1)
	s_mov_b32 s0, exec_lo
	v_cmpx_gt_u32_e32 8, v24
	s_xor_b32 s4, exec_lo, s0
	s_cbranch_execz .LBB3_334
; %bb.329:                              ;   in Loop: Header=BB3_280 Depth=1
	v_mov_b32_e32 v20, 0
	v_mov_b32_e32 v21, 0
	s_mov_b32 s5, exec_lo
	v_cmpx_ne_u32_e32 0, v24
	s_cbranch_execz .LBB3_333
; %bb.330:                              ;   in Loop: Header=BB3_280 Depth=1
	v_mov_b32_e32 v20, 0
	v_mov_b32_e32 v21, 0
	s_mov_b64 s[0:1], 0
	s_mov_b32 s6, 0
	.p2align	6
.LBB3_331:                              ;   Parent Loop BB3_280 Depth=1
                                        ; =>  This Inner Loop Header: Depth=2
	flat_load_u8 v6, v[22:23]
	v_dual_mov_b32 v31, s12 :: v_dual_add_nc_u32 v24, -1, v24
	v_add_co_u32 v22, vcc_lo, v22, 1
	v_add_co_ci_u32_e32 v23, vcc_lo, 0, v23, vcc_lo
	s_delay_alu instid0(VALU_DEP_3) | instskip(SKIP_2) | instid1(VALU_DEP_1)
	v_cmp_eq_u32_e32 vcc_lo, 0, v24
	s_waitcnt vmcnt(0) lgkmcnt(0)
	v_and_b32_e32 v30, 0xffff, v6
	v_lshlrev_b64 v[30:31], s0, v[30:31]
	s_add_u32 s0, s0, 8
	s_addc_u32 s1, s1, 0
	s_or_b32 s6, vcc_lo, s6
	s_delay_alu instid0(VALU_DEP_1) | instskip(NEXT) | instid1(VALU_DEP_2)
	v_or_b32_e32 v21, v31, v21
	v_or_b32_e32 v20, v30, v20
	s_and_not1_b32 exec_lo, exec_lo, s6
	s_cbranch_execnz .LBB3_331
; %bb.332:                              ;   in Loop: Header=BB3_280 Depth=1
	s_or_b32 exec_lo, exec_lo, s6
.LBB3_333:                              ;   in Loop: Header=BB3_280 Depth=1
	s_delay_alu instid0(SALU_CYCLE_1)
	s_or_b32 exec_lo, exec_lo, s5
                                        ; implicit-def: $vgpr22_vgpr23
.LBB3_334:                              ;   in Loop: Header=BB3_280 Depth=1
	s_and_not1_saveexec_b32 s0, s4
	s_cbranch_execz .LBB3_336
; %bb.335:                              ;   in Loop: Header=BB3_280 Depth=1
	flat_load_b64 v[20:21], v[22:23]
	s_waitcnt vmcnt(0) lgkmcnt(0)
	v_and_b32_e32 v6, 0xff, v21
	v_and_b32_e32 v22, 0xff00, v21
	;; [unrolled: 1-line block ×4, first 2 shown]
	v_or3_b32 v20, v20, 0, 0
	s_delay_alu instid0(VALU_DEP_4) | instskip(NEXT) | instid1(VALU_DEP_1)
	v_or_b32_e32 v6, v6, v22
	v_or3_b32 v21, v6, v23, v21
.LBB3_336:                              ;   in Loop: Header=BB3_280 Depth=1
	s_or_b32 exec_lo, exec_lo, s0
	v_readfirstlane_b32 s0, v35
	v_mov_b32_e32 v30, 0
	v_mov_b32_e32 v31, 0
	s_delay_alu instid0(VALU_DEP_3) | instskip(NEXT) | instid1(VALU_DEP_1)
	v_cmp_eq_u32_e64 s0, s0, v35
	s_and_saveexec_b32 s1, s0
	s_cbranch_execz .LBB3_342
; %bb.337:                              ;   in Loop: Header=BB3_280 Depth=1
	global_load_b64 v[24:25], v7, s[2:3] offset:24 glc
	s_waitcnt vmcnt(0)
	buffer_gl1_inv
	buffer_gl0_inv
	s_clause 0x1
	global_load_b64 v[22:23], v7, s[2:3] offset:40
	global_load_b64 v[30:31], v7, s[2:3]
	s_mov_b32 s4, exec_lo
	s_waitcnt vmcnt(1)
	v_and_b32_e32 v6, v23, v25
	v_and_b32_e32 v22, v22, v24
	s_delay_alu instid0(VALU_DEP_2) | instskip(NEXT) | instid1(VALU_DEP_2)
	v_mul_lo_u32 v6, v6, 24
	v_mul_hi_u32 v23, v22, 24
	v_mul_lo_u32 v22, v22, 24
	s_delay_alu instid0(VALU_DEP_2) | instskip(SKIP_1) | instid1(VALU_DEP_2)
	v_add_nc_u32_e32 v6, v23, v6
	s_waitcnt vmcnt(0)
	v_add_co_u32 v22, vcc_lo, v30, v22
	s_delay_alu instid0(VALU_DEP_2)
	v_add_co_ci_u32_e32 v23, vcc_lo, v31, v6, vcc_lo
	global_load_b64 v[22:23], v[22:23], off glc
	s_waitcnt vmcnt(0)
	global_atomic_cmpswap_b64 v[30:31], v7, v[22:25], s[2:3] offset:24 glc
	s_waitcnt vmcnt(0)
	buffer_gl1_inv
	buffer_gl0_inv
	v_cmpx_ne_u64_e64 v[30:31], v[24:25]
	s_cbranch_execz .LBB3_341
; %bb.338:                              ;   in Loop: Header=BB3_280 Depth=1
	s_mov_b32 s5, 0
	.p2align	6
.LBB3_339:                              ;   Parent Loop BB3_280 Depth=1
                                        ; =>  This Inner Loop Header: Depth=2
	s_sleep 1
	s_clause 0x1
	global_load_b64 v[22:23], v7, s[2:3] offset:40
	global_load_b64 v[36:37], v7, s[2:3]
	v_dual_mov_b32 v24, v30 :: v_dual_mov_b32 v25, v31
	s_waitcnt vmcnt(1)
	s_delay_alu instid0(VALU_DEP_1) | instskip(NEXT) | instid1(VALU_DEP_2)
	v_and_b32_e32 v6, v22, v24
	v_and_b32_e32 v33, v23, v25
	s_waitcnt vmcnt(0)
	s_delay_alu instid0(VALU_DEP_2) | instskip(NEXT) | instid1(VALU_DEP_1)
	v_mad_u64_u32 v[30:31], null, v6, 24, v[36:37]
	v_mov_b32_e32 v6, v31
	s_delay_alu instid0(VALU_DEP_1) | instskip(NEXT) | instid1(VALU_DEP_1)
	v_mad_u64_u32 v[22:23], null, v33, 24, v[6:7]
	v_mov_b32_e32 v31, v22
	global_load_b64 v[22:23], v[30:31], off glc
	s_waitcnt vmcnt(0)
	global_atomic_cmpswap_b64 v[30:31], v7, v[22:25], s[2:3] offset:24 glc
	s_waitcnt vmcnt(0)
	buffer_gl1_inv
	buffer_gl0_inv
	v_cmp_eq_u64_e32 vcc_lo, v[30:31], v[24:25]
	s_or_b32 s5, vcc_lo, s5
	s_delay_alu instid0(SALU_CYCLE_1)
	s_and_not1_b32 exec_lo, exec_lo, s5
	s_cbranch_execnz .LBB3_339
; %bb.340:                              ;   in Loop: Header=BB3_280 Depth=1
	s_or_b32 exec_lo, exec_lo, s5
.LBB3_341:                              ;   in Loop: Header=BB3_280 Depth=1
	s_delay_alu instid0(SALU_CYCLE_1)
	s_or_b32 exec_lo, exec_lo, s4
.LBB3_342:                              ;   in Loop: Header=BB3_280 Depth=1
	s_delay_alu instid0(SALU_CYCLE_1)
	s_or_b32 exec_lo, exec_lo, s1
	s_clause 0x1
	global_load_b64 v[36:37], v7, s[2:3] offset:40
	global_load_b128 v[22:25], v7, s[2:3]
	v_readfirstlane_b32 s4, v30
	v_readfirstlane_b32 s5, v31
	s_mov_b32 s1, exec_lo
	s_waitcnt vmcnt(1)
	v_readfirstlane_b32 s6, v36
	v_readfirstlane_b32 s7, v37
	s_delay_alu instid0(VALU_DEP_1) | instskip(NEXT) | instid1(SALU_CYCLE_1)
	s_and_b64 s[6:7], s[4:5], s[6:7]
	s_mul_i32 s13, s7, 24
	s_mul_hi_u32 s14, s6, 24
	s_mul_i32 s15, s6, 24
	s_add_i32 s14, s14, s13
	s_waitcnt vmcnt(0)
	v_add_co_u32 v30, vcc_lo, v22, s15
	v_add_co_ci_u32_e32 v31, vcc_lo, s14, v23, vcc_lo
	s_and_saveexec_b32 s13, s0
	s_cbranch_execz .LBB3_344
; %bb.343:                              ;   in Loop: Header=BB3_280 Depth=1
	v_mov_b32_e32 v6, s1
	global_store_b128 v[30:31], v[6:9], off offset:8
.LBB3_344:                              ;   in Loop: Header=BB3_280 Depth=1
	s_or_b32 exec_lo, exec_lo, s13
	v_cmp_lt_u64_e32 vcc_lo, 56, v[26:27]
	v_or_b32_e32 v6, 0, v1
	v_or_b32_e32 v33, v0, v32
	v_lshl_add_u32 v36, v28, 2, 28
	s_lshl_b64 s[6:7], s[6:7], 12
	s_delay_alu instid0(SALU_CYCLE_1) | instskip(NEXT) | instid1(VALU_DEP_1)
	v_add_co_u32 v24, s1, v24, s6
	v_add_co_ci_u32_e64 v25, s1, s7, v25, s1
	v_dual_cndmask_b32 v1, v6, v1 :: v_dual_cndmask_b32 v0, v33, v0
	v_and_b32_e32 v6, 0x1e0, v36
	s_delay_alu instid0(VALU_DEP_4) | instskip(NEXT) | instid1(VALU_DEP_4)
	v_readfirstlane_b32 s6, v24
	v_readfirstlane_b32 s7, v25
	s_delay_alu instid0(VALU_DEP_3)
	v_and_or_b32 v0, 0xffffff1f, v0, v6
	s_clause 0x3
	global_store_b128 v34, v[0:3], s[6:7]
	global_store_b128 v34, v[10:13], s[6:7] offset:16
	global_store_b128 v34, v[14:17], s[6:7] offset:32
	;; [unrolled: 1-line block ×3, first 2 shown]
	s_and_saveexec_b32 s1, s0
	s_cbranch_execz .LBB3_352
; %bb.345:                              ;   in Loop: Header=BB3_280 Depth=1
	s_clause 0x1
	global_load_b64 v[14:15], v7, s[2:3] offset:32 glc
	global_load_b64 v[0:1], v7, s[2:3] offset:40
	v_dual_mov_b32 v12, s4 :: v_dual_mov_b32 v13, s5
	s_waitcnt vmcnt(0)
	v_readfirstlane_b32 s6, v0
	v_readfirstlane_b32 s7, v1
	s_delay_alu instid0(VALU_DEP_1) | instskip(NEXT) | instid1(SALU_CYCLE_1)
	s_and_b64 s[6:7], s[6:7], s[4:5]
	s_mul_i32 s7, s7, 24
	s_mul_hi_u32 s13, s6, 24
	s_mul_i32 s6, s6, 24
	s_add_i32 s13, s13, s7
	v_add_co_u32 v10, vcc_lo, v22, s6
	v_add_co_ci_u32_e32 v11, vcc_lo, s13, v23, vcc_lo
	s_mov_b32 s6, exec_lo
	global_store_b64 v[10:11], v[14:15], off
	s_waitcnt_vscnt null, 0x0
	global_atomic_cmpswap_b64 v[2:3], v7, v[12:15], s[2:3] offset:32 glc
	s_waitcnt vmcnt(0)
	v_cmpx_ne_u64_e64 v[2:3], v[14:15]
	s_cbranch_execz .LBB3_348
; %bb.346:                              ;   in Loop: Header=BB3_280 Depth=1
	s_mov_b32 s7, 0
.LBB3_347:                              ;   Parent Loop BB3_280 Depth=1
                                        ; =>  This Inner Loop Header: Depth=2
	v_dual_mov_b32 v0, s4 :: v_dual_mov_b32 v1, s5
	s_sleep 1
	global_store_b64 v[10:11], v[2:3], off
	s_waitcnt_vscnt null, 0x0
	global_atomic_cmpswap_b64 v[0:1], v7, v[0:3], s[2:3] offset:32 glc
	s_waitcnt vmcnt(0)
	v_cmp_eq_u64_e32 vcc_lo, v[0:1], v[2:3]
	v_dual_mov_b32 v3, v1 :: v_dual_mov_b32 v2, v0
	s_or_b32 s7, vcc_lo, s7
	s_delay_alu instid0(SALU_CYCLE_1)
	s_and_not1_b32 exec_lo, exec_lo, s7
	s_cbranch_execnz .LBB3_347
.LBB3_348:                              ;   in Loop: Header=BB3_280 Depth=1
	s_or_b32 exec_lo, exec_lo, s6
	global_load_b64 v[0:1], v7, s[2:3] offset:16
	s_mov_b32 s7, exec_lo
	s_mov_b32 s6, exec_lo
	v_mbcnt_lo_u32_b32 v2, s7, 0
	s_delay_alu instid0(VALU_DEP_1)
	v_cmpx_eq_u32_e32 0, v2
	s_cbranch_execz .LBB3_350
; %bb.349:                              ;   in Loop: Header=BB3_280 Depth=1
	s_bcnt1_i32_b32 s7, s7
	s_delay_alu instid0(SALU_CYCLE_1)
	v_mov_b32_e32 v6, s7
	s_waitcnt vmcnt(0)
	global_atomic_add_u64 v[0:1], v[6:7], off offset:8
.LBB3_350:                              ;   in Loop: Header=BB3_280 Depth=1
	s_or_b32 exec_lo, exec_lo, s6
	s_waitcnt vmcnt(0)
	global_load_b64 v[2:3], v[0:1], off offset:16
	s_waitcnt vmcnt(0)
	v_cmp_eq_u64_e32 vcc_lo, 0, v[2:3]
	s_cbranch_vccnz .LBB3_352
; %bb.351:                              ;   in Loop: Header=BB3_280 Depth=1
	global_load_b32 v6, v[0:1], off offset:24
	s_waitcnt vmcnt(0)
	v_and_b32_e32 v0, 0xffffff, v6
	s_waitcnt_vscnt null, 0x0
	global_store_b64 v[2:3], v[6:7], off
	v_readfirstlane_b32 m0, v0
	s_sendmsg sendmsg(MSG_INTERRUPT)
.LBB3_352:                              ;   in Loop: Header=BB3_280 Depth=1
	s_or_b32 exec_lo, exec_lo, s1
	v_add_co_u32 v0, vcc_lo, v24, v34
	v_add_co_ci_u32_e32 v1, vcc_lo, 0, v25, vcc_lo
	s_branch .LBB3_356
	.p2align	6
.LBB3_353:                              ;   in Loop: Header=BB3_356 Depth=2
	s_or_b32 exec_lo, exec_lo, s1
	s_delay_alu instid0(VALU_DEP_1) | instskip(NEXT) | instid1(VALU_DEP_1)
	v_readfirstlane_b32 s1, v2
	s_cmp_eq_u32 s1, 0
	s_cbranch_scc1 .LBB3_355
; %bb.354:                              ;   in Loop: Header=BB3_356 Depth=2
	s_sleep 1
	s_cbranch_execnz .LBB3_356
	s_branch .LBB3_358
	.p2align	6
.LBB3_355:                              ;   in Loop: Header=BB3_280 Depth=1
	s_branch .LBB3_358
.LBB3_356:                              ;   Parent Loop BB3_280 Depth=1
                                        ; =>  This Inner Loop Header: Depth=2
	v_mov_b32_e32 v2, 1
	s_and_saveexec_b32 s1, s0
	s_cbranch_execz .LBB3_353
; %bb.357:                              ;   in Loop: Header=BB3_356 Depth=2
	global_load_b32 v2, v[30:31], off offset:20 glc
	s_waitcnt vmcnt(0)
	buffer_gl1_inv
	buffer_gl0_inv
	v_and_b32_e32 v2, 1, v2
	s_branch .LBB3_353
.LBB3_358:                              ;   in Loop: Header=BB3_280 Depth=1
	global_load_b128 v[0:3], v[0:1], off
	s_and_saveexec_b32 s1, s0
	s_cbranch_execz .LBB3_279
; %bb.359:                              ;   in Loop: Header=BB3_280 Depth=1
	s_clause 0x2
	global_load_b64 v[2:3], v7, s[2:3] offset:40
	global_load_b64 v[14:15], v7, s[2:3] offset:24 glc
	global_load_b64 v[12:13], v7, s[2:3]
	s_waitcnt vmcnt(2)
	v_add_co_u32 v6, vcc_lo, v2, 1
	v_add_co_ci_u32_e32 v16, vcc_lo, 0, v3, vcc_lo
	s_delay_alu instid0(VALU_DEP_2) | instskip(NEXT) | instid1(VALU_DEP_2)
	v_add_co_u32 v10, vcc_lo, v6, s4
	v_add_co_ci_u32_e32 v11, vcc_lo, s5, v16, vcc_lo
	s_delay_alu instid0(VALU_DEP_1) | instskip(SKIP_1) | instid1(VALU_DEP_1)
	v_cmp_eq_u64_e32 vcc_lo, 0, v[10:11]
	v_dual_cndmask_b32 v11, v11, v16 :: v_dual_cndmask_b32 v10, v10, v6
	v_and_b32_e32 v3, v11, v3
	s_delay_alu instid0(VALU_DEP_2) | instskip(NEXT) | instid1(VALU_DEP_1)
	v_and_b32_e32 v2, v10, v2
	v_mul_hi_u32 v6, v2, 24
	v_mul_lo_u32 v2, v2, 24
	s_waitcnt vmcnt(0)
	s_delay_alu instid0(VALU_DEP_1) | instskip(SKIP_2) | instid1(VALU_DEP_1)
	v_add_co_u32 v2, vcc_lo, v12, v2
	v_mov_b32_e32 v12, v14
	v_mul_lo_u32 v3, v3, 24
	v_add_nc_u32_e32 v3, v6, v3
	s_delay_alu instid0(VALU_DEP_1)
	v_add_co_ci_u32_e32 v3, vcc_lo, v13, v3, vcc_lo
	v_mov_b32_e32 v13, v15
	global_store_b64 v[2:3], v[14:15], off
	s_waitcnt_vscnt null, 0x0
	global_atomic_cmpswap_b64 v[12:13], v7, v[10:13], s[2:3] offset:24 glc
	s_waitcnt vmcnt(0)
	v_cmp_ne_u64_e32 vcc_lo, v[12:13], v[14:15]
	s_and_b32 exec_lo, exec_lo, vcc_lo
	s_cbranch_execz .LBB3_279
; %bb.360:                              ;   in Loop: Header=BB3_280 Depth=1
	s_mov_b32 s0, 0
.LBB3_361:                              ;   Parent Loop BB3_280 Depth=1
                                        ; =>  This Inner Loop Header: Depth=2
	s_sleep 1
	global_store_b64 v[2:3], v[12:13], off
	s_waitcnt_vscnt null, 0x0
	global_atomic_cmpswap_b64 v[14:15], v7, v[10:13], s[2:3] offset:24 glc
	s_waitcnt vmcnt(0)
	v_cmp_eq_u64_e32 vcc_lo, v[14:15], v[12:13]
	v_dual_mov_b32 v12, v14 :: v_dual_mov_b32 v13, v15
	s_or_b32 s0, vcc_lo, s0
	s_delay_alu instid0(SALU_CYCLE_1)
	s_and_not1_b32 exec_lo, exec_lo, s0
	s_cbranch_execnz .LBB3_361
	s_branch .LBB3_279
.LBB3_362:
	s_or_b32 exec_lo, exec_lo, s11
                                        ; implicit-def: $vgpr34
                                        ; implicit-def: $vgpr35
.LBB3_363:
	s_and_not1_saveexec_b32 s1, s10
	s_cbranch_execz .LBB3_391
; %bb.364:
	v_readfirstlane_b32 s0, v35
	v_mov_b32_e32 v8, 0
	v_mov_b32_e32 v9, 0
	s_delay_alu instid0(VALU_DEP_3) | instskip(NEXT) | instid1(VALU_DEP_1)
	v_cmp_eq_u32_e64 s0, s0, v35
	s_and_saveexec_b32 s4, s0
	s_cbranch_execz .LBB3_370
; %bb.365:
	s_waitcnt vmcnt(0)
	v_mov_b32_e32 v2, 0
	s_mov_b32 s5, exec_lo
	global_load_b64 v[5:6], v2, s[2:3] offset:24 glc
	s_waitcnt vmcnt(0)
	buffer_gl1_inv
	buffer_gl0_inv
	s_clause 0x1
	global_load_b64 v[3:4], v2, s[2:3] offset:40
	global_load_b64 v[7:8], v2, s[2:3]
	s_waitcnt vmcnt(1)
	v_and_b32_e32 v3, v3, v5
	v_and_b32_e32 v4, v4, v6
	s_delay_alu instid0(VALU_DEP_2) | instskip(NEXT) | instid1(VALU_DEP_2)
	v_mul_hi_u32 v9, v3, 24
	v_mul_lo_u32 v4, v4, 24
	v_mul_lo_u32 v3, v3, 24
	s_delay_alu instid0(VALU_DEP_2) | instskip(SKIP_1) | instid1(VALU_DEP_2)
	v_add_nc_u32_e32 v4, v9, v4
	s_waitcnt vmcnt(0)
	v_add_co_u32 v3, vcc_lo, v7, v3
	s_delay_alu instid0(VALU_DEP_2)
	v_add_co_ci_u32_e32 v4, vcc_lo, v8, v4, vcc_lo
	global_load_b64 v[3:4], v[3:4], off glc
	s_waitcnt vmcnt(0)
	global_atomic_cmpswap_b64 v[8:9], v2, v[3:6], s[2:3] offset:24 glc
	s_waitcnt vmcnt(0)
	buffer_gl1_inv
	buffer_gl0_inv
	v_cmpx_ne_u64_e64 v[8:9], v[5:6]
	s_cbranch_execz .LBB3_369
; %bb.366:
	s_mov_b32 s6, 0
	.p2align	6
.LBB3_367:                              ; =>This Inner Loop Header: Depth=1
	s_sleep 1
	s_clause 0x1
	global_load_b64 v[3:4], v2, s[2:3] offset:40
	global_load_b64 v[10:11], v2, s[2:3]
	v_dual_mov_b32 v5, v8 :: v_dual_mov_b32 v6, v9
	s_waitcnt vmcnt(1)
	s_delay_alu instid0(VALU_DEP_1) | instskip(NEXT) | instid1(VALU_DEP_2)
	v_and_b32_e32 v3, v3, v5
	v_and_b32_e32 v4, v4, v6
	s_waitcnt vmcnt(0)
	s_delay_alu instid0(VALU_DEP_2) | instskip(NEXT) | instid1(VALU_DEP_1)
	v_mad_u64_u32 v[7:8], null, v3, 24, v[10:11]
	v_mov_b32_e32 v3, v8
	s_delay_alu instid0(VALU_DEP_1)
	v_mad_u64_u32 v[8:9], null, v4, 24, v[3:4]
	global_load_b64 v[3:4], v[7:8], off glc
	s_waitcnt vmcnt(0)
	global_atomic_cmpswap_b64 v[8:9], v2, v[3:6], s[2:3] offset:24 glc
	s_waitcnt vmcnt(0)
	buffer_gl1_inv
	buffer_gl0_inv
	v_cmp_eq_u64_e32 vcc_lo, v[8:9], v[5:6]
	s_or_b32 s6, vcc_lo, s6
	s_delay_alu instid0(SALU_CYCLE_1)
	s_and_not1_b32 exec_lo, exec_lo, s6
	s_cbranch_execnz .LBB3_367
; %bb.368:
	s_or_b32 exec_lo, exec_lo, s6
.LBB3_369:
	s_delay_alu instid0(SALU_CYCLE_1)
	s_or_b32 exec_lo, exec_lo, s5
.LBB3_370:
	s_delay_alu instid0(SALU_CYCLE_1)
	s_or_b32 exec_lo, exec_lo, s4
	s_waitcnt vmcnt(0)
	v_mov_b32_e32 v2, 0
	v_readfirstlane_b32 s4, v8
	v_readfirstlane_b32 s5, v9
	s_mov_b32 s10, exec_lo
	s_clause 0x1
	global_load_b64 v[10:11], v2, s[2:3] offset:40
	global_load_b128 v[4:7], v2, s[2:3]
	s_waitcnt vmcnt(1)
	v_readfirstlane_b32 s6, v10
	v_readfirstlane_b32 s7, v11
	s_delay_alu instid0(VALU_DEP_1) | instskip(NEXT) | instid1(SALU_CYCLE_1)
	s_and_b64 s[6:7], s[4:5], s[6:7]
	s_mul_i32 s11, s7, 24
	s_mul_hi_u32 s12, s6, 24
	s_mul_i32 s13, s6, 24
	s_add_i32 s12, s12, s11
	s_waitcnt vmcnt(0)
	v_add_co_u32 v8, vcc_lo, v4, s13
	v_add_co_ci_u32_e32 v9, vcc_lo, s12, v5, vcc_lo
	s_and_saveexec_b32 s11, s0
	s_cbranch_execz .LBB3_372
; %bb.371:
	v_dual_mov_b32 v10, s10 :: v_dual_mov_b32 v11, v2
	v_dual_mov_b32 v12, 2 :: v_dual_mov_b32 v13, 1
	global_store_b128 v[8:9], v[10:13], off offset:8
.LBB3_372:
	s_or_b32 exec_lo, exec_lo, s11
	s_lshl_b64 s[6:7], s[6:7], 12
	s_mov_b32 s12, 0
	v_add_co_u32 v6, vcc_lo, v6, s6
	v_add_co_ci_u32_e32 v7, vcc_lo, s7, v7, vcc_lo
	s_mov_b32 s13, s12
	s_delay_alu instid0(VALU_DEP_2)
	v_readfirstlane_b32 s6, v6
	v_add_co_u32 v6, vcc_lo, v6, v34
	s_mov_b32 s14, s12
	s_mov_b32 s15, s12
	v_and_or_b32 v0, 0xffffff1f, v0, 32
	v_dual_mov_b32 v3, v2 :: v_dual_mov_b32 v10, s12
	v_readfirstlane_b32 s7, v7
	v_add_co_ci_u32_e32 v7, vcc_lo, 0, v7, vcc_lo
	v_dual_mov_b32 v11, s13 :: v_dual_mov_b32 v12, s14
	v_mov_b32_e32 v13, s15
	s_clause 0x3
	global_store_b128 v34, v[0:3], s[6:7]
	global_store_b128 v34, v[10:13], s[6:7] offset:16
	global_store_b128 v34, v[10:13], s[6:7] offset:32
	;; [unrolled: 1-line block ×3, first 2 shown]
	s_and_saveexec_b32 s6, s0
	s_cbranch_execz .LBB3_380
; %bb.373:
	v_dual_mov_b32 v10, 0 :: v_dual_mov_b32 v11, s4
	v_mov_b32_e32 v12, s5
	s_clause 0x1
	global_load_b64 v[13:14], v10, s[2:3] offset:32 glc
	global_load_b64 v[0:1], v10, s[2:3] offset:40
	s_waitcnt vmcnt(0)
	v_readfirstlane_b32 s10, v0
	v_readfirstlane_b32 s11, v1
	s_delay_alu instid0(VALU_DEP_1) | instskip(NEXT) | instid1(SALU_CYCLE_1)
	s_and_b64 s[10:11], s[10:11], s[4:5]
	s_mul_i32 s7, s11, 24
	s_mul_hi_u32 s11, s10, 24
	s_mul_i32 s10, s10, 24
	s_add_i32 s11, s11, s7
	v_add_co_u32 v4, vcc_lo, v4, s10
	v_add_co_ci_u32_e32 v5, vcc_lo, s11, v5, vcc_lo
	s_mov_b32 s7, exec_lo
	global_store_b64 v[4:5], v[13:14], off
	s_waitcnt_vscnt null, 0x0
	global_atomic_cmpswap_b64 v[2:3], v10, v[11:14], s[2:3] offset:32 glc
	s_waitcnt vmcnt(0)
	v_cmpx_ne_u64_e64 v[2:3], v[13:14]
	s_cbranch_execz .LBB3_376
; %bb.374:
	s_mov_b32 s10, 0
.LBB3_375:                              ; =>This Inner Loop Header: Depth=1
	v_dual_mov_b32 v0, s4 :: v_dual_mov_b32 v1, s5
	s_sleep 1
	global_store_b64 v[4:5], v[2:3], off
	s_waitcnt_vscnt null, 0x0
	global_atomic_cmpswap_b64 v[0:1], v10, v[0:3], s[2:3] offset:32 glc
	s_waitcnt vmcnt(0)
	v_cmp_eq_u64_e32 vcc_lo, v[0:1], v[2:3]
	v_dual_mov_b32 v3, v1 :: v_dual_mov_b32 v2, v0
	s_or_b32 s10, vcc_lo, s10
	s_delay_alu instid0(SALU_CYCLE_1)
	s_and_not1_b32 exec_lo, exec_lo, s10
	s_cbranch_execnz .LBB3_375
.LBB3_376:
	s_or_b32 exec_lo, exec_lo, s7
	v_mov_b32_e32 v3, 0
	s_mov_b32 s10, exec_lo
	s_mov_b32 s7, exec_lo
	v_mbcnt_lo_u32_b32 v2, s10, 0
	global_load_b64 v[0:1], v3, s[2:3] offset:16
	v_cmpx_eq_u32_e32 0, v2
	s_cbranch_execz .LBB3_378
; %bb.377:
	s_bcnt1_i32_b32 s10, s10
	s_delay_alu instid0(SALU_CYCLE_1)
	v_mov_b32_e32 v2, s10
	s_waitcnt vmcnt(0)
	global_atomic_add_u64 v[0:1], v[2:3], off offset:8
.LBB3_378:
	s_or_b32 exec_lo, exec_lo, s7
	s_waitcnt vmcnt(0)
	global_load_b64 v[2:3], v[0:1], off offset:16
	s_waitcnt vmcnt(0)
	v_cmp_eq_u64_e32 vcc_lo, 0, v[2:3]
	s_cbranch_vccnz .LBB3_380
; %bb.379:
	global_load_b32 v0, v[0:1], off offset:24
	s_waitcnt vmcnt(0)
	v_dual_mov_b32 v1, 0 :: v_dual_and_b32 v4, 0xffffff, v0
	s_waitcnt_vscnt null, 0x0
	global_store_b64 v[2:3], v[0:1], off
	v_readfirstlane_b32 m0, v4
	s_sendmsg sendmsg(MSG_INTERRUPT)
.LBB3_380:
	s_or_b32 exec_lo, exec_lo, s6
	s_branch .LBB3_384
	.p2align	6
.LBB3_381:                              ;   in Loop: Header=BB3_384 Depth=1
	s_or_b32 exec_lo, exec_lo, s6
	s_delay_alu instid0(VALU_DEP_1) | instskip(NEXT) | instid1(VALU_DEP_1)
	v_readfirstlane_b32 s6, v0
	s_cmp_eq_u32 s6, 0
	s_cbranch_scc1 .LBB3_383
; %bb.382:                              ;   in Loop: Header=BB3_384 Depth=1
	s_sleep 1
	s_cbranch_execnz .LBB3_384
	s_branch .LBB3_386
	.p2align	6
.LBB3_383:
	s_branch .LBB3_386
.LBB3_384:                              ; =>This Inner Loop Header: Depth=1
	v_mov_b32_e32 v0, 1
	s_and_saveexec_b32 s6, s0
	s_cbranch_execz .LBB3_381
; %bb.385:                              ;   in Loop: Header=BB3_384 Depth=1
	global_load_b32 v0, v[8:9], off offset:20 glc
	s_waitcnt vmcnt(0)
	buffer_gl1_inv
	buffer_gl0_inv
	v_and_b32_e32 v0, 1, v0
	s_branch .LBB3_381
.LBB3_386:
	global_load_b64 v[0:1], v[6:7], off
	s_and_saveexec_b32 s6, s0
	s_cbranch_execz .LBB3_390
; %bb.387:
	v_mov_b32_e32 v8, 0
	s_clause 0x2
	global_load_b64 v[4:5], v8, s[2:3] offset:40
	global_load_b64 v[9:10], v8, s[2:3] offset:24 glc
	global_load_b64 v[6:7], v8, s[2:3]
	s_waitcnt vmcnt(2)
	v_add_co_u32 v11, vcc_lo, v4, 1
	v_add_co_ci_u32_e32 v12, vcc_lo, 0, v5, vcc_lo
	s_delay_alu instid0(VALU_DEP_2) | instskip(NEXT) | instid1(VALU_DEP_2)
	v_add_co_u32 v2, vcc_lo, v11, s4
	v_add_co_ci_u32_e32 v3, vcc_lo, s5, v12, vcc_lo
	s_delay_alu instid0(VALU_DEP_1) | instskip(SKIP_1) | instid1(VALU_DEP_1)
	v_cmp_eq_u64_e32 vcc_lo, 0, v[2:3]
	v_dual_cndmask_b32 v3, v3, v12 :: v_dual_cndmask_b32 v2, v2, v11
	v_and_b32_e32 v5, v3, v5
	s_delay_alu instid0(VALU_DEP_2) | instskip(NEXT) | instid1(VALU_DEP_2)
	v_and_b32_e32 v4, v2, v4
	v_mul_lo_u32 v5, v5, 24
	s_delay_alu instid0(VALU_DEP_2) | instskip(SKIP_1) | instid1(VALU_DEP_2)
	v_mul_hi_u32 v11, v4, 24
	v_mul_lo_u32 v4, v4, 24
	v_add_nc_u32_e32 v5, v11, v5
	s_waitcnt vmcnt(0)
	s_delay_alu instid0(VALU_DEP_2) | instskip(SKIP_1) | instid1(VALU_DEP_3)
	v_add_co_u32 v6, vcc_lo, v6, v4
	v_mov_b32_e32 v4, v9
	v_add_co_ci_u32_e32 v7, vcc_lo, v7, v5, vcc_lo
	v_mov_b32_e32 v5, v10
	global_store_b64 v[6:7], v[9:10], off
	s_waitcnt_vscnt null, 0x0
	global_atomic_cmpswap_b64 v[4:5], v8, v[2:5], s[2:3] offset:24 glc
	s_waitcnt vmcnt(0)
	v_cmp_ne_u64_e32 vcc_lo, v[4:5], v[9:10]
	s_and_b32 exec_lo, exec_lo, vcc_lo
	s_cbranch_execz .LBB3_390
; %bb.388:
	s_mov_b32 s0, 0
.LBB3_389:                              ; =>This Inner Loop Header: Depth=1
	s_sleep 1
	global_store_b64 v[6:7], v[4:5], off
	s_waitcnt_vscnt null, 0x0
	global_atomic_cmpswap_b64 v[9:10], v8, v[2:5], s[2:3] offset:24 glc
	s_waitcnt vmcnt(0)
	v_cmp_eq_u64_e32 vcc_lo, v[9:10], v[4:5]
	v_dual_mov_b32 v4, v9 :: v_dual_mov_b32 v5, v10
	s_or_b32 s0, vcc_lo, s0
	s_delay_alu instid0(SALU_CYCLE_1)
	s_and_not1_b32 exec_lo, exec_lo, s0
	s_cbranch_execnz .LBB3_389
.LBB3_390:
	s_or_b32 exec_lo, exec_lo, s6
.LBB3_391:
	s_delay_alu instid0(SALU_CYCLE_1)
	s_or_b32 exec_lo, exec_lo, s1
	s_getpc_b64 s[0:1]
	s_add_u32 s0, s0, .str.2@rel32@lo+4
	s_addc_u32 s1, s1, .str.2@rel32@hi+12
	s_getpc_b64 s[2:3]
	s_add_u32 s2, s2, .str.2@rel32@lo+32
	s_addc_u32 s3, s3, .str.2@rel32@hi+40
	s_sub_i32 s4, s2, s0
	s_getpc_b64 s[2:3]
	s_add_u32 s2, s2, __ockl_fprintf_append_string_n@rel32@lo+4
	s_addc_u32 s3, s3, __ockl_fprintf_append_string_n@rel32@hi+12
	s_ashr_i32 s5, s4, 31
	s_waitcnt vmcnt(0)
	v_dual_mov_b32 v2, s0 :: v_dual_mov_b32 v3, s1
	v_dual_mov_b32 v4, s4 :: v_dual_mov_b32 v5, s5
	v_mov_b32_e32 v6, 1
	s_swappc_b64 s[30:31], s[2:3]
	s_trap 2
	s_sendmsg_rtn_b32 s0, sendmsg(MSG_RTN_GET_DOORBELL)
	s_mov_b32 ttmp2, m0
	s_waitcnt lgkmcnt(0)
	s_and_b32 s0, s0, 0x3ff
	s_delay_alu instid0(SALU_CYCLE_1) | instskip(NEXT) | instid1(SALU_CYCLE_1)
	s_bitset1_b32 s0, 10
	s_mov_b32 m0, s0
	s_sendmsg sendmsg(MSG_INTERRUPT)
	s_mov_b32 m0, ttmp2
.LBB3_392:                              ; =>This Inner Loop Header: Depth=1
	s_sethalt 5
	s_branch .LBB3_392
.Lfunc_end3:
	.size	__assert_fail, .Lfunc_end3-__assert_fail
                                        ; -- End function
	.section	.AMDGPU.csdata,"",@progbits
; Function info:
; codeLenInByte = 16148
; NumSgprs: 36
; NumVgprs: 41
; ScratchSize: 64
; MemoryBound: 0
	.text
	.p2align	2                               ; -- Begin function _ZN12_GLOBAL__N_17runRingIa7FuncSumIaE11ProtoSimpleILi2ELi2ELi0ELi1ELi0ELi0EELi0ELi1ELi0ELb0EEEviiP15ncclDevWorkColl
	.type	_ZN12_GLOBAL__N_17runRingIa7FuncSumIaE11ProtoSimpleILi2ELi2ELi0ELi1ELi0ELi0EELi0ELi1ELi0ELb0EEEviiP15ncclDevWorkColl,@function
_ZN12_GLOBAL__N_17runRingIa7FuncSumIaE11ProtoSimpleILi2ELi2ELi0ELi1ELi0ELi0EELi0ELi1ELi0ELb0EEEviiP15ncclDevWorkColl: ; @_ZN12_GLOBAL__N_17runRingIa7FuncSumIaE11ProtoSimpleILi2ELi2ELi0ELi1ELi0ELi0EELi0ELi1ELi0ELb0EEEviiP15ncclDevWorkColl
; %bb.0:
	s_waitcnt vmcnt(0) expcnt(0) lgkmcnt(0)
	s_mov_b32 s0, s33
	s_mov_b32 s33, s32
	s_or_saveexec_b32 s1, -1
	s_clause 0x1
	scratch_store_b32 off, v41, s33 offset:4
	; meta instruction
	scratch_store_b32 off, v42, s33 offset:8
	s_mov_b32 exec_lo, s1
	v_writelane_b32 v41, s0, 7
	s_add_i32 s32, s32, 16
	scratch_store_b32 off, v40, s33         ; 4-byte Folded Spill
	v_writelane_b32 v41, s34, 0
	v_writelane_b32 v41, s35, 1
	;; [unrolled: 1-line block ×7, first 2 shown]
	s_cbranch_execnz .LBB4_15
; %bb.1:
	s_clause 0x2
	flat_load_b32 v8, v[2:3]
	flat_load_b128 v[4:7], v[2:3] offset:72
	flat_load_b64 v[12:13], v[2:3] offset:88
	ds_load_b32 v9, v0
	ds_load_b64 v[18:19], v0
	s_mov_b32 s0, exec_lo
                                        ; implicit-def: $vgpr36_vgpr37
	s_waitcnt lgkmcnt(1)
	v_readfirstlane_b32 s18, v9
	s_waitcnt vmcnt(2)
	v_and_b32_e32 v11, 0xff, v8
	v_bfe_u32 v10, v8, 8, 8
	s_delay_alu instid0(VALU_DEP_2) | instskip(NEXT) | instid1(VALU_DEP_1)
	v_not_b32_e32 v8, v11
	v_add_nc_u32_e32 v16, v10, v8
	s_delay_alu instid0(VALU_DEP_1) | instskip(SKIP_3) | instid1(VALU_DEP_3)
	v_ashrrev_i32_e32 v17, 31, v16
	s_waitcnt vmcnt(1)
	v_mul_lo_u32 v20, v7, v16
	v_mad_u64_u32 v[14:15], null, v6, v16, 0
	v_mul_lo_u32 v16, v6, v17
	s_delay_alu instid0(VALU_DEP_1)
	v_add3_u32 v15, v15, v16, v20
                                        ; implicit-def: $vgpr16_vgpr17
	v_cmpx_ne_u32_e64 v11, v9
	s_xor_b32 s0, exec_lo, s0
	s_cbranch_execz .LBB4_7
; %bb.2:
	s_mov_b32 s1, exec_lo
                                        ; implicit-def: $vgpr36_vgpr37
                                        ; implicit-def: $vgpr16_vgpr17
	v_cmpx_ne_u32_e64 v10, v9
	s_xor_b32 s1, exec_lo, s1
	s_cbranch_execz .LBB4_4
; %bb.3:
	flat_load_b64 v[10:11], v[2:3] offset:96
	v_add_nc_u32_e32 v8, v9, v8
	s_delay_alu instid0(VALU_DEP_1) | instskip(SKIP_2) | instid1(VALU_DEP_3)
	v_ashrrev_i32_e32 v9, 31, v8
	v_mul_lo_u32 v20, v7, v8
	v_mad_u64_u32 v[16:17], null, v6, v8, v[4:5]
	v_mul_lo_u32 v9, v6, v9
	s_delay_alu instid0(VALU_DEP_1)
	v_add3_u32 v17, v20, v17, v9
	s_waitcnt vmcnt(0) lgkmcnt(0)
	v_lshrrev_b64 v[36:37], 21, v[10:11]
.LBB4_4:
	s_and_not1_saveexec_b32 s1, s1
	s_cbranch_execz .LBB4_6
; %bb.5:
	flat_load_b32 v6, v[2:3] offset:100
	v_add_co_u32 v16, vcc_lo, v14, v4
	v_add_co_ci_u32_e32 v17, vcc_lo, v15, v5, vcc_lo
	s_waitcnt vmcnt(0) lgkmcnt(0)
	v_lshrrev_b32_e32 v36, 10, v6
	v_dual_mov_b32 v6, v12 :: v_dual_mov_b32 v7, v13
.LBB4_6:
	s_or_b32 exec_lo, exec_lo, s1
.LBB4_7:
	s_and_not1_saveexec_b32 s0, s0
	s_cbranch_execz .LBB4_9
; %bb.8:
	flat_load_b64 v[36:37], v[2:3] offset:96
	v_dual_mov_b32 v16, 0 :: v_dual_mov_b32 v7, v5
	v_dual_mov_b32 v17, 0 :: v_dual_mov_b32 v6, v4
.LBB4_9:
	s_or_b32 exec_lo, exec_lo, s0
	flat_load_b128 v[8:11], v[2:3] offset:16
	s_waitcnt vmcnt(1)
	v_add_co_u32 v4, vcc_lo, v12, v4
	v_add_co_ci_u32_e32 v5, vcc_lo, v13, v5, vcc_lo
	s_mov_b32 s0, exec_lo
	s_delay_alu instid0(VALU_DEP_2) | instskip(NEXT) | instid1(VALU_DEP_2)
	v_add_co_u32 v68, vcc_lo, v4, v14
	v_add_co_ci_u32_e32 v69, vcc_lo, v5, v15, vcc_lo
	v_cmpx_ge_i32_e64 v0, v1
	s_xor_b32 s1, exec_lo, s0
	s_cbranch_execz .LBB4_44
; %bb.10:
	s_waitcnt lgkmcnt(1)
	flat_load_b32 v4, v[18:19]
	s_mov_b32 s2, exec_lo
	s_waitcnt vmcnt(0) lgkmcnt(0)
	v_ashrrev_i32_e32 v2, 31, v4
	v_mul_lo_u32 v5, v69, v4
	s_delay_alu instid0(VALU_DEP_2) | instskip(SKIP_1) | instid1(VALU_DEP_1)
	v_mul_lo_u32 v12, v68, v2
	v_mad_u64_u32 v[2:3], null, v68, v4, 0
	v_add3_u32 v3, v3, v12, v5
	s_delay_alu instid0(VALU_DEP_2) | instskip(NEXT) | instid1(VALU_DEP_2)
	v_add_co_u32 v4, vcc_lo, v8, v2
	v_add_co_ci_u32_e32 v5, vcc_lo, v9, v3, vcc_lo
	s_delay_alu instid0(VALU_DEP_1)
	v_cmpx_ne_u64_e64 v[10:11], v[4:5]
	s_cbranch_execz .LBB4_43
; %bb.11:
	v_sub_nc_u32_e32 v1, v0, v1
	v_add_co_u32 v15, vcc_lo, v10, v16
	v_add_co_ci_u32_e32 v18, vcc_lo, v11, v17, vcc_lo
	s_delay_alu instid0(VALU_DEP_3) | instskip(SKIP_2) | instid1(VALU_DEP_3)
	v_ashrrev_i32_e32 v0, 31, v1
	v_add_co_u32 v5, vcc_lo, v8, v16
	v_add_co_ci_u32_e32 v8, vcc_lo, v9, v17, vcc_lo
	v_lshrrev_b32_e32 v0, 27, v0
	s_delay_alu instid0(VALU_DEP_3) | instskip(NEXT) | instid1(VALU_DEP_3)
	v_add_co_u32 v16, vcc_lo, v5, v2
	v_add_co_ci_u32_e32 v17, vcc_lo, v8, v3, vcc_lo
	s_delay_alu instid0(VALU_DEP_3) | instskip(SKIP_1) | instid1(VALU_DEP_1)
	v_add_nc_u32_e32 v0, v1, v0
	s_mov_b32 s0, exec_lo
	v_and_b32_e32 v4, 0xffffffe0, v0
	s_delay_alu instid0(VALU_DEP_1) | instskip(SKIP_1) | instid1(VALU_DEP_2)
	v_sub_nc_u32_e32 v19, v1, v4
	v_mov_b32_e32 v1, 0
	v_cmpx_gt_i32_e32 1, v19
; %bb.12:
	v_or_b32_e32 v1, v15, v16
	s_delay_alu instid0(VALU_DEP_1) | instskip(NEXT) | instid1(VALU_DEP_1)
	v_and_b32_e32 v1, 15, v1
	v_cmp_ne_u32_e32 vcc_lo, 0, v1
	v_cndmask_b32_e64 v1, 0, 1, vcc_lo
; %bb.13:
	s_or_b32 exec_lo, exec_lo, s0
	;;#ASMSTART
	;;#ASMEND
	s_delay_alu instid0(VALU_DEP_1)
	v_cmp_ne_u32_e32 vcc_lo, 0, v1
	v_ashrrev_i32_e32 v20, 5, v0
	s_mov_b32 s4, 0
	s_cbranch_vccz .LBB4_17
; %bb.14:
	s_delay_alu instid0(VALU_DEP_1)
	v_dual_mov_b32 v4, 0 :: v_dual_mov_b32 v21, v20
	v_dual_mov_b32 v5, 0 :: v_dual_mov_b32 v14, v19
	s_mov_b32 s5, -1
	s_mov_b32 s0, 0
                                        ; implicit-def: $vgpr2_vgpr3
                                        ; implicit-def: $vgpr0_vgpr1
	s_and_saveexec_b32 s3, s5
	s_cbranch_execnz .LBB4_28
	s_branch .LBB4_37
.LBB4_15:
	s_trap 2
	s_sendmsg_rtn_b32 s0, sendmsg(MSG_RTN_GET_DOORBELL)
	s_mov_b32 ttmp2, m0
	s_waitcnt lgkmcnt(0)
	s_and_b32 s0, s0, 0x3ff
	s_delay_alu instid0(SALU_CYCLE_1) | instskip(NEXT) | instid1(SALU_CYCLE_1)
	s_bitset1_b32 s0, 10
	s_mov_b32 m0, s0
	s_sendmsg sendmsg(MSG_INTERRUPT)
	s_mov_b32 m0, ttmp2
.LBB4_16:                               ; =>This Inner Loop Header: Depth=1
	s_sethalt 5
	s_branch .LBB4_16
.LBB4_17:
	v_ashrrev_i32_e32 v0, 31, v7
	v_mov_b32_e32 v4, 0
	v_mov_b32_e32 v5, 0
	s_mov_b32 s5, 0
	s_mov_b32 s0, -1
	v_lshrrev_b32_e32 v0, 22, v0
	s_mov_b32 s3, exec_lo
                                        ; implicit-def: $vgpr2_vgpr3
                                        ; implicit-def: $vgpr14
                                        ; implicit-def: $vgpr21
	s_delay_alu instid0(VALU_DEP_1) | instskip(SKIP_1) | instid1(VALU_DEP_1)
	v_add_co_u32 v0, vcc_lo, v6, v0
	v_add_co_ci_u32_e32 v1, vcc_lo, 0, v7, vcc_lo
	v_ashrrev_i64 v[8:9], 10, v[0:1]
	v_ashrrev_i32_e32 v0, 31, v20
	s_delay_alu instid0(VALU_DEP_2) | instskip(NEXT) | instid1(VALU_DEP_2)
	v_sub_co_u32 v10, vcc_lo, v8, v20
	v_sub_co_ci_u32_e32 v11, vcc_lo, v9, v0, vcc_lo
                                        ; implicit-def: $vgpr0_vgpr1
	s_delay_alu instid0(VALU_DEP_1)
	v_cmpx_gt_i64_e32 1, v[10:11]
	s_cbranch_execz .LBB4_27
; %bb.18:
	v_lshlrev_b64 v[0:1], 10, v[8:9]
	v_mov_b32_e32 v4, 0
	v_mov_b32_e32 v5, 0
	s_mov_b32 s6, 0
	s_mov_b32 s4, exec_lo
                                        ; implicit-def: $vgpr2_vgpr3
                                        ; implicit-def: $vgpr14
                                        ; implicit-def: $vgpr21
	s_delay_alu instid0(VALU_DEP_3)
	v_cmpx_ne_u64_e64 v[6:7], v[0:1]
	s_cbranch_execz .LBB4_26
; %bb.19:
	v_sub_co_u32 v4, vcc_lo, v6, v0
	v_sub_co_ci_u32_e32 v5, vcc_lo, v7, v1, vcc_lo
	v_mov_b32_e32 v3, 0
	s_delay_alu instid0(VALU_DEP_2) | instskip(NEXT) | instid1(VALU_DEP_1)
	v_ashrrev_i32_e32 v2, 31, v5
	v_lshrrev_b32_e32 v2, 23, v2
	s_delay_alu instid0(VALU_DEP_1) | instskip(SKIP_1) | instid1(VALU_DEP_2)
	v_add_co_u32 v11, vcc_lo, v4, v2
	v_add_co_ci_u32_e32 v12, vcc_lo, 0, v5, vcc_lo
	v_and_b32_e32 v2, 0xfffffe00, v11
	s_delay_alu instid0(VALU_DEP_2) | instskip(NEXT) | instid1(VALU_DEP_2)
	v_ashrrev_i64 v[13:14], 9, v[11:12]
	v_sub_co_u32 v8, vcc_lo, v4, v2
	v_add_co_u32 v11, s0, v2, v0
	v_sub_co_ci_u32_e32 v9, vcc_lo, v5, v12, vcc_lo
	v_add_co_ci_u32_e64 v12, s0, v12, v1, s0
	s_mov_b32 s0, exec_lo
	s_delay_alu instid0(VALU_DEP_2)
	v_cmpx_lt_i64_e32 15, v[8:9]
; %bb.20:
	v_and_b32_e32 v2, 15, v6
	s_delay_alu instid0(VALU_DEP_1) | instskip(SKIP_2) | instid1(VALU_DEP_3)
	v_sub_co_u32 v6, vcc_lo, v8, v2
	v_subrev_co_ci_u32_e32 v7, vcc_lo, 0, v9, vcc_lo
	v_add_co_u32 v13, vcc_lo, v13, 1
	v_add_co_u32 v11, vcc_lo, v6, v11
	s_delay_alu instid0(VALU_DEP_3)
	v_add_co_ci_u32_e32 v12, vcc_lo, v7, v12, vcc_lo
	v_dual_mov_b32 v9, v3 :: v_dual_mov_b32 v8, v2
; %bb.21:
	s_or_b32 exec_lo, exec_lo, s0
	v_lshlrev_b32_e32 v2, 5, v10
	s_mov_b32 s6, -1
                                        ; implicit-def: $vgpr14
                                        ; implicit-def: $vgpr21
	s_delay_alu instid0(VALU_DEP_1) | instskip(NEXT) | instid1(VALU_DEP_1)
	v_sub_nc_u32_e32 v2, v19, v2
	v_ashrrev_i32_e32 v3, 31, v2
	s_delay_alu instid0(VALU_DEP_1) | instskip(NEXT) | instid1(VALU_DEP_1)
	v_lshrrev_b32_e32 v3, 27, v3
	v_add_nc_u32_e32 v3, v2, v3
	s_delay_alu instid0(VALU_DEP_1) | instskip(SKIP_1) | instid1(VALU_DEP_2)
	v_and_b32_e32 v6, 0xffffffe0, v3
	v_ashrrev_i32_e32 v22, 5, v3
	v_sub_nc_u32_e32 v10, v2, v6
                                        ; implicit-def: $vgpr6_vgpr7
	s_delay_alu instid0(VALU_DEP_1) | instskip(NEXT) | instid1(VALU_DEP_1)
	v_lshlrev_b32_e32 v2, 4, v10
	v_lshl_add_u32 v2, v22, 9, v2
	s_delay_alu instid0(VALU_DEP_1) | instskip(SKIP_1) | instid1(VALU_DEP_2)
	v_ashrrev_i32_e32 v3, 31, v2
	v_sub_co_u32 v4, vcc_lo, v4, v2
	v_sub_co_ci_u32_e32 v5, vcc_lo, v5, v3, vcc_lo
	s_delay_alu instid0(VALU_DEP_1)
	v_cmp_gt_i64_e32 vcc_lo, 16, v[4:5]
	v_mov_b32_e32 v4, 0
	v_mov_b32_e32 v5, 0
	s_and_saveexec_b32 s0, vcc_lo
	s_cbranch_execz .LBB4_25
; %bb.22:
	v_mov_b32_e32 v4, 0
	v_mov_b32_e32 v5, 0
	s_mov_b32 s6, exec_lo
                                        ; implicit-def: $vgpr14
                                        ; implicit-def: $vgpr21
	v_cmpx_ne_u64_e32 0, v[8:9]
; %bb.23:
	v_sub_nc_u32_e32 v4, v22, v13
	s_mov_b32 s5, exec_lo
	s_delay_alu instid0(VALU_DEP_1) | instskip(NEXT) | instid1(VALU_DEP_1)
	v_lshl_add_u32 v4, v4, 5, v10
	v_ashrrev_i32_e32 v5, 31, v4
	s_delay_alu instid0(VALU_DEP_1) | instskip(NEXT) | instid1(VALU_DEP_1)
	v_lshrrev_b32_e32 v5, 27, v5
	v_add_nc_u32_e32 v5, v4, v5
	s_delay_alu instid0(VALU_DEP_1) | instskip(SKIP_1) | instid1(VALU_DEP_2)
	v_and_b32_e32 v6, 0xffffffe0, v5
	v_ashrrev_i32_e32 v21, 5, v5
	v_sub_nc_u32_e32 v14, v4, v6
	v_dual_mov_b32 v4, v11 :: v_dual_mov_b32 v5, v12
; %bb.24:
	s_or_b32 exec_lo, exec_lo, s6
	v_dual_mov_b32 v6, v8 :: v_dual_mov_b32 v7, v9
	s_xor_b32 s6, exec_lo, -1
	s_and_b32 s5, s5, exec_lo
.LBB4_25:
	s_or_b32 exec_lo, exec_lo, s0
	s_delay_alu instid0(SALU_CYCLE_1)
	s_and_b32 s6, s6, exec_lo
	s_and_b32 s5, s5, exec_lo
.LBB4_26:
	s_or_b32 exec_lo, exec_lo, s4
	s_delay_alu instid0(SALU_CYCLE_1)
	s_xor_b32 s0, exec_lo, -1
	s_and_b32 s4, s6, exec_lo
	s_and_b32 s5, s5, exec_lo
.LBB4_27:
	s_or_b32 exec_lo, exec_lo, s3
	s_and_saveexec_b32 s3, s5
	s_cbranch_execz .LBB4_37
.LBB4_28:
	v_ashrrev_i32_e32 v8, 31, v7
	s_mov_b32 s5, exec_lo
	s_delay_alu instid0(VALU_DEP_1) | instskip(NEXT) | instid1(VALU_DEP_1)
	v_lshrrev_b32_e32 v8, 24, v8
	v_add_co_u32 v8, vcc_lo, v6, v8
	v_add_co_ci_u32_e32 v9, vcc_lo, 0, v7, vcc_lo
	s_delay_alu instid0(VALU_DEP_1) | instskip(SKIP_1) | instid1(VALU_DEP_2)
	v_ashrrev_i64 v[10:11], 8, v[8:9]
	v_ashrrev_i32_e32 v9, 31, v21
	v_sub_co_u32 v8, vcc_lo, v10, v21
	s_delay_alu instid0(VALU_DEP_2) | instskip(NEXT) | instid1(VALU_DEP_1)
	v_sub_co_ci_u32_e32 v9, vcc_lo, v11, v9, vcc_lo
	v_cmpx_gt_i64_e32 1, v[8:9]
	s_xor_b32 s5, exec_lo, s5
	s_cbranch_execz .LBB4_34
; %bb.29:
	v_lshlrev_b64 v[9:10], 8, v[10:11]
	s_mov_b32 s6, exec_lo
	s_delay_alu instid0(VALU_DEP_1)
	v_cmpx_ne_u64_e64 v[6:7], v[9:10]
	s_cbranch_execz .LBB4_33
; %bb.30:
	v_lshlrev_b32_e32 v8, 5, v8
	v_sub_co_u32 v6, vcc_lo, v6, v9
	v_sub_co_ci_u32_e32 v7, vcc_lo, v7, v10, vcc_lo
	s_delay_alu instid0(VALU_DEP_3) | instskip(NEXT) | instid1(VALU_DEP_1)
	v_sub_nc_u32_e32 v11, v14, v8
	v_ashrrev_i32_e32 v12, 31, v11
	s_delay_alu instid0(VALU_DEP_1)
	v_cmp_gt_i64_e32 vcc_lo, v[6:7], v[11:12]
	s_and_b32 exec_lo, exec_lo, vcc_lo
	s_cbranch_execz .LBB4_33
; %bb.31:
	v_add_co_u32 v4, vcc_lo, v9, v4
	v_add_co_ci_u32_e32 v5, vcc_lo, v10, v5, vcc_lo
	s_delay_alu instid0(VALU_DEP_2) | instskip(NEXT) | instid1(VALU_DEP_2)
	v_add_co_u32 v6, vcc_lo, v4, v11
	v_add_co_ci_u32_e32 v7, vcc_lo, v5, v12, vcc_lo
	s_delay_alu instid0(VALU_DEP_2) | instskip(NEXT) | instid1(VALU_DEP_2)
	v_add_co_u32 v4, vcc_lo, v6, v15
	v_add_co_ci_u32_e32 v5, vcc_lo, v7, v18, vcc_lo
	flat_load_u8 v8, v[4:5]
	v_add_co_u32 v4, vcc_lo, v6, v16
	v_add_co_ci_u32_e32 v5, vcc_lo, v7, v17, vcc_lo
	s_mov_b32 vcc_lo, exec_lo
	s_waitcnt vmcnt(0) lgkmcnt(0)
	flat_store_b8 v[4:5], v8 glc slc dlc
.LBB4_32:                               ; =>This Inner Loop Header: Depth=1
	s_cbranch_vccnz .LBB4_32
.LBB4_33:
	s_or_b32 exec_lo, exec_lo, s6
                                        ; implicit-def: $vgpr21
                                        ; implicit-def: $vgpr14
                                        ; implicit-def: $vgpr4_vgpr5
.LBB4_34:
	s_and_not1_saveexec_b32 s5, s5
	s_cbranch_execz .LBB4_37
; %bb.35:
	v_lshl_add_u32 v6, v21, 8, v14
	s_delay_alu instid0(VALU_DEP_1) | instskip(SKIP_1) | instid1(VALU_DEP_2)
	v_ashrrev_i32_e32 v7, 31, v6
	v_add_co_u32 v6, vcc_lo, v4, v6
	v_add_co_ci_u32_e32 v7, vcc_lo, v5, v7, vcc_lo
	s_delay_alu instid0(VALU_DEP_2) | instskip(NEXT) | instid1(VALU_DEP_2)
	v_add_co_u32 v4, vcc_lo, v6, v16
	v_add_co_ci_u32_e32 v5, vcc_lo, v7, v17, vcc_lo
	v_add_co_u32 v6, vcc_lo, v6, v15
	v_add_co_ci_u32_e32 v7, vcc_lo, v7, v18, vcc_lo
	s_mov_b32 vcc_lo, 0
	s_set_inst_prefetch_distance 0x1
	.p2align	6
.LBB4_36:                               ; =>This Inner Loop Header: Depth=1
	s_clause 0x7
	flat_load_u8 v8, v[6:7] slc dlc
	flat_load_u8 v9, v[6:7] offset:32 slc dlc
	flat_load_u8 v10, v[6:7] offset:64 slc dlc
	;; [unrolled: 1-line block ×7, first 2 shown]
	s_waitcnt vmcnt(7) lgkmcnt(7)
	flat_store_b8 v[4:5], v8 glc slc dlc
	s_waitcnt vmcnt(6) lgkmcnt(7)
	flat_store_b8 v[4:5], v9 offset:32 glc slc dlc
	s_waitcnt vmcnt(5) lgkmcnt(7)
	flat_store_b8 v[4:5], v10 offset:64 glc slc dlc
	;; [unrolled: 2-line block ×7, first 2 shown]
	s_cbranch_vccz .LBB4_36
.LBB4_37:
	s_set_inst_prefetch_distance 0x2
	s_or_b32 exec_lo, exec_lo, s3
	s_and_saveexec_b32 s3, s4
	s_cbranch_execz .LBB4_40
; %bb.38:
	v_add_co_u32 v2, vcc_lo, v0, v2
	v_add_co_ci_u32_e32 v3, vcc_lo, v1, v3, vcc_lo
	s_delay_alu instid0(VALU_DEP_2) | instskip(NEXT) | instid1(VALU_DEP_2)
	v_add_co_u32 v0, vcc_lo, v2, v16
	v_add_co_ci_u32_e32 v1, vcc_lo, v3, v17, vcc_lo
	v_add_co_u32 v2, vcc_lo, v2, v15
	v_add_co_ci_u32_e32 v3, vcc_lo, v3, v18, vcc_lo
	s_mov_b32 vcc_lo, 0
.LBB4_39:                               ; =>This Inner Loop Header: Depth=1
	global_load_b128 v[4:7], v[2:3], off slc dlc
	s_waitcnt vmcnt(0)
	global_store_b128 v[0:1], v[4:7], off glc slc dlc
	s_cbranch_vccz .LBB4_39
.LBB4_40:
	s_or_b32 exec_lo, exec_lo, s3
	s_and_saveexec_b32 s3, s0
	s_delay_alu instid0(SALU_CYCLE_1)
	s_xor_b32 s3, exec_lo, s3
	s_cbranch_execz .LBB4_43
; %bb.41:
	v_lshlrev_b32_e32 v0, 4, v19
	s_delay_alu instid0(VALU_DEP_1) | instskip(NEXT) | instid1(VALU_DEP_1)
	v_lshl_add_u32 v2, v20, 10, v0
	v_ashrrev_i32_e32 v3, 31, v2
	v_add_co_u32 v0, vcc_lo, v16, v2
	s_delay_alu instid0(VALU_DEP_2)
	v_add_co_ci_u32_e32 v1, vcc_lo, v17, v3, vcc_lo
	v_add_co_u32 v2, vcc_lo, v15, v2
	v_add_co_ci_u32_e32 v3, vcc_lo, v18, v3, vcc_lo
	s_mov_b32 vcc_lo, 0
.LBB4_42:                               ; =>This Inner Loop Header: Depth=1
	s_clause 0x1
	global_load_b128 v[4:7], v[2:3], off slc dlc
	global_load_b128 v[8:11], v[2:3], off offset:512 slc dlc
	s_waitcnt vmcnt(1)
	global_store_b128 v[0:1], v[4:7], off glc slc dlc
	s_waitcnt vmcnt(0)
	global_store_b128 v[0:1], v[8:11], off offset:512 glc slc dlc
	s_cbranch_vccz .LBB4_42
.LBB4_43:
	s_or_b32 exec_lo, exec_lo, s2
                                        ; implicit-def: $vgpr6_vgpr7
                                        ; implicit-def: $vgpr16_vgpr17
                                        ; implicit-def: $vgpr36_vgpr37
                                        ; implicit-def: $vgpr10_vgpr11
                                        ; implicit-def: $vgpr0
                                        ; implicit-def: $vgpr1
                                        ; implicit-def: $vgpr18_vgpr19
                                        ; implicit-def: $vgpr31
                                        ; implicit-def: $vgpr2_vgpr3
                                        ; implicit-def: $vgpr68
                                        ; implicit-def: $vgpr69
.LBB4_44:
	s_and_not1_saveexec_b32 s21, s1
	s_cbranch_execz .LBB4_1465
; %bb.45:
	s_cbranch_execnz .LBB4_1177
; %bb.46:
	ds_load_b64 v[4:5], v0
	s_mov_b32 s1, exec_lo
	s_waitcnt lgkmcnt(0)
	v_cmp_ne_u32_e32 vcc_lo, -1, v4
	v_cndmask_b32_e64 v52, 0, 1, vcc_lo
	v_cmp_ne_u32_e32 vcc_lo, -1, v5
	s_delay_alu instid0(VALU_DEP_2) | instskip(NEXT) | instid1(VALU_DEP_1)
	v_add_co_ci_u32_e64 v14, s0, 0, v52, vcc_lo
	v_lshlrev_b32_e32 v4, 1, v14
	s_delay_alu instid0(VALU_DEP_1)
	v_cmpx_le_i32_e64 v4, v1
	s_xor_b32 s19, exec_lo, s1
	s_cbranch_execz .LBB4_1462
; %bb.47:
	s_clause 0x2
	flat_load_b64 v[4:5], v[2:3] offset:104
	flat_load_u16 v13, v[2:3] offset:8
	flat_load_b32 v12, v[2:3] offset:4
	s_cbranch_execnz .LBB4_1179
; %bb.48:
	s_load_b32 s0, s[8:9], 0x0
	v_dual_mov_b32 v15, 0 :: v_dual_mov_b32 v30, 4
	s_waitcnt lgkmcnt(0)
	s_cmp_lt_u32 s12, s0
	s_cselect_b32 s0, 12, 18
	s_delay_alu instid0(SALU_CYCLE_1)
	s_add_u32 s0, s8, s0
	s_addc_u32 s1, s9, 0
	global_load_u16 v37, v15, s[0:1]
	ds_load_b32 v15, v0
	s_mov_b32 s1, exec_lo
	s_waitcnt lgkmcnt(0)
	v_readfirstlane_b32 s4, v15
	v_cmpx_ge_i32_e64 v0, v52
	s_cbranch_execz .LBB4_58
; %bb.49:
	v_cmp_le_u32_e64 s0, v14, v0
                                        ; implicit-def: $vgpr30
	s_delay_alu instid0(VALU_DEP_1) | instskip(NEXT) | instid1(SALU_CYCLE_1)
	s_and_saveexec_b32 s2, s0
	s_xor_b32 s0, exec_lo, s2
	s_cbranch_execz .LBB4_55
; %bb.50:
	v_cndmask_b32_e64 v15, 0, 1, vcc_lo
	s_mov_b32 s2, exec_lo
                                        ; implicit-def: $sgpr3
	s_delay_alu instid0(VALU_DEP_1) | instskip(NEXT) | instid1(VALU_DEP_1)
	v_sub_nc_u32_e32 v15, v1, v15
	v_cmpx_ge_u32_e64 v0, v15
	s_xor_b32 s2, exec_lo, s2
; %bb.51:
	s_mov_b32 s3, 16
                                        ; implicit-def: $vgpr14
; %bb.52:
	s_or_saveexec_b32 s2, s2
	v_mov_b32_e32 v30, s3
	s_xor_b32 exec_lo, exec_lo, s2
; %bb.53:
	v_sub_nc_u32_e32 v14, v1, v14
	s_delay_alu instid0(VALU_DEP_1) | instskip(SKIP_1) | instid1(VALU_DEP_1)
	v_cmp_ge_i32_e32 vcc_lo, v0, v14
	v_cndmask_b32_e64 v14, 0, 1, vcc_lo
	v_lshlrev_b32_e32 v30, 5, v14
; %bb.54:
	s_or_b32 exec_lo, exec_lo, s2
.LBB4_55:
	s_and_not1_saveexec_b32 s0, s0
; %bb.56:
	v_mov_b32_e32 v30, 8
; %bb.57:
	s_or_b32 exec_lo, exec_lo, s0
.LBB4_58:
	s_delay_alu instid0(SALU_CYCLE_1) | instskip(NEXT) | instid1(VALU_DEP_1)
	s_or_b32 exec_lo, exec_lo, s1
	v_and_b32_e32 v14, 36, v30
	v_mov_b32_e32 v32, -1
	s_delay_alu instid0(VALU_DEP_2)
	v_cmp_ne_u32_e32 vcc_lo, 0, v14
	s_and_saveexec_b32 s0, vcc_lo
	s_cbranch_execz .LBB4_61
; %bb.59:
	s_cbranch_execnz .LBB4_1181
; %bb.60:
	ds_load_b32 v32, v0
.LBB4_61:
	s_or_b32 exec_lo, exec_lo, s0
	v_and_b32_e32 v14, 24, v30
	s_mov_b32 s1, exec_lo
	s_delay_alu instid0(VALU_DEP_1)
	v_cmpx_ne_u32_e32 0, v14
	s_cbranch_execz .LBB4_64
; %bb.62:
	s_cbranch_execnz .LBB4_1183
; %bb.63:
	s_waitcnt lgkmcnt(0)
	ds_load_b32 v32, v0
.LBB4_64:
	s_or_b32 exec_lo, exec_lo, s1
	s_waitcnt vmcnt(1)
	v_lshrrev_b64 v[12:13], 31, v[12:13]
	v_mov_b32_e32 v22, 0
	v_mov_b32_e32 v23, 0
                                        ; implicit-def: $vgpr20_vgpr21
                                        ; implicit-def: $vgpr70
                                        ; implicit-def: $vgpr14_vgpr15
                                        ; implicit-def: $vgpr26_vgpr27
                                        ; implicit-def: $vgpr34_vgpr35
                                        ; implicit-def: $vgpr24_vgpr25
	s_delay_alu instid0(VALU_DEP_3) | instskip(NEXT) | instid1(VALU_DEP_2)
	v_and_b32_e32 v38, 3, v12
	v_dual_mov_b32 v12, v22 :: v_dual_mov_b32 v13, v23
	s_and_saveexec_b32 s0, vcc_lo
	s_cbranch_execz .LBB4_77
; %bb.65:
	s_cbranch_execnz .LBB4_1185
; %bb.66:
	ds_load_b64 v[12:13], v0
	s_waitcnt lgkmcnt(1)
	v_ashrrev_i32_e32 v33, 31, v32
	v_and_b32_e32 v20, 0xffff, v38
	s_mov_b32 s1, exec_lo
	s_delay_alu instid0(VALU_DEP_2) | instskip(SKIP_1) | instid1(VALU_DEP_1)
	v_lshlrev_b64 v[14:15], 3, v[32:33]
	s_waitcnt lgkmcnt(0)
	v_add_co_u32 v12, vcc_lo, v12, v14
	s_delay_alu instid0(VALU_DEP_2)
	v_add_co_ci_u32_e32 v13, vcc_lo, v13, v15, vcc_lo
	flat_load_b64 v[12:13], v[12:13]
	s_waitcnt vmcnt(0) lgkmcnt(0)
	v_mad_u64_u32 v[14:15], null, 0xa8, v20, v[12:13]
                                        ; implicit-def: $vgpr20_vgpr21
	flat_load_b32 v12, v[14:15] offset:640
	v_add_co_u32 v22, vcc_lo, 0x1f8, v14
	v_add_co_ci_u32_e32 v23, vcc_lo, 0, v15, vcc_lo
	s_waitcnt vmcnt(0) lgkmcnt(0)
	v_cmpx_eq_u32_e32 1, v12
	s_cbranch_execz .LBB4_69
; %bb.67:
	flat_load_b64 v[20:21], v[22:23] offset:144
	s_waitcnt vmcnt(0) lgkmcnt(0)
	flat_load_b64 v[12:13], v[20:21]
	s_cbranch_execnz .LBB4_1193
; %bb.68:
	s_waitcnt vmcnt(0) lgkmcnt(0)
	ds_store_b64 v0, v[12:13]
	flat_load_b64 v[12:13], v[20:21] offset:8
	v_or_b32_e32 v30, 0x2000, v30
	s_waitcnt vmcnt(0) lgkmcnt(0)
	ds_store_b64 v0, v[12:13]
	flat_load_b64 v[12:13], v[20:21] offset:16
	s_waitcnt vmcnt(0) lgkmcnt(0)
	ds_store_b64 v0, v[12:13]
.LBB4_69:
	s_or_b32 exec_lo, exec_lo, s1
	flat_load_b64 v[12:13], v[22:23] offset:104
	v_and_b32_e32 v24, 32, v30
	s_waitcnt vmcnt(0) lgkmcnt(0)
	v_add_co_u32 v12, vcc_lo, v12, 3
	v_add_co_ci_u32_e32 v15, vcc_lo, 0, v13, vcc_lo
	s_delay_alu instid0(VALU_DEP_3) | instskip(NEXT) | instid1(VALU_DEP_3)
	v_cmp_ne_u32_e32 vcc_lo, 0, v24
	v_and_b32_e32 v14, -4, v12
                                        ; implicit-def: $vgpr24_vgpr25
	s_and_saveexec_b32 s1, vcc_lo
	s_cbranch_execz .LBB4_71
; %bb.70:
	flat_load_b64 v[24:25], v[22:23] offset:56
	s_waitcnt vmcnt(0) lgkmcnt(0)
	s_waitcnt_vscnt null, 0x0
	flat_store_b64 v[24:25], v[14:15]
.LBB4_71:
	s_or_b32 exec_lo, exec_lo, s1
	v_and_b32_e32 v26, 4, v30
	v_mov_b32_e32 v12, 0
	v_mov_b32_e32 v13, 0
                                        ; implicit-def: $vgpr70
                                        ; implicit-def: $vgpr34_vgpr35
	s_delay_alu instid0(VALU_DEP_3)
	v_cmp_ne_u32_e32 vcc_lo, 0, v26
                                        ; implicit-def: $vgpr26_vgpr27
	s_and_saveexec_b32 s1, vcc_lo
	s_cbranch_execz .LBB4_76
; %bb.72:
	v_and_b32_e32 v12, 0x800, v30
	s_mov_b32 s2, exec_lo
	s_delay_alu instid0(VALU_DEP_1)
	v_cmpx_eq_u32_e32 0, v12
	s_cbranch_execz .LBB4_75
; %bb.73:
	s_cbranch_execnz .LBB4_1195
; %bb.74:
	ds_store_b64 v0, v[22:23]
.LBB4_75:
	s_or_b32 exec_lo, exec_lo, s2
	flat_load_b64 v[24:25], v[22:23] offset:48
	v_or_b32_e32 v28, 0x100, v30
	s_waitcnt vmcnt(0) lgkmcnt(0)
	flat_load_b64 v[34:35], v[24:25] glc
	s_clause 0x2
	flat_load_b64 v[12:13], v[22:23] offset:96
	flat_load_b32 v70, v[22:23] offset:72
	flat_load_b64 v[26:27], v[22:23] offset:16
	s_waitcnt vmcnt(2) lgkmcnt(2)
	v_cmp_eq_u64_e32 vcc_lo, 0, v[12:13]
	v_cndmask_b32_e32 v30, v28, v30, vcc_lo
.LBB4_76:
	s_or_b32 exec_lo, exec_lo, s1
.LBB4_77:
	s_delay_alu instid0(SALU_CYCLE_1) | instskip(NEXT) | instid1(VALU_DEP_1)
	s_or_b32 exec_lo, exec_lo, s0
	v_and_b32_e32 v28, 24, v30
	s_delay_alu instid0(VALU_DEP_1)
	v_cmp_ne_u32_e32 vcc_lo, 0, v28
                                        ; implicit-def: $vgpr28_vgpr29
	s_and_saveexec_b32 s0, vcc_lo
	s_cbranch_execz .LBB4_87
; %bb.78:
	s_cbranch_execnz .LBB4_1187
; %bb.79:
	ds_load_b64 v[12:13], v0
	s_waitcnt lgkmcnt(1)
	v_ashrrev_i32_e32 v33, 31, v32
	v_or_b32_e32 v28, 0x100, v30
	s_delay_alu instid0(VALU_DEP_2) | instskip(SKIP_1) | instid1(VALU_DEP_1)
	v_lshlrev_b64 v[14:15], 3, v[32:33]
	s_waitcnt lgkmcnt(0)
	v_add_co_u32 v12, vcc_lo, v12, v14
	s_delay_alu instid0(VALU_DEP_2)
	v_add_co_ci_u32_e32 v13, vcc_lo, v13, v15, vcc_lo
	v_and_b32_e32 v14, 0xffff, v38
	flat_load_b64 v[12:13], v[12:13]
	s_waitcnt vmcnt(0) lgkmcnt(0)
	v_mad_u64_u32 v[22:23], null, 0xa8, v14, v[12:13]
	flat_load_b128 v[12:15], v[22:23] offset:96
	s_waitcnt vmcnt(0) lgkmcnt(0)
	v_cmp_eq_u64_e32 vcc_lo, 0, v[12:13]
	v_cndmask_b32_e32 v30, v28, v30, vcc_lo
	s_delay_alu instid0(VALU_DEP_1) | instskip(NEXT) | instid1(VALU_DEP_1)
	v_and_b32_e32 v28, 16, v30
	v_cmp_ne_u32_e32 vcc_lo, 0, v28
                                        ; implicit-def: $vgpr28_vgpr29
	s_and_saveexec_b32 s1, vcc_lo
; %bb.80:
	s_clause 0x2
	flat_load_b64 v[28:29], v[22:23] offset:120
	flat_load_b64 v[24:25], v[22:23] offset:48
	;; [unrolled: 1-line block ×3, first 2 shown]
; %bb.81:
	s_or_b32 exec_lo, exec_lo, s1
	v_and_b32_e32 v32, 8, v30
	s_mov_b32 s1, exec_lo
	s_delay_alu instid0(VALU_DEP_1)
	v_cmpx_ne_u32_e32 0, v32
	s_cbranch_execz .LBB4_86
; %bb.82:
	s_waitcnt vmcnt(1) lgkmcnt(1)
	v_and_b32_e32 v24, 0x800, v30
	s_mov_b32 s2, exec_lo
	s_delay_alu instid0(VALU_DEP_1)
	v_cmpx_eq_u32_e32 0, v24
	s_cbranch_execz .LBB4_85
; %bb.83:
	s_cbranch_execnz .LBB4_1197
; %bb.84:
	ds_store_b64 v0, v[22:23]
.LBB4_85:
	s_or_b32 exec_lo, exec_lo, s2
	flat_load_b64 v[24:25], v[22:23] offset:56
	s_waitcnt vmcnt(0) lgkmcnt(0)
	flat_load_b64 v[34:35], v[24:25] glc
	s_clause 0x1
	flat_load_b32 v70, v[22:23] offset:72
	flat_load_b64 v[26:27], v[22:23] offset:16
.LBB4_86:
	s_or_b32 exec_lo, exec_lo, s1
	v_add_co_u32 v14, vcc_lo, v14, 3
	v_add_co_ci_u32_e32 v15, vcc_lo, 0, v15, vcc_lo
	s_delay_alu instid0(VALU_DEP_2)
	v_and_b32_e32 v14, -4, v14
.LBB4_87:
	s_or_b32 exec_lo, exec_lo, s0
	v_cmp_eq_u32_e64 s0, 0, v0
	s_delay_alu instid0(VALU_DEP_1)
	s_and_saveexec_b32 s1, s0
	s_cbranch_execz .LBB4_90
; %bb.88:
	s_waitcnt lgkmcnt(0)
	flat_load_b64 v[32:33], v[2:3] offset:32
	v_dual_mov_b32 v38, v10 :: v_dual_mov_b32 v39, v11
	v_dual_mov_b32 v48, v8 :: v_dual_mov_b32 v49, v9
	ds_store_2addr_b64 v0, v[38:39], v[48:49] offset1:1
	s_cbranch_execnz .LBB4_1189
; %bb.89:
	s_waitcnt vmcnt(0) lgkmcnt(1)
	ds_store_b64 v0, v[32:33]
	ds_store_b64 v0, v[4:5]
.LBB4_90:
	s_or_b32 exec_lo, exec_lo, s1
	s_waitcnt vmcnt(0) lgkmcnt(0)
	v_dual_mov_b32 v32, 0 :: v_dual_and_b32 v71, 0xffff, v37
	v_mov_b32_e32 v33, 0
	s_mov_b32 s20, exec_lo
	v_cmpx_ne_u64_e32 0, v[6:7]
	s_cbranch_execz .LBB4_1171
; %bb.91:
	flat_load_b32 v2, v[2:3] offset:4
	v_and_b32_e32 v3, 31, v31
	v_mov_b32_e32 v37, 0
	s_mov_b32 s22, 0
	s_delay_alu instid0(VALU_DEP_2)
	v_cmp_eq_u32_e64 s1, 0, v3
	s_cbranch_execnz .LBB4_1191
; %bb.92:
	v_cvt_f64_u32_e32 v[3:4], 0
	v_dual_mov_b32 v50, 0 :: v_dual_lshlrev_b32 v5, 9, v36
	v_lshrrev_b32_e32 v82, 5, v1
	s_waitcnt vmcnt(0) lgkmcnt(0)
	v_dual_mov_b32 v51, 0 :: v_dual_and_b32 v2, 1, v2
	s_delay_alu instid0(VALU_DEP_3)
	v_and_b32_e32 v80, 0x3ffffe00, v5
	v_ashrrev_i32_e32 v5, 31, v0
	v_lshlrev_b32_e32 v85, 9, v82
	v_and_b32_e32 v84, 0xffffffe0, v1
	v_lshlrev_b32_e32 v83, 4, v0
	v_cvt_f64_u32_e32 v[32:33], v80
	v_lshrrev_b32_e32 v5, 27, v5
	v_add_nc_u32_e32 v87, 0xfffffe00, v85
	s_ashr_i32 s5, s4, 31
	v_mov_b32_e32 v118, 1
	s_lshr_b32 s5, s5, 25
	v_add_nc_u32_e32 v5, v0, v5
	v_ashrrev_i32_e32 v98, 31, v87
	v_add_co_u32 v100, s6, 0x200, v87
	v_cmp_eq_u32_e32 vcc_lo, 32, v1
	s_delay_alu instid0(VALU_DEP_4) | instskip(NEXT) | instid1(VALU_DEP_4)
	v_ashrrev_i32_e32 v96, 5, v5
	v_add_co_ci_u32_e64 v101, s6, 0, v98, s6
	s_add_i32 s4, s4, s5
	v_cmp_eq_u64_e64 s7, 0, v[28:29]
	v_cmp_ne_u64_e64 s10, 0, v[28:29]
	v_ashrrev_i32_e32 v81, 31, v70
	v_cmp_ne_u32_e64 s2, 32, v1
	v_cmp_ne_u32_e64 s3, v71, v1
	s_ashr_i32 s23, s4, 7
	v_sub_nc_u32_e32 v99, 0, v96
	s_cmp_gt_i32 s18, 2
	s_cselect_b32 s24, -1, 0
	s_add_i32 s26, s18, -2
	s_xor_b32 s27, vcc_lo, -1
	v_ldexp_f64 v[3:4], v[3:4], 32
	s_delay_alu instid0(VALU_DEP_1) | instskip(SKIP_2) | instid1(VALU_DEP_2)
	v_add_f64 v[3:4], v[3:4], v[32:33]
	v_and_b32_e32 v32, 0xffffffe0, v5
	v_lshl_add_u32 v5, v82, 8, 0xffffff00
	v_sub_nc_u32_e32 v97, v0, v32
	v_dual_mov_b32 v32, v50 :: v_dual_mov_b32 v33, v51
	v_subrev_nc_u32_e32 v102, 32, v84
	s_delay_alu instid0(VALU_DEP_4) | instskip(SKIP_2) | instid1(VALU_DEP_4)
	v_add_co_u32 v103, s6, 0x100, v5
	v_ashrrev_i32_e32 v86, 31, v83
	v_cmp_gt_i32_e64 s4, 1, v97
	v_ashrrev_i32_e32 v113, 31, v102
	v_cmp_le_i32_e64 s5, v97, v52
	v_cmp_lt_i32_e64 s11, v97, v52
	v_max_f64 v[38:39], v[3:4], v[3:4]
	v_ashrrev_i32_e32 v3, 31, v5
	v_lshlrev_b32_e32 v4, 10, v96
	s_delay_alu instid0(VALU_DEP_2) | instskip(SKIP_1) | instid1(VALU_DEP_3)
	v_add_co_ci_u32_e64 v112, s6, 0, v3, s6
	v_lshl_add_u32 v3, v82, 10, 0xfffffc00
	v_lshl_add_u32 v48, v97, 4, v4
	v_add_co_u32 v114, s6, v102, 32
	s_delay_alu instid0(VALU_DEP_1) | instskip(NEXT) | instid1(VALU_DEP_4)
	v_add_co_ci_u32_e64 v115, s6, 0, v113, s6
	v_ashrrev_i32_e32 v4, 31, v3
	v_add_co_u32 v116, s6, 0x400, v3
	v_ashrrev_i32_e32 v49, 31, v48
	s_delay_alu instid0(VALU_DEP_3) | instskip(SKIP_1) | instid1(VALU_DEP_1)
	v_add_co_ci_u32_e64 v117, s6, 0, v4, s6
	v_cmp_eq_u32_e64 s6, 1, v2
	s_xor_b32 s25, s6, -1
.LBB4_93:                               ; =>This Loop Header: Depth=1
                                        ;     Child Loop BB4_96 Depth 2
                                        ;       Child Loop BB4_105 Depth 3
                                        ;       Child Loop BB4_132 Depth 3
	;; [unrolled: 1-line block ×4, first 2 shown]
                                        ;         Child Loop BB4_181 Depth 4
                                        ;       Child Loop BB4_188 Depth 3
                                        ;         Child Loop BB4_189 Depth 4
                                        ;       Child Loop BB4_200 Depth 3
                                        ;       Child Loop BB4_206 Depth 3
                                        ;         Child Loop BB4_207 Depth 4
                                        ;       Child Loop BB4_221 Depth 3
                                        ;       Child Loop BB4_227 Depth 3
	;; [unrolled: 1-line block ×6, first 2 shown]
                                        ;     Child Loop BB4_302 Depth 2
                                        ;       Child Loop BB4_308 Depth 3
                                        ;       Child Loop BB4_335 Depth 3
	;; [unrolled: 1-line block ×3, first 2 shown]
                                        ;     Child Loop BB4_385 Depth 2
                                        ;       Child Loop BB4_394 Depth 3
                                        ;       Child Loop BB4_421 Depth 3
	;; [unrolled: 1-line block ×9, first 2 shown]
                                        ;     Child Loop BB4_548 Depth 2
                                        ;       Child Loop BB4_554 Depth 3
                                        ;       Child Loop BB4_581 Depth 3
	;; [unrolled: 1-line block ×3, first 2 shown]
                                        ;     Child Loop BB4_630 Depth 2
                                        ;       Child Loop BB4_632 Depth 3
                                        ;         Child Loop BB4_641 Depth 4
                                        ;         Child Loop BB4_673 Depth 4
	;; [unrolled: 1-line block ×4, first 2 shown]
                                        ;           Child Loop BB4_722 Depth 5
                                        ;         Child Loop BB4_729 Depth 4
                                        ;           Child Loop BB4_730 Depth 5
                                        ;         Child Loop BB4_741 Depth 4
                                        ;         Child Loop BB4_747 Depth 4
                                        ;           Child Loop BB4_748 Depth 5
                                        ;         Child Loop BB4_762 Depth 4
                                        ;         Child Loop BB4_768 Depth 4
	;; [unrolled: 1-line block ×6, first 2 shown]
                                        ;       Child Loop BB4_843 Depth 3
                                        ;         Child Loop BB4_849 Depth 4
                                        ;         Child Loop BB4_881 Depth 4
	;; [unrolled: 1-line block ×3, first 2 shown]
                                        ;     Child Loop BB4_931 Depth 2
                                        ;       Child Loop BB4_940 Depth 3
                                        ;       Child Loop BB4_967 Depth 3
	;; [unrolled: 1-line block ×9, first 2 shown]
                                        ;     Child Loop BB4_1092 Depth 2
                                        ;       Child Loop BB4_1098 Depth 3
                                        ;       Child Loop BB4_1125 Depth 3
	;; [unrolled: 1-line block ×3, first 2 shown]
	flat_load_b32 v36, v[18:19]
	v_sub_co_u32 v4, vcc_lo, v6, v50
	v_sub_co_ci_u32_e32 v2, vcc_lo, v7, v51, vcc_lo
	v_add_co_u32 v52, vcc_lo, v50, v16
	s_delay_alu instid0(VALU_DEP_3) | instskip(NEXT) | instid1(VALU_DEP_3)
	v_cvt_f64_u32_e32 v[4:5], v4
	v_cvt_f64_u32_e32 v[2:3], v2
	v_add_co_ci_u32_e32 v53, vcc_lo, v51, v17, vcc_lo
	s_mov_b32 s13, exec_lo
	s_delay_alu instid0(VALU_DEP_2) | instskip(NEXT) | instid1(VALU_DEP_1)
	v_ldexp_f64 v[2:3], v[2:3], 32
	v_add_f64 v[2:3], v[2:3], v[4:5]
	s_delay_alu instid0(VALU_DEP_1) | instskip(NEXT) | instid1(VALU_DEP_1)
	v_min_f64 v[2:3], v[38:39], v[2:3]
	v_cvt_i32_f64_e32 v54, v[2:3]
	s_delay_alu instid0(VALU_DEP_1) | instskip(SKIP_1) | instid1(VALU_DEP_2)
	v_max_i32_e32 v119, 0, v54
	v_cmp_lt_i32_e64 s12, 0, v54
	v_add_nc_u32_e32 v2, 31, v119
	s_delay_alu instid0(VALU_DEP_1) | instskip(NEXT) | instid1(VALU_DEP_1)
	v_ashrrev_i32_e32 v3, 31, v2
	v_lshrrev_b32_e32 v3, 27, v3
	s_waitcnt vmcnt(0) lgkmcnt(0)
	v_ashrrev_i32_e32 v4, 31, v36
	v_mul_lo_u32 v5, v69, v36
	v_mad_u64_u32 v[64:65], null, v68, v36, v[52:53]
	v_add_nc_u32_e32 v36, v2, v3
	s_delay_alu instid0(VALU_DEP_4) | instskip(SKIP_2) | instid1(VALU_DEP_4)
	v_mul_lo_u32 v4, v68, v4
	v_add_co_u32 v2, vcc_lo, v10, v52
	v_add_co_ci_u32_e32 v3, vcc_lo, v11, v53, vcc_lo
	v_ashrrev_i32_e32 v36, 5, v36
	s_delay_alu instid0(VALU_DEP_4) | instskip(SKIP_1) | instid1(VALU_DEP_3)
	v_add3_u32 v65, v5, v65, v4
	v_add_co_u32 v4, vcc_lo, v8, v64
	v_lshlrev_b32_e32 v36, 4, v36
	s_delay_alu instid0(VALU_DEP_3) | instskip(NEXT) | instid1(VALU_DEP_2)
	v_add_co_ci_u32_e32 v5, vcc_lo, v9, v65, vcc_lo
	v_max_i32_e32 v128, s23, v36
	s_delay_alu instid0(VALU_DEP_2)
	v_cmpx_ne_u64_e64 v[2:3], v[4:5]
	s_xor_b32 s28, exec_lo, s13
                                        ; implicit-def: $vgpr42 : SGPR spill to VGPR lane
	s_cbranch_execz .LBB4_382
; %bb.94:                               ;   in Loop: Header=BB4_93 Depth=1
	v_dual_mov_b32 v2, 0 :: v_dual_mov_b32 v129, 0
	v_mov_b32_e32 v54, v128
	s_mov_b32 vcc_hi, 0
	s_and_saveexec_b32 s29, s12
	s_cbranch_execz .LBB4_300
; %bb.95:                               ;   in Loop: Header=BB4_93 Depth=1
	v_dual_mov_b32 v129, 0 :: v_dual_mov_b32 v54, v128
	s_mov_b32 s15, 1
	s_mov_b32 s14, -1
.LBB4_96:                               ;   Parent Loop BB4_93 Depth=1
                                        ; =>  This Loop Header: Depth=2
                                        ;       Child Loop BB4_105 Depth 3
                                        ;       Child Loop BB4_132 Depth 3
	;; [unrolled: 1-line block ×4, first 2 shown]
                                        ;         Child Loop BB4_181 Depth 4
                                        ;       Child Loop BB4_188 Depth 3
                                        ;         Child Loop BB4_189 Depth 4
                                        ;       Child Loop BB4_200 Depth 3
                                        ;       Child Loop BB4_206 Depth 3
                                        ;         Child Loop BB4_207 Depth 4
                                        ;       Child Loop BB4_221 Depth 3
                                        ;       Child Loop BB4_227 Depth 3
	;; [unrolled: 1-line block ×6, first 2 shown]
	s_and_saveexec_b32 s16, s0
	s_cbranch_execz .LBB4_99
; %bb.97:                               ;   in Loop: Header=BB4_96 Depth=2
	s_cbranch_execnz .LBB4_1230
; %bb.98:                               ;   in Loop: Header=BB4_96 Depth=2
	ds_load_2addr_b64 v[2:5], v0 offset1:1
	ds_load_b64 v[66:67], v0
	v_ashrrev_i32_e32 v36, 31, v129
	s_waitcnt lgkmcnt(1)
	v_add_co_u32 v2, vcc_lo, v2, v52
	v_add_co_ci_u32_e32 v3, vcc_lo, v3, v53, vcc_lo
	v_add_co_u32 v4, vcc_lo, v4, v64
	v_add_co_ci_u32_e32 v5, vcc_lo, v5, v65, vcc_lo
	s_waitcnt lgkmcnt(0)
	v_add_co_u32 v55, vcc_lo, v66, v64
	v_add_co_ci_u32_e32 v130, vcc_lo, v67, v65, vcc_lo
	v_add_co_u32 v2, vcc_lo, v2, v129
	v_add_co_ci_u32_e32 v3, vcc_lo, v3, v36, vcc_lo
	s_delay_alu instid0(VALU_DEP_4) | instskip(NEXT) | instid1(VALU_DEP_4)
	v_add_co_u32 v55, vcc_lo, v55, v129
	v_add_co_ci_u32_e32 v130, vcc_lo, v130, v36, vcc_lo
	v_cmp_ne_u64_e32 vcc_lo, 0, v[66:67]
	v_add_co_u32 v4, s13, v4, v129
	s_delay_alu instid0(VALU_DEP_1) | instskip(NEXT) | instid1(VALU_DEP_4)
	v_add_co_ci_u32_e64 v5, s13, v5, v36, s13
	v_dual_cndmask_b32 v67, 0, v130 :: v_dual_cndmask_b32 v66, 0, v55
	ds_store_b64 v0, v[2:3]
	ds_store_b64 v0, v[4:5]
	;; [unrolled: 1-line block ×3, first 2 shown]
.LBB4_99:                               ;   in Loop: Header=BB4_96 Depth=2
	s_or_b32 exec_lo, exec_lo, s16
	v_and_b32_e32 v2, 8, v30
	s_mov_b32 s16, -1
	s_mov_b32 s13, exec_lo
	s_delay_alu instid0(VALU_DEP_1)
	v_cmpx_ne_u32_e32 0, v2
	s_cbranch_execz .LBB4_113
; %bb.100:                              ;   in Loop: Header=BB4_96 Depth=2
	v_add_co_u32 v4, vcc_lo, v34, 8
	v_add_co_ci_u32_e32 v5, vcc_lo, 0, v35, vcc_lo
	v_add_co_u32 v2, vcc_lo, v14, 2
	v_add_co_ci_u32_e32 v3, vcc_lo, 0, v15, vcc_lo
	s_delay_alu instid0(VALU_DEP_1)
	v_cmp_lt_u64_e32 vcc_lo, v[4:5], v[2:3]
	v_mov_b32_e32 v4, 1
	s_and_saveexec_b32 s16, vcc_lo
	s_cbranch_execz .LBB4_112
; %bb.101:                              ;   in Loop: Header=BB4_96 Depth=2
	v_mov_b32_e32 v4, 0
	s_mov_b32 s17, 0
                                        ; implicit-def: $sgpr30
	s_branch .LBB4_105
.LBB4_102:                              ;   in Loop: Header=BB4_105 Depth=3
	s_or_b32 exec_lo, exec_lo, s36
	v_mov_b32_e32 v5, 0
	s_or_not1_b32 s35, s35, exec_lo
.LBB4_103:                              ;   in Loop: Header=BB4_105 Depth=3
	s_or_b32 exec_lo, exec_lo, s34
	s_delay_alu instid0(VALU_DEP_1) | instskip(SKIP_2) | instid1(SALU_CYCLE_1)
	v_mov_b32_e32 v4, v5
	s_and_not1_b32 vcc_lo, s30, exec_lo
	s_and_b32 s30, s35, exec_lo
	s_or_b32 s30, vcc_lo, s30
.LBB4_104:                              ;   in Loop: Header=BB4_105 Depth=3
	s_or_b32 exec_lo, exec_lo, s31
	s_waitcnt vmcnt(0) lgkmcnt(0)
	v_add_co_u32 v66, vcc_lo, v34, 8
	v_add_co_ci_u32_e32 v67, vcc_lo, 0, v35, vcc_lo
	s_xor_b32 s31, s30, -1
	s_delay_alu instid0(VALU_DEP_1) | instskip(SKIP_1) | instid1(SALU_CYCLE_1)
	v_cmp_ge_u64_e32 vcc_lo, v[66:67], v[2:3]
	s_or_b32 vcc_lo, s31, vcc_lo
	s_and_b32 vcc_lo, exec_lo, vcc_lo
	s_delay_alu instid0(SALU_CYCLE_1) | instskip(NEXT) | instid1(SALU_CYCLE_1)
	s_or_b32 s17, vcc_lo, s17
	s_and_not1_b32 exec_lo, exec_lo, s17
	s_cbranch_execz .LBB4_111
.LBB4_105:                              ;   Parent Loop BB4_93 Depth=1
                                        ;     Parent Loop BB4_96 Depth=2
                                        ; =>    This Inner Loop Header: Depth=3
	s_sleep 1
	flat_load_b64 v[34:35], v[24:25] glc
	v_and_b32_e32 v5, 64, v30
	s_and_not1_b32 s30, s30, exec_lo
	s_mov_b32 s31, exec_lo
	s_delay_alu instid0(VALU_DEP_1)
	v_cmpx_eq_u32_e32 0, v5
	s_cbranch_execz .LBB4_104
; %bb.106:                              ;   in Loop: Header=BB4_105 Depth=3
	v_add_nc_u32_e32 v5, 1, v4
	s_mov_b32 s35, -1
	s_mov_b32 s34, exec_lo
	v_cmpx_lt_i32_e32 0x270e, v4
	s_cbranch_execz .LBB4_103
; %bb.107:                              ;   in Loop: Header=BB4_105 Depth=3
	s_cbranch_execnz .LBB4_1242
; %bb.108:                              ;   in Loop: Header=BB4_105 Depth=3
	ds_load_b64 v[4:5], v0
	s_mov_b32 s36, exec_lo
	s_waitcnt vmcnt(0) lgkmcnt(0)
	s_waitcnt_vscnt null, 0x0
	flat_load_b32 v4, v[4:5] glc
	s_waitcnt vmcnt(0) lgkmcnt(0)
	buffer_gl1_inv
	buffer_gl0_inv
	v_cmpx_ne_u32_e32 0, v4
	s_cbranch_execz .LBB4_102
; %bb.109:                              ;   in Loop: Header=BB4_105 Depth=3
	ds_store_b32 v0, v4
	s_cbranch_execnz .LBB4_1295
; %bb.110:                              ;   in Loop: Header=BB4_105 Depth=3
	v_or_b32_e32 v30, 64, v30
	s_xor_b32 s35, exec_lo, -1
	s_branch .LBB4_102
.LBB4_111:                              ;   in Loop: Header=BB4_96 Depth=2
	s_or_b32 exec_lo, exec_lo, s17
	v_and_b32_e32 v4, 8, v30
.LBB4_112:                              ;   in Loop: Header=BB4_96 Depth=2
	s_or_b32 exec_lo, exec_lo, s16
	s_delay_alu instid0(VALU_DEP_1)
	v_cmp_eq_u32_e32 vcc_lo, 0, v4
	;;#ASMSTART
	s_wakeup
	;;#ASMEND
	s_or_not1_b32 s16, vcc_lo, exec_lo
.LBB4_113:                              ;   in Loop: Header=BB4_96 Depth=2
	s_or_b32 exec_lo, exec_lo, s13
	v_sub_nc_u32_e32 v2, v119, v129
	s_xor_b32 s13, s16, -1
	s_delay_alu instid0(VALU_DEP_1)
	v_min_i32_e32 v54, v54, v2
	s_and_saveexec_b32 s16, s13
	s_cbranch_execz .LBB4_123
; %bb.114:                              ;   in Loop: Header=BB4_96 Depth=2
	v_and_b32_e32 v2, 0x100, v30
	v_and_b32_e32 v36, 7, v14
	s_mov_b32 s13, -1
	s_delay_alu instid0(VALU_DEP_2)
	v_cmp_ne_u32_e32 vcc_lo, 0, v2
                                        ; implicit-def: $vgpr2_vgpr3
	s_and_saveexec_b32 s17, vcc_lo
	s_cbranch_execz .LBB4_118
; %bb.115:                              ;   in Loop: Header=BB4_96 Depth=2
	v_mad_u64_u32 v[4:5], null, v36, 24, v[12:13]
	v_ashrrev_i32_e32 v55, 31, v54
	flat_load_b32 v2, v[4:5]
	flat_store_b64 v[4:5], v[54:55] offset:8
	s_waitcnt vmcnt(0) lgkmcnt(1)
	v_cmp_ne_u32_e32 vcc_lo, 1, v2
	v_cmp_eq_u32_e64 s13, 1, v2
                                        ; implicit-def: $vgpr2_vgpr3
	s_delay_alu instid0(VALU_DEP_1)
	s_and_saveexec_b32 s30, s13
	s_cbranch_execz .LBB4_117
; %bb.116:                              ;   in Loop: Header=BB4_96 Depth=2
	flat_load_b32 v2, v[4:5] offset:4 glc
	s_waitcnt vmcnt(0) lgkmcnt(0)
	v_ashrrev_i32_e32 v3, 31, v2
.LBB4_117:                              ;   in Loop: Header=BB4_96 Depth=2
	s_or_b32 exec_lo, exec_lo, s30
	s_delay_alu instid0(SALU_CYCLE_1)
	s_or_not1_b32 s13, vcc_lo, exec_lo
.LBB4_118:                              ;   in Loop: Header=BB4_96 Depth=2
	s_or_b32 exec_lo, exec_lo, s17
	s_and_saveexec_b32 s17, s13
; %bb.119:                              ;   in Loop: Header=BB4_96 Depth=2
	v_mad_i64_i32 v[2:3], null, v36, v70, 0
; %bb.120:                              ;   in Loop: Header=BB4_96 Depth=2
	s_or_b32 exec_lo, exec_lo, s17
	s_delay_alu instid0(VALU_DEP_1) | instskip(SKIP_1) | instid1(VALU_DEP_3)
	v_add_co_u32 v2, vcc_lo, v26, v2
	v_and_b32_e32 v4, 0x2000, v30
	v_add_co_ci_u32_e32 v3, vcc_lo, v27, v3, vcc_lo
	s_mov_b32 s13, exec_lo
	ds_store_b64 v0, v[2:3] offset:792
	v_cmpx_ne_u32_e32 0, v4
	s_cbranch_execz .LBB4_122
; %bb.121:                              ;   in Loop: Header=BB4_96 Depth=2
	ds_load_b64 v[2:3], v0 offset:584
	s_waitcnt lgkmcnt(0)
	v_add_co_u32 v2, vcc_lo, v2, 1
	v_add_co_ci_u32_e32 v3, vcc_lo, 0, v3, vcc_lo
	ds_store_b64 v0, v[2:3] offset:584
.LBB4_122:                              ;   in Loop: Header=BB4_96 Depth=2
	s_or_b32 exec_lo, exec_lo, s13
	v_add_co_u32 v14, vcc_lo, v14, 2
	v_add_co_ci_u32_e32 v15, vcc_lo, 0, v15, vcc_lo
.LBB4_123:                              ;   in Loop: Header=BB4_96 Depth=2
	s_or_b32 exec_lo, exec_lo, s16
	s_and_saveexec_b32 s13, s2
	s_cbranch_execz .LBB4_145
; %bb.124:                              ;   in Loop: Header=BB4_96 Depth=2
	s_and_saveexec_b32 s16, s3
	s_delay_alu instid0(SALU_CYCLE_1)
	s_xor_b32 s16, exec_lo, s16
	s_cbranch_execz .LBB4_142
; %bb.125:                              ;   in Loop: Header=BB4_96 Depth=2
	s_and_saveexec_b32 s17, s1
	s_cbranch_execz .LBB4_141
; %bb.126:                              ;   in Loop: Header=BB4_96 Depth=2
	s_mov_b32 s31, exec_lo
	s_mov_b32 s30, exec_lo
	v_mbcnt_lo_u32_b32 v2, s31, 0
	s_waitcnt lgkmcnt(0)
	s_waitcnt_vscnt null, 0x0
	buffer_gl1_inv
	buffer_gl0_inv
	v_cmpx_eq_u32_e32 0, v2
	s_cbranch_execz .LBB4_128
; %bb.127:                              ;   in Loop: Header=BB4_96 Depth=2
	s_bcnt1_i32_b32 vcc_lo, s31
	s_delay_alu instid0(SALU_CYCLE_1)
	v_mov_b32_e32 v36, vcc_lo
	ds_add_u64 v0, v[36:37]
	s_cbranch_execnz .LBB4_1313
.LBB4_128:                              ;   in Loop: Header=BB4_96 Depth=2
	s_or_b32 exec_lo, exec_lo, s30
	s_cbranch_execnz .LBB4_1299
; %bb.129:                              ;   in Loop: Header=BB4_96 Depth=2
	ds_load_b64 v[2:3], v0
	v_add_co_u32 v32, vcc_lo, v32, v82
	v_add_co_ci_u32_e32 v33, vcc_lo, 0, v33, vcc_lo
	s_mov_b32 s30, exec_lo
	s_waitcnt lgkmcnt(0)
	s_delay_alu instid0(VALU_DEP_1)
	v_cmpx_lt_u64_e64 v[2:3], v[32:33]
	s_cbranch_execz .LBB4_140
; %bb.130:                              ;   in Loop: Header=BB4_96 Depth=2
	s_mov_b32 s31, 0
	s_mov_b32 s36, 0
                                        ; implicit-def: $sgpr34
                                        ; implicit-def: $sgpr35
	s_branch .LBB4_132
.LBB4_131:                              ;   in Loop: Header=BB4_132 Depth=3
	s_or_b32 exec_lo, exec_lo, s38
	s_delay_alu instid0(SALU_CYCLE_1) | instskip(NEXT) | instid1(SALU_CYCLE_1)
	s_and_b32 vcc_lo, exec_lo, vcc_lo
	s_or_b32 s31, vcc_lo, s31
	s_and_not1_b32 vcc_lo, s34, exec_lo
	s_and_b32 s34, s35, exec_lo
	s_delay_alu instid0(SALU_CYCLE_1)
	s_or_b32 s34, vcc_lo, s34
	s_and_not1_b32 exec_lo, exec_lo, s31
	s_cbranch_execz .LBB4_138
.LBB4_132:                              ;   Parent Loop BB4_93 Depth=1
                                        ;     Parent Loop BB4_96 Depth=2
                                        ; =>    This Inner Loop Header: Depth=3
	s_add_i32 s36, s36, 1
                                        ; implicit-def: $sgpr38
	s_delay_alu instid0(SALU_CYCLE_1) | instskip(SKIP_1) | instid1(SALU_CYCLE_1)
	s_cmpk_lg_i32 s36, 0x2710
	s_cselect_b32 s37, -1, 0
	s_and_b32 vcc_lo, exec_lo, s37
	s_cbranch_vccz .LBB4_136
.LBB4_133:                              ;   in Loop: Header=BB4_132 Depth=3
	s_and_not1_b32 s35, s35, exec_lo
	s_and_b32 s38, s38, exec_lo
	s_mov_b32 vcc_lo, -1
	s_or_b32 s35, s35, s38
	s_and_saveexec_b32 s38, s37
	s_cbranch_execz .LBB4_131
; %bb.134:                              ;   in Loop: Header=BB4_132 Depth=3
	s_sleep 1
	s_cbranch_execnz .LBB4_1363
; %bb.135:                              ;   in Loop: Header=BB4_132 Depth=3
	ds_load_b64 v[2:3], v0
	s_and_not1_b32 s35, s35, exec_lo
	s_waitcnt lgkmcnt(0)
	v_cmp_ge_u64_e32 vcc_lo, v[2:3], v[32:33]
	s_or_not1_b32 vcc_lo, vcc_lo, exec_lo
	s_branch .LBB4_131
.LBB4_136:                              ;   in Loop: Header=BB4_132 Depth=3
	s_cbranch_execnz .LBB4_1373
; %bb.137:                              ;   in Loop: Header=BB4_132 Depth=3
	ds_load_b64 v[2:3], v0
	s_and_not1_b32 s37, s37, exec_lo
	s_mov_b32 s36, 0
	s_mov_b32 s38, -1
	s_waitcnt lgkmcnt(0)
	flat_load_b32 v2, v[2:3] glc
	s_waitcnt vmcnt(0) lgkmcnt(0)
	buffer_gl1_inv
	buffer_gl0_inv
	v_cmp_eq_u32_e32 vcc_lo, 0, v2
	s_and_b32 vcc_lo, vcc_lo, exec_lo
	s_delay_alu instid0(SALU_CYCLE_1)
	s_or_b32 s37, s37, vcc_lo
	s_branch .LBB4_133
.LBB4_138:                              ;   in Loop: Header=BB4_96 Depth=2
	s_or_b32 exec_lo, exec_lo, s31
	s_and_saveexec_b32 vcc_lo, s34
	s_delay_alu instid0(SALU_CYCLE_1)
	s_xor_b32 vcc_lo, exec_lo, vcc_lo
	s_cbranch_execz .LBB4_140
; %bb.139:                              ;   in Loop: Header=BB4_96 Depth=2
	ds_store_b32 v0, v118
	s_cbranch_execnz .LBB4_1568
.LBB4_140:                              ;   in Loop: Header=BB4_96 Depth=2
	s_or_b32 exec_lo, exec_lo, s30
	;;#ASMSTART
	s_wakeup
	;;#ASMEND
.LBB4_141:                              ;   in Loop: Header=BB4_96 Depth=2
	s_or_b32 exec_lo, exec_lo, s17
.LBB4_142:                              ;   in Loop: Header=BB4_96 Depth=2
	s_and_not1_saveexec_b32 s16, s16
	s_cbranch_execz .LBB4_144
; %bb.143:                              ;   in Loop: Header=BB4_96 Depth=2
	s_waitcnt lgkmcnt(0)
	s_waitcnt_vscnt null, 0x0
	buffer_gl1_inv
	buffer_gl0_inv
	s_barrier
.LBB4_144:                              ;   in Loop: Header=BB4_96 Depth=2
	s_or_b32 exec_lo, exec_lo, s16
.LBB4_145:                              ;   in Loop: Header=BB4_96 Depth=2
	s_delay_alu instid0(SALU_CYCLE_1)
	s_or_b32 exec_lo, exec_lo, s13
	s_cbranch_execnz .LBB4_1226
; %bb.146:                              ;   in Loop: Header=BB4_96 Depth=2
	ds_load_b32 v2, v0
	v_and_b32_e32 v3, 0x4000, v30
	v_writelane_b32 v42, s15, 0
	s_delay_alu instid0(VALU_DEP_2) | instskip(SKIP_2) | instid1(SALU_CYCLE_1)
	v_cmp_ne_u32_e32 vcc_lo, 0, v3
	v_writelane_b32 v42, s14, 1
	s_and_b32 s14, s27, vcc_lo
	s_and_saveexec_b32 s13, s14
	s_cbranch_execz .LBB4_168
; %bb.147:                              ;   in Loop: Header=BB4_96 Depth=2
	s_and_saveexec_b32 s14, s3
	s_delay_alu instid0(SALU_CYCLE_1)
	s_xor_b32 s14, exec_lo, s14
	s_cbranch_execz .LBB4_165
; %bb.148:                              ;   in Loop: Header=BB4_96 Depth=2
	s_and_saveexec_b32 s15, s1
	s_cbranch_execz .LBB4_164
; %bb.149:                              ;   in Loop: Header=BB4_96 Depth=2
	s_mov_b32 s17, exec_lo
	s_mov_b32 s16, exec_lo
	v_mbcnt_lo_u32_b32 v3, s17, 0
	s_waitcnt lgkmcnt(0)
	s_waitcnt_vscnt null, 0x0
	buffer_gl1_inv
	buffer_gl0_inv
	v_cmpx_eq_u32_e32 0, v3
	s_cbranch_execz .LBB4_151
; %bb.150:                              ;   in Loop: Header=BB4_96 Depth=2
	s_bcnt1_i32_b32 s17, s17
	s_delay_alu instid0(SALU_CYCLE_1)
	v_mov_b32_e32 v36, s17
	ds_add_u64 v0, v[36:37]
	s_cbranch_execnz .LBB4_1357
.LBB4_151:                              ;   in Loop: Header=BB4_96 Depth=2
	s_or_b32 exec_lo, exec_lo, s16
	s_cbranch_execnz .LBB4_1335
; %bb.152:                              ;   in Loop: Header=BB4_96 Depth=2
	ds_load_b64 v[3:4], v0
	v_add_co_u32 v32, vcc_lo, v32, v82
	v_add_co_ci_u32_e32 v33, vcc_lo, 0, v33, vcc_lo
	s_mov_b32 s16, exec_lo
	s_waitcnt lgkmcnt(0)
	s_delay_alu instid0(VALU_DEP_1)
	v_cmpx_lt_u64_e64 v[3:4], v[32:33]
	s_cbranch_execz .LBB4_163
; %bb.153:                              ;   in Loop: Header=BB4_96 Depth=2
	s_mov_b32 s17, 0
	s_mov_b32 s34, 0
                                        ; implicit-def: $sgpr30
                                        ; implicit-def: $sgpr31
	s_branch .LBB4_155
.LBB4_154:                              ;   in Loop: Header=BB4_155 Depth=3
	s_or_b32 exec_lo, exec_lo, s36
	s_delay_alu instid0(SALU_CYCLE_1) | instskip(NEXT) | instid1(SALU_CYCLE_1)
	s_and_b32 vcc_lo, exec_lo, vcc_lo
	s_or_b32 s17, vcc_lo, s17
	s_and_not1_b32 vcc_lo, s30, exec_lo
	s_and_b32 s30, s31, exec_lo
	s_delay_alu instid0(SALU_CYCLE_1)
	s_or_b32 s30, vcc_lo, s30
	s_and_not1_b32 exec_lo, exec_lo, s17
	s_cbranch_execz .LBB4_161
.LBB4_155:                              ;   Parent Loop BB4_93 Depth=1
                                        ;     Parent Loop BB4_96 Depth=2
                                        ; =>    This Inner Loop Header: Depth=3
	s_add_i32 s34, s34, 1
                                        ; implicit-def: $sgpr36
	s_delay_alu instid0(SALU_CYCLE_1) | instskip(SKIP_1) | instid1(SALU_CYCLE_1)
	s_cmpk_lg_i32 s34, 0x2710
	s_cselect_b32 s35, -1, 0
	s_and_b32 vcc_lo, exec_lo, s35
	s_cbranch_vccz .LBB4_159
.LBB4_156:                              ;   in Loop: Header=BB4_155 Depth=3
	s_and_not1_b32 s31, s31, exec_lo
	s_and_b32 s36, s36, exec_lo
	s_mov_b32 vcc_lo, -1
	s_or_b32 s31, s31, s36
	s_and_saveexec_b32 s36, s35
	s_cbranch_execz .LBB4_154
; %bb.157:                              ;   in Loop: Header=BB4_155 Depth=3
	s_sleep 1
	s_cbranch_execnz .LBB4_1409
; %bb.158:                              ;   in Loop: Header=BB4_155 Depth=3
	ds_load_b64 v[3:4], v0
	s_and_not1_b32 s31, s31, exec_lo
	s_waitcnt lgkmcnt(0)
	v_cmp_ge_u64_e32 vcc_lo, v[3:4], v[32:33]
	s_or_not1_b32 vcc_lo, vcc_lo, exec_lo
	s_branch .LBB4_154
.LBB4_159:                              ;   in Loop: Header=BB4_155 Depth=3
	s_cbranch_execnz .LBB4_1429
; %bb.160:                              ;   in Loop: Header=BB4_155 Depth=3
	ds_load_b64 v[3:4], v0
	s_and_not1_b32 s35, s35, exec_lo
	s_mov_b32 s34, 0
	s_mov_b32 s36, -1
	s_waitcnt lgkmcnt(0)
	flat_load_b32 v3, v[3:4] glc
	s_waitcnt vmcnt(0) lgkmcnt(0)
	buffer_gl1_inv
	buffer_gl0_inv
	v_cmp_eq_u32_e32 vcc_lo, 0, v3
	s_and_b32 vcc_lo, vcc_lo, exec_lo
	s_delay_alu instid0(SALU_CYCLE_1)
	s_or_b32 s35, s35, vcc_lo
	s_branch .LBB4_156
.LBB4_161:                              ;   in Loop: Header=BB4_96 Depth=2
	s_or_b32 exec_lo, exec_lo, s17
	s_and_saveexec_b32 s17, s30
	s_delay_alu instid0(SALU_CYCLE_1)
	s_xor_b32 s17, exec_lo, s17
	s_cbranch_execz .LBB4_163
; %bb.162:                              ;   in Loop: Header=BB4_96 Depth=2
	ds_store_b32 v0, v118
	s_cbranch_execnz .LBB4_1582
.LBB4_163:                              ;   in Loop: Header=BB4_96 Depth=2
	s_or_b32 exec_lo, exec_lo, s16
	;;#ASMSTART
	s_wakeup
	;;#ASMEND
.LBB4_164:                              ;   in Loop: Header=BB4_96 Depth=2
	s_or_b32 exec_lo, exec_lo, s15
.LBB4_165:                              ;   in Loop: Header=BB4_96 Depth=2
	s_and_not1_saveexec_b32 s14, s14
	s_cbranch_execz .LBB4_167
; %bb.166:                              ;   in Loop: Header=BB4_96 Depth=2
	s_waitcnt lgkmcnt(0)
	s_waitcnt_vscnt null, 0x0
	buffer_gl1_inv
	buffer_gl0_inv
	s_barrier
.LBB4_167:                              ;   in Loop: Header=BB4_96 Depth=2
	s_or_b32 exec_lo, exec_lo, s14
.LBB4_168:                              ;   in Loop: Header=BB4_96 Depth=2
	s_delay_alu instid0(SALU_CYCLE_1)
	s_or_b32 exec_lo, exec_lo, s13
	s_cbranch_execnz .LBB4_1244
; %bb.169:                              ;   in Loop: Header=BB4_96 Depth=2
	ds_load_b64 v[3:4], v0
	v_mov_b32_e32 v55, 0
	s_waitcnt lgkmcnt(0)
	v_cmp_eq_u64_e32 vcc_lo, 0, v[3:4]
	s_or_b32 s13, vcc_lo, vcc_lo
	s_delay_alu instid0(SALU_CYCLE_1)
	s_and_b32 vcc_lo, exec_lo, s13
	s_cbranch_vccnz .LBB4_246
; %bb.170:                              ;   in Loop: Header=BB4_96 Depth=2
	v_cmp_eq_u32_e32 vcc_lo, 0, v2
	s_cbranch_execnz .LBB4_1297
; %bb.171:                              ;   in Loop: Header=BB4_96 Depth=2
	ds_load_b64 v[2:3], v0
	v_cndmask_b32_e32 v55, 0, v54, vcc_lo
	s_waitcnt lgkmcnt(0)
	v_cmp_ne_u64_e64 s13, 0, v[2:3]
	s_delay_alu instid0(VALU_DEP_1)
	s_and_b32 vcc_lo, exec_lo, s13
	s_cbranch_vccz .LBB4_211
; %bb.172:                              ;   in Loop: Header=BB4_96 Depth=2
	s_mov_b32 s13, -1
	s_and_saveexec_b32 s14, s4
	s_cbranch_execz .LBB4_174
; %bb.173:                              ;   in Loop: Header=BB4_96 Depth=2
	ds_load_b32 v2, v0 offset:720
	s_waitcnt lgkmcnt(0)
	v_and_b32_e32 v2, 15, v2
	s_delay_alu instid0(VALU_DEP_1)
	v_cmp_eq_u32_e32 vcc_lo, 0, v2
	s_or_not1_b32 s13, vcc_lo, exec_lo
.LBB4_174:                              ;   in Loop: Header=BB4_96 Depth=2
	s_or_b32 exec_lo, exec_lo, s14
	s_and_saveexec_b32 s14, s5
	s_cbranch_execz .LBB4_176
; %bb.175:                              ;   in Loop: Header=BB4_96 Depth=2
	ds_load_b32 v2, v0 offset:784
	s_waitcnt lgkmcnt(0)
	v_and_b32_e32 v2, 15, v2
	s_delay_alu instid0(VALU_DEP_1) | instskip(SKIP_3) | instid1(SALU_CYCLE_1)
	v_cmp_eq_u32_e32 vcc_lo, 0, v2
	s_and_b32 s15, s13, vcc_lo
	s_and_not1_b32 s13, s13, exec_lo
	s_and_b32 s15, s15, exec_lo
	s_or_b32 s13, s13, s15
.LBB4_176:                              ;   in Loop: Header=BB4_96 Depth=2
	s_or_b32 exec_lo, exec_lo, s14
	s_xor_b32 s13, s13, -1
	v_dual_mov_b32 v36, 0 :: v_dual_mov_b32 v131, v0
	v_cndmask_b32_e64 v2, 0, 1, s13
	;;#ASMSTART
	;;#ASMEND
	s_delay_alu instid0(VALU_DEP_1)
	v_cmp_ne_u32_e32 vcc_lo, 0, v2
	v_mov_b32_e32 v130, v55
	v_mov_b32_e32 v2, v96
	s_mov_b32 s14, -1
	s_cbranch_vccnz .LBB4_196
; %bb.177:                              ;   in Loop: Header=BB4_96 Depth=2
	v_ashrrev_i32_e32 v2, 31, v55
	v_sub_nc_u32_e32 v36, v55, v83
	s_mov_b32 s16, exec_lo
	s_delay_alu instid0(VALU_DEP_2) | instskip(NEXT) | instid1(VALU_DEP_1)
	v_lshrrev_b32_e32 v2, 23, v2
	v_add_nc_u32_e32 v2, v55, v2
	s_delay_alu instid0(VALU_DEP_1) | instskip(SKIP_1) | instid1(VALU_DEP_2)
	v_and_b32_e32 v133, 0xfffffe00, v2
	v_ashrrev_i32_e32 v2, 9, v2
	v_sub_nc_u32_e32 v135, v55, v133
	s_delay_alu instid0(VALU_DEP_1) | instskip(NEXT) | instid1(VALU_DEP_1)
	v_cmp_lt_i32_e64 s13, 15, v135
	v_add_co_ci_u32_e64 v134, vcc_lo, v2, v99, s13
	v_cmpx_lt_i32_e32 15, v36
	s_cbranch_execz .LBB4_184
; %bb.178:                              ;   in Loop: Header=BB4_96 Depth=2
	s_cbranch_execnz .LBB4_1474
; %bb.179:                              ;   in Loop: Header=BB4_96 Depth=2
	ds_load_b64 v[66:67], v0
	ds_load_b128 v[2:5], v0
	s_mov_b32 s17, 0
	s_waitcnt lgkmcnt(1)
	v_add_co_u32 v66, vcc_lo, v66, v83
	v_add_co_ci_u32_e32 v67, vcc_lo, v67, v86, vcc_lo
	s_waitcnt lgkmcnt(0)
	v_add_co_u32 v130, vcc_lo, v2, v83
	v_add_co_ci_u32_e32 v131, vcc_lo, v3, v86, vcc_lo
	v_add_co_u32 v132, vcc_lo, v4, v83
	v_add_co_ci_u32_e32 v144, vcc_lo, v5, v86, vcc_lo
.LBB4_180:                              ;   Parent Loop BB4_93 Depth=1
                                        ;     Parent Loop BB4_96 Depth=2
                                        ; =>    This Loop Header: Depth=3
                                        ;         Child Loop BB4_181 Depth 4
	global_load_b128 v[2:5], v[66:67], off slc dlc
	s_mov_b64 s[14:15], 0
	s_mov_b32 s30, -1
.LBB4_181:                              ;   Parent Loop BB4_93 Depth=1
                                        ;     Parent Loop BB4_96 Depth=2
                                        ;       Parent Loop BB4_180 Depth=3
                                        ; =>      This Inner Loop Header: Depth=4
	s_cmp_eq_u32 s14, 0
	v_cndmask_b32_e64 v147, 0, 1, s30
	s_cselect_b32 vcc_lo, -1, 0
	s_cmp_eq_u32 s14, 1
	s_mov_b32 s30, 0
	s_cselect_b32 s14, -1, 0
	s_delay_alu instid0(SALU_CYCLE_1) | instskip(SKIP_1) | instid1(VALU_DEP_2)
	v_cndmask_b32_e64 v145, v130, v132, s14
	v_cndmask_b32_e64 v146, v131, v144, s14
	v_add_co_u32 v148, s15, 0x200, v145
	s_delay_alu instid0(VALU_DEP_1) | instskip(SKIP_1) | instid1(VALU_DEP_3)
	v_add_co_ci_u32_e64 v149, s15, 0, v146, s15
	v_cmp_ne_u32_e64 s15, 1, v147
	v_cndmask_b32_e64 v132, v132, v148, s14
	v_cndmask_b32_e32 v130, v130, v148, vcc_lo
	s_delay_alu instid0(VALU_DEP_4)
	v_cndmask_b32_e64 v144, v144, v149, s14
	v_cndmask_b32_e32 v131, v131, v149, vcc_lo
	s_and_b32 vcc_lo, exec_lo, s15
	s_mov_b64 s[14:15], 1
	s_waitcnt vmcnt(0)
	global_store_b128 v[145:146], v[2:5], off glc slc dlc
	s_cbranch_vccz .LBB4_181
; %bb.182:                              ;   in Loop: Header=BB4_180 Depth=3
	v_add_co_u32 v130, vcc_lo, v130, v87
	v_sub_nc_u32_e32 v36, v36, v85
	v_add_co_ci_u32_e32 v131, vcc_lo, v131, v98, vcc_lo
	v_add_co_u32 v132, vcc_lo, v132, v87
	v_add_co_ci_u32_e32 v144, vcc_lo, v144, v98, vcc_lo
	s_delay_alu instid0(VALU_DEP_4) | instskip(SKIP_1) | instid1(VALU_DEP_1)
	v_cmp_gt_i32_e32 vcc_lo, 16, v36
	v_add_co_u32 v66, s14, v100, v66
	v_add_co_ci_u32_e64 v67, s14, v101, v67, s14
	v_sub_nc_u32_e32 v134, v134, v82
	s_or_b32 s17, vcc_lo, s17
	s_delay_alu instid0(SALU_CYCLE_1)
	s_and_not1_b32 exec_lo, exec_lo, s17
	s_cbranch_execnz .LBB4_180
; %bb.183:                              ;   in Loop: Header=BB4_96 Depth=2
	s_or_b32 exec_lo, exec_lo, s17
.LBB4_184:                              ;   in Loop: Header=BB4_96 Depth=2
	s_delay_alu instid0(SALU_CYCLE_1) | instskip(SKIP_3) | instid1(VALU_DEP_1)
	s_or_b32 exec_lo, exec_lo, s16
	v_dual_mov_b32 v36, 0 :: v_dual_and_b32 v3, 15, v55
	s_mov_b32 s14, 0
	s_mov_b32 s30, exec_lo
                                        ; implicit-def: $vgpr130
                                        ; implicit-def: $vgpr131
                                        ; implicit-def: $vgpr2
	v_cndmask_b32_e64 v132, v135, v3, s13
	s_delay_alu instid0(VALU_DEP_1)
	v_cmpx_ne_u32_e32 0, v132
	s_cbranch_execz .LBB4_195
; %bb.185:                              ;   in Loop: Header=BB4_96 Depth=2
	v_cmp_lt_i32_e32 vcc_lo, 0, v134
	v_ashrrev_i32_e32 v5, 31, v132
	v_sub_nc_u32_e32 v3, v135, v3
	s_mov_b32 s31, exec_lo
	s_delay_alu instid0(VALU_DEP_2) | instskip(SKIP_1) | instid1(VALU_DEP_3)
	v_lshrrev_b32_e32 v5, 23, v5
	v_cndmask_b32_e32 v2, 0, v82, vcc_lo
	v_cndmask_b32_e64 v3, 0, v3, s13
	s_delay_alu instid0(VALU_DEP_3) | instskip(NEXT) | instid1(VALU_DEP_3)
	v_add_nc_u32_e32 v5, v132, v5
	v_sub_nc_u32_e32 v2, v2, v134
	s_delay_alu instid0(VALU_DEP_3) | instskip(NEXT) | instid1(VALU_DEP_3)
	v_add_nc_u32_e32 v133, v3, v133
	v_and_b32_e32 v134, 0xfffffe00, v5
	s_delay_alu instid0(VALU_DEP_3) | instskip(SKIP_1) | instid1(VALU_DEP_3)
	v_lshl_add_u32 v2, v2, 5, v97
	v_ashrrev_i32_e32 v5, 9, v5
	v_sub_nc_u32_e32 v135, v132, v134
	s_delay_alu instid0(VALU_DEP_3) | instskip(NEXT) | instid1(VALU_DEP_2)
	v_ashrrev_i32_e32 v4, 31, v2
	v_cmp_lt_i32_e64 s13, 15, v135
	s_delay_alu instid0(VALU_DEP_2) | instskip(NEXT) | instid1(VALU_DEP_2)
	v_lshrrev_b32_e32 v4, 27, v4
	v_add_co_ci_u32_e64 v5, vcc_lo, 0, v5, s13
	s_delay_alu instid0(VALU_DEP_2) | instskip(NEXT) | instid1(VALU_DEP_1)
	v_add_nc_u32_e32 v4, v2, v4
	v_and_b32_e32 v36, 0xffffffe0, v4
	v_ashrrev_i32_e32 v4, 5, v4
	s_delay_alu instid0(VALU_DEP_2) | instskip(NEXT) | instid1(VALU_DEP_2)
	v_sub_nc_u32_e32 v144, v2, v36
	v_sub_nc_u32_e32 v145, v5, v4
	s_delay_alu instid0(VALU_DEP_2) | instskip(NEXT) | instid1(VALU_DEP_1)
	v_lshlrev_b32_e32 v2, 4, v144
	v_lshl_add_u32 v2, v4, 9, v2
	s_delay_alu instid0(VALU_DEP_1) | instskip(NEXT) | instid1(VALU_DEP_1)
	v_sub_nc_u32_e32 v36, v132, v2
	v_cmpx_lt_i32_e32 15, v36
	s_cbranch_execz .LBB4_192
; %bb.186:                              ;   in Loop: Header=BB4_96 Depth=2
	s_cbranch_execnz .LBB4_1528
; %bb.187:                              ;   in Loop: Header=BB4_96 Depth=2
	ds_load_b64 v[3:4], v0
	ds_load_b128 v[146:149], v0
	v_add_nc_u32_e32 v2, v2, v133
	s_mov_b32 s34, 0
	s_delay_alu instid0(VALU_DEP_1) | instskip(SKIP_2) | instid1(VALU_DEP_2)
	v_ashrrev_i32_e32 v5, 31, v2
	s_waitcnt lgkmcnt(1)
	v_add_co_u32 v66, vcc_lo, v3, v2
	v_add_co_ci_u32_e32 v67, vcc_lo, v4, v5, vcc_lo
	s_waitcnt lgkmcnt(0)
	v_add_co_u32 v130, vcc_lo, v146, v2
	v_add_co_ci_u32_e32 v131, vcc_lo, v147, v5, vcc_lo
	v_add_co_u32 v146, vcc_lo, v148, v2
	v_add_co_ci_u32_e32 v147, vcc_lo, v149, v5, vcc_lo
.LBB4_188:                              ;   Parent Loop BB4_93 Depth=1
                                        ;     Parent Loop BB4_96 Depth=2
                                        ; =>    This Loop Header: Depth=3
                                        ;         Child Loop BB4_189 Depth 4
	global_load_b128 v[2:5], v[66:67], off slc dlc
	s_mov_b64 s[16:17], 0
	s_mov_b32 s14, -1
.LBB4_189:                              ;   Parent Loop BB4_93 Depth=1
                                        ;     Parent Loop BB4_96 Depth=2
                                        ;       Parent Loop BB4_188 Depth=3
                                        ; =>      This Inner Loop Header: Depth=4
	s_cmp_eq_u32 s16, 0
	v_cndmask_b32_e64 v148, 0, 1, s14
	s_cselect_b32 vcc_lo, -1, 0
	s_cmp_eq_u32 s16, 1
	s_cselect_b32 s14, -1, 0
	s_delay_alu instid0(VALU_DEP_1)
	v_cmp_ne_u32_e64 s15, 1, v148
	v_cndmask_b32_e64 v149, v131, v147, s14
	v_cndmask_b32_e64 v148, v130, v146, s14
	s_waitcnt vmcnt(0)
	global_store_b128 v[148:149], v[2:5], off glc slc dlc
	v_add_co_u32 v148, s16, 0x200, v148
	s_delay_alu instid0(VALU_DEP_1) | instskip(SKIP_1) | instid1(VALU_DEP_2)
	v_add_co_ci_u32_e64 v149, s16, 0, v149, s16
	s_mov_b64 s[16:17], 1
	v_cndmask_b32_e64 v146, v146, v148, s14
	v_cndmask_b32_e32 v130, v130, v148, vcc_lo
	s_delay_alu instid0(VALU_DEP_3)
	v_cndmask_b32_e64 v147, v147, v149, s14
	v_cndmask_b32_e32 v131, v131, v149, vcc_lo
	s_mov_b32 s14, 0
	s_and_b32 vcc_lo, exec_lo, s15
	s_cbranch_vccz .LBB4_189
; %bb.190:                              ;   in Loop: Header=BB4_188 Depth=3
	v_add_co_u32 v130, vcc_lo, v130, v87
	v_sub_nc_u32_e32 v36, v36, v85
	v_add_co_ci_u32_e32 v131, vcc_lo, v131, v98, vcc_lo
	v_add_co_u32 v146, vcc_lo, v146, v87
	v_add_co_ci_u32_e32 v147, vcc_lo, v147, v98, vcc_lo
	s_delay_alu instid0(VALU_DEP_4) | instskip(SKIP_1) | instid1(VALU_DEP_1)
	v_cmp_gt_i32_e32 vcc_lo, 16, v36
	v_add_co_u32 v66, s14, v100, v66
	v_add_co_ci_u32_e64 v67, s14, v101, v67, s14
	v_sub_nc_u32_e32 v145, v145, v82
	s_or_b32 s34, vcc_lo, s34
	s_delay_alu instid0(SALU_CYCLE_1)
	s_and_not1_b32 exec_lo, exec_lo, s34
	s_cbranch_execnz .LBB4_188
; %bb.191:                              ;   in Loop: Header=BB4_96 Depth=2
	s_or_b32 exec_lo, exec_lo, s34
.LBB4_192:                              ;   in Loop: Header=BB4_96 Depth=2
	s_delay_alu instid0(SALU_CYCLE_1) | instskip(SKIP_3) | instid1(VALU_DEP_1)
	s_or_b32 exec_lo, exec_lo, s31
	v_dual_mov_b32 v36, 0 :: v_dual_and_b32 v3, 15, v132
	s_mov_b32 s14, 0
	s_mov_b32 s15, exec_lo
                                        ; implicit-def: $vgpr131
                                        ; implicit-def: $vgpr2
	v_cndmask_b32_e64 v130, v135, v3, s13
	s_delay_alu instid0(VALU_DEP_1)
	v_cmpx_ne_u32_e32 0, v130
	s_cbranch_execz .LBB4_194
; %bb.193:                              ;   in Loop: Header=BB4_96 Depth=2
	v_cmp_lt_i32_e32 vcc_lo, 0, v145
	v_sub_nc_u32_e32 v3, v135, v3
	s_mov_b32 s14, exec_lo
	v_cndmask_b32_e32 v2, 0, v82, vcc_lo
	s_delay_alu instid0(VALU_DEP_2) | instskip(NEXT) | instid1(VALU_DEP_2)
	v_cndmask_b32_e64 v3, 0, v3, s13
	v_sub_nc_u32_e32 v2, v2, v145
	s_delay_alu instid0(VALU_DEP_2) | instskip(NEXT) | instid1(VALU_DEP_2)
	v_add3_u32 v36, v134, v133, v3
	v_lshl_add_u32 v131, v2, 5, v144
	s_delay_alu instid0(VALU_DEP_1) | instskip(NEXT) | instid1(VALU_DEP_1)
	v_ashrrev_i32_e32 v2, 31, v131
	v_lshrrev_b32_e32 v2, 27, v2
	s_delay_alu instid0(VALU_DEP_1) | instskip(NEXT) | instid1(VALU_DEP_1)
	v_add_nc_u32_e32 v2, v131, v2
	v_ashrrev_i32_e32 v2, 5, v2
.LBB4_194:                              ;   in Loop: Header=BB4_96 Depth=2
	s_or_b32 exec_lo, exec_lo, s15
	s_delay_alu instid0(SALU_CYCLE_1)
	s_and_b32 s14, s14, exec_lo
.LBB4_195:                              ;   in Loop: Header=BB4_96 Depth=2
	s_or_b32 exec_lo, exec_lo, s30
.LBB4_196:                              ;   in Loop: Header=BB4_96 Depth=2
	s_and_saveexec_b32 s15, s14
	s_cbranch_execz .LBB4_210
; %bb.197:                              ;   in Loop: Header=BB4_96 Depth=2
	v_ashrrev_i32_e32 v3, 31, v130
	s_mov_b32 s13, exec_lo
	s_delay_alu instid0(VALU_DEP_1) | instskip(NEXT) | instid1(VALU_DEP_1)
	v_lshrrev_b32_e32 v3, 24, v3
	v_add_nc_u32_e32 v3, v130, v3
	s_delay_alu instid0(VALU_DEP_1) | instskip(NEXT) | instid1(VALU_DEP_1)
	v_ashrrev_i32_e32 v133, 8, v3
	v_sub_nc_u32_e32 v132, v133, v2
	s_delay_alu instid0(VALU_DEP_1)
	v_cmpx_lt_i32_e32 0, v132
	s_cbranch_execz .LBB4_202
; %bb.198:                              ;   in Loop: Header=BB4_96 Depth=2
	s_cbranch_execnz .LBB4_1451
; %bb.199:                              ;   in Loop: Header=BB4_96 Depth=2
	v_ashrrev_i32_e32 v3, 31, v131
	v_lshlrev_b32_e32 v2, 8, v2
	s_mov_b32 s14, 0
	ds_load_b128 v[144:147], v0
	v_lshrrev_b32_e32 v3, 27, v3
	s_delay_alu instid0(VALU_DEP_1) | instskip(SKIP_2) | instid1(VALU_DEP_1)
	v_add_nc_u32_e32 v5, v131, v3
	ds_load_b64 v[3:4], v0
	v_and_b32_e32 v5, 0xffffffe0, v5
	v_sub_nc_u32_e32 v5, v131, v5
	s_delay_alu instid0(VALU_DEP_1) | instskip(NEXT) | instid1(VALU_DEP_1)
	v_add3_u32 v66, v36, v5, v2
	v_ashrrev_i32_e32 v67, 31, v66
	s_waitcnt lgkmcnt(0)
	v_add_co_u32 v134, vcc_lo, 0xe0, v3
	v_add_co_ci_u32_e32 v135, vcc_lo, 0, v4, vcc_lo
	v_add_co_u32 v2, vcc_lo, v144, v66
	v_add_co_ci_u32_e32 v3, vcc_lo, v145, v67, vcc_lo
	;; [unrolled: 2-line block ×4, first 2 shown]
.LBB4_200:                              ;   Parent Loop BB4_93 Depth=1
                                        ;     Parent Loop BB4_96 Depth=2
                                        ; =>    This Inner Loop Header: Depth=3
	s_delay_alu instid0(VALU_DEP_2) | instskip(NEXT) | instid1(VALU_DEP_2)
	v_add_co_u32 v134, vcc_lo, 0xffffff20, v66
	v_add_co_ci_u32_e32 v135, vcc_lo, -1, v67, vcc_lo
	v_sub_nc_u32_e32 v132, v132, v82
	flat_load_u8 v144, v[134:135] slc dlc
	v_add_co_u32 v134, vcc_lo, 0xffffff40, v66
	v_add_co_ci_u32_e32 v135, vcc_lo, -1, v67, vcc_lo
	flat_load_u8 v145, v[134:135] slc dlc
	v_add_co_u32 v134, vcc_lo, 0xffffff60, v66
	v_add_co_ci_u32_e32 v135, vcc_lo, -1, v67, vcc_lo
	;; [unrolled: 3-line block ×6, first 2 shown]
	flat_load_u8 v134, v[134:135] slc dlc
	flat_load_u8 v135, v[66:67] slc dlc
	s_waitcnt vmcnt(7) lgkmcnt(7)
	flat_store_b8 v[2:3], v144 glc slc dlc
	s_waitcnt vmcnt(6) lgkmcnt(7)
	flat_store_b8 v[2:3], v145 offset:32 glc slc dlc
	s_waitcnt vmcnt(5) lgkmcnt(7)
	flat_store_b8 v[2:3], v146 offset:64 glc slc dlc
	;; [unrolled: 2-line block ×7, first 2 shown]
	s_clause 0x7
	flat_store_b8 v[4:5], v144 glc slc dlc
	flat_store_b8 v[4:5], v145 offset:32 glc slc dlc
	flat_store_b8 v[4:5], v146 offset:64 glc slc dlc
	;; [unrolled: 1-line block ×7, first 2 shown]
	v_add_co_u32 v2, vcc_lo, v2, v103
	v_add_co_ci_u32_e32 v3, vcc_lo, v3, v112, vcc_lo
	v_add_co_u32 v4, vcc_lo, v4, v103
	v_add_co_ci_u32_e32 v5, vcc_lo, v5, v112, vcc_lo
	;; [unrolled: 2-line block ×3, first 2 shown]
	v_cmp_gt_i32_e32 vcc_lo, 1, v132
	s_or_b32 s14, vcc_lo, s14
	s_delay_alu instid0(SALU_CYCLE_1)
	s_and_not1_b32 exec_lo, exec_lo, s14
	s_cbranch_execnz .LBB4_200
; %bb.201:                              ;   in Loop: Header=BB4_96 Depth=2
	s_or_b32 exec_lo, exec_lo, s14
.LBB4_202:                              ;   in Loop: Header=BB4_96 Depth=2
	s_delay_alu instid0(SALU_CYCLE_1) | instskip(SKIP_2) | instid1(VALU_DEP_1)
	s_or_b32 exec_lo, exec_lo, s13
	v_lshlrev_b32_e32 v2, 8, v133
	s_mov_b32 s30, exec_lo
	v_cmpx_ne_u32_e64 v130, v2
	s_cbranch_execz .LBB4_209
; %bb.203:                              ;   in Loop: Header=BB4_96 Depth=2
	v_ashrrev_i32_e32 v3, 31, v131
	v_lshlrev_b32_e32 v4, 5, v132
	s_delay_alu instid0(VALU_DEP_2) | instskip(NEXT) | instid1(VALU_DEP_1)
	v_lshrrev_b32_e32 v3, 27, v3
	v_add_nc_u32_e32 v3, v131, v3
	s_delay_alu instid0(VALU_DEP_1) | instskip(NEXT) | instid1(VALU_DEP_1)
	v_and_b32_e32 v3, 0xffffffe0, v3
	v_sub_nc_u32_e32 v3, v131, v3
	s_delay_alu instid0(VALU_DEP_1) | instskip(NEXT) | instid1(VALU_DEP_1)
	v_sub_nc_u32_e32 v3, v3, v4
	v_add_nc_u32_e32 v2, v2, v3
	s_delay_alu instid0(VALU_DEP_1) | instskip(NEXT) | instid1(VALU_DEP_1)
	v_sub_nc_u32_e32 v4, v130, v2
	v_cmp_lt_i32_e32 vcc_lo, 0, v4
	s_and_b32 exec_lo, exec_lo, vcc_lo
	s_cbranch_execz .LBB4_209
; %bb.204:                              ;   in Loop: Header=BB4_96 Depth=2
	s_cbranch_execnz .LBB4_1520
; %bb.205:                              ;   in Loop: Header=BB4_96 Depth=2
	ds_load_b64 v[66:67], v0
	ds_load_b128 v[130:133], v0
	v_add_nc_u32_e32 v134, v2, v36
	s_mov_b32 s31, 0
	s_delay_alu instid0(VALU_DEP_1) | instskip(SKIP_2) | instid1(VALU_DEP_2)
	v_ashrrev_i32_e32 v135, 31, v134
	s_waitcnt lgkmcnt(1)
	v_add_co_u32 v2, vcc_lo, v66, v134
	v_add_co_ci_u32_e32 v3, vcc_lo, v67, v135, vcc_lo
	s_waitcnt lgkmcnt(0)
	v_add_co_u32 v5, vcc_lo, v130, v134
	v_add_co_ci_u32_e32 v36, vcc_lo, v131, v135, vcc_lo
	v_add_co_u32 v66, vcc_lo, v132, v134
	v_add_co_ci_u32_e32 v67, vcc_lo, v133, v135, vcc_lo
	s_set_inst_prefetch_distance 0x1
.LBB4_206:                              ;   Parent Loop BB4_93 Depth=1
                                        ;     Parent Loop BB4_96 Depth=2
                                        ; =>    This Loop Header: Depth=3
                                        ;         Child Loop BB4_207 Depth 4
	flat_load_u8 v130, v[2:3] slc dlc
	s_mov_b64 s[16:17], 0
	s_mov_b32 s34, -1
.LBB4_207:                              ;   Parent Loop BB4_93 Depth=1
                                        ;     Parent Loop BB4_96 Depth=2
                                        ;       Parent Loop BB4_206 Depth=3
                                        ; =>      This Inner Loop Header: Depth=4
	s_cmp_eq_u32 s16, 1
	s_cselect_b32 vcc_lo, -1, 0
	s_cmp_eq_u32 s16, 0
	v_dual_cndmask_b32 v132, v36, v67 :: v_dual_cndmask_b32 v131, v5, v66
	s_mov_b64 s[16:17], 1
	s_delay_alu instid0(VALU_DEP_1) | instskip(NEXT) | instid1(VALU_DEP_1)
	v_add_co_u32 v133, s13, v131, 32
	v_add_co_ci_u32_e64 v134, s13, 0, v132, s13
	s_cselect_b32 s13, -1, 0
	s_and_b32 s14, exec_lo, s34
	s_delay_alu instid0(VALU_DEP_1)
	v_dual_cndmask_b32 v66, v66, v133 :: v_dual_cndmask_b32 v67, v67, v134
	v_cndmask_b32_e64 v36, v36, v134, s13
	v_cndmask_b32_e64 v5, v5, v133, s13
	s_mov_b32 s34, 0
	s_mov_b32 vcc_lo, s14
	s_waitcnt vmcnt(0) lgkmcnt(0)
	flat_store_b8 v[131:132], v130 glc slc dlc
	s_cbranch_vccnz .LBB4_207
; %bb.208:                              ;   in Loop: Header=BB4_206 Depth=3
	v_add_co_u32 v5, vcc_lo, v5, v102
	v_sub_nc_u32_e32 v4, v4, v84
	v_add_co_ci_u32_e32 v36, vcc_lo, v36, v113, vcc_lo
	v_add_co_u32 v66, vcc_lo, v66, v102
	v_add_co_ci_u32_e32 v67, vcc_lo, v67, v113, vcc_lo
	s_delay_alu instid0(VALU_DEP_4) | instskip(SKIP_1) | instid1(VALU_DEP_1)
	v_cmp_gt_i32_e32 vcc_lo, 1, v4
	v_add_co_u32 v2, s13, v114, v2
	v_add_co_ci_u32_e64 v3, s13, v115, v3, s13
	s_or_b32 s31, vcc_lo, s31
	s_delay_alu instid0(SALU_CYCLE_1)
	s_and_not1_b32 exec_lo, exec_lo, s31
	s_cbranch_execnz .LBB4_206
.LBB4_209:                              ;   in Loop: Header=BB4_96 Depth=2
	s_set_inst_prefetch_distance 0x2
	s_or_b32 exec_lo, exec_lo, s30
.LBB4_210:                              ;   in Loop: Header=BB4_96 Depth=2
	s_delay_alu instid0(SALU_CYCLE_1)
	s_or_b32 exec_lo, exec_lo, s15
	s_mov_b32 s13, 0
	s_branch .LBB4_212
.LBB4_211:                              ;   in Loop: Header=BB4_96 Depth=2
	s_mov_b32 s13, -1
.LBB4_212:                              ;   in Loop: Header=BB4_96 Depth=2
	s_delay_alu instid0(SALU_CYCLE_1)
	s_and_b32 vcc_lo, exec_lo, s13
	s_cbranch_vccz .LBB4_246
; %bb.213:                              ;   in Loop: Header=BB4_96 Depth=2
	s_mov_b32 s13, -1
	s_and_saveexec_b32 s14, s4
	s_cbranch_execz .LBB4_215
; %bb.214:                              ;   in Loop: Header=BB4_96 Depth=2
	ds_load_b32 v2, v0 offset:720
	s_waitcnt lgkmcnt(0)
	v_and_b32_e32 v2, 15, v2
	s_delay_alu instid0(VALU_DEP_1)
	v_cmp_eq_u32_e32 vcc_lo, 0, v2
	s_or_not1_b32 s13, vcc_lo, exec_lo
.LBB4_215:                              ;   in Loop: Header=BB4_96 Depth=2
	s_or_b32 exec_lo, exec_lo, s14
	s_and_saveexec_b32 s14, s4
	s_cbranch_execz .LBB4_217
; %bb.216:                              ;   in Loop: Header=BB4_96 Depth=2
	ds_load_b32 v2, v0 offset:784
	s_waitcnt lgkmcnt(0)
	v_and_b32_e32 v2, 15, v2
	s_delay_alu instid0(VALU_DEP_1) | instskip(SKIP_3) | instid1(SALU_CYCLE_1)
	v_cmp_eq_u32_e32 vcc_lo, 0, v2
	s_and_b32 s15, s13, vcc_lo
	s_and_not1_b32 s13, s13, exec_lo
	s_and_b32 s15, s15, exec_lo
	s_or_b32 s13, s13, s15
.LBB4_217:                              ;   in Loop: Header=BB4_96 Depth=2
	s_or_b32 exec_lo, exec_lo, s14
	s_xor_b32 s13, s13, -1
	v_dual_mov_b32 v36, 0 :: v_dual_mov_b32 v67, v0
	v_cndmask_b32_e64 v2, 0, 1, s13
	;;#ASMSTART
	;;#ASMEND
	s_delay_alu instid0(VALU_DEP_1)
	v_cmp_ne_u32_e32 vcc_lo, 0, v2
	v_mov_b32_e32 v66, v55
	v_mov_b32_e32 v132, v96
	s_mov_b32 s13, -1
	s_cbranch_vccnz .LBB4_233
; %bb.218:                              ;   in Loop: Header=BB4_96 Depth=2
	v_ashrrev_i32_e32 v2, 31, v55
	s_mov_b32 s14, exec_lo
	s_delay_alu instid0(VALU_DEP_1) | instskip(NEXT) | instid1(VALU_DEP_1)
	v_lshrrev_b32_e32 v2, 22, v2
	v_add_nc_u32_e32 v2, v55, v2
	s_delay_alu instid0(VALU_DEP_1) | instskip(NEXT) | instid1(VALU_DEP_1)
	v_ashrrev_i32_e32 v36, 10, v2
	v_sub_nc_u32_e32 v130, v36, v96
	s_delay_alu instid0(VALU_DEP_1)
	v_cmpx_lt_i32_e32 0, v130
	s_cbranch_execz .LBB4_223
; %bb.219:                              ;   in Loop: Header=BB4_96 Depth=2
	s_cbranch_execnz .LBB4_1496
; %bb.220:                              ;   in Loop: Header=BB4_96 Depth=2
	ds_load_b64 v[2:3], v0
	v_dual_mov_b32 v4, v48 :: v_dual_mov_b32 v5, v49
	s_mov_b32 s15, 0
.LBB4_221:                              ;   Parent Loop BB4_93 Depth=1
                                        ;     Parent Loop BB4_96 Depth=2
                                        ; =>    This Inner Loop Header: Depth=3
	s_waitcnt lgkmcnt(0)
	s_delay_alu instid0(VALU_DEP_1) | instskip(NEXT) | instid1(VALU_DEP_2)
	v_add_co_u32 v66, vcc_lo, v2, v4
	v_add_co_ci_u32_e32 v67, vcc_lo, v3, v5, vcc_lo
	v_sub_nc_u32_e32 v130, v130, v82
	v_add_co_u32 v4, s13, v4, v116
	s_clause 0x1
	global_load_b128 v[131:134], v[66:67], off slc dlc
	global_load_b128 v[144:147], v[66:67], off offset:512 slc dlc
	v_add_co_ci_u32_e64 v5, s13, v5, v117, s13
	v_cmp_gt_i32_e32 vcc_lo, 1, v130
	s_waitcnt vmcnt(1)
	global_store_b128 v[66:67], v[131:134], off glc slc dlc
	s_waitcnt vmcnt(0)
	global_store_b128 v[66:67], v[144:147], off offset:512 glc slc dlc
	s_or_b32 s15, vcc_lo, s15
	s_delay_alu instid0(SALU_CYCLE_1)
	s_and_not1_b32 exec_lo, exec_lo, s15
	s_cbranch_execnz .LBB4_221
; %bb.222:                              ;   in Loop: Header=BB4_96 Depth=2
	s_or_b32 exec_lo, exec_lo, s15
.LBB4_223:                              ;   in Loop: Header=BB4_96 Depth=2
	s_delay_alu instid0(SALU_CYCLE_1) | instskip(SKIP_4) | instid1(VALU_DEP_2)
	s_or_b32 exec_lo, exec_lo, s14
	v_lshlrev_b32_e32 v4, 10, v36
	v_mov_b32_e32 v36, 0
	s_mov_b32 s13, 0
	s_mov_b32 s15, exec_lo
                                        ; implicit-def: $vgpr66
                                        ; implicit-def: $vgpr67
                                        ; implicit-def: $vgpr132
	v_cmpx_ne_u32_e64 v55, v4
	s_cbranch_execz .LBB4_232
; %bb.224:                              ;   in Loop: Header=BB4_96 Depth=2
	v_lshlrev_b32_e32 v2, 5, v130
	v_sub_nc_u32_e32 v36, v55, v4
	s_mov_b32 s16, exec_lo
	s_delay_alu instid0(VALU_DEP_2) | instskip(NEXT) | instid1(VALU_DEP_2)
	v_sub_nc_u32_e32 v2, v97, v2
	v_ashrrev_i32_e32 v5, 31, v36
	s_delay_alu instid0(VALU_DEP_2) | instskip(NEXT) | instid1(VALU_DEP_2)
	v_ashrrev_i32_e32 v3, 31, v2
	v_lshrrev_b32_e32 v5, 23, v5
	s_delay_alu instid0(VALU_DEP_2) | instskip(NEXT) | instid1(VALU_DEP_2)
	v_lshrrev_b32_e32 v3, 27, v3
	v_add_nc_u32_e32 v67, v36, v5
	s_delay_alu instid0(VALU_DEP_2) | instskip(NEXT) | instid1(VALU_DEP_2)
	v_add_nc_u32_e32 v3, v2, v3
	v_and_b32_e32 v5, 0xfffffe00, v67
	v_ashrrev_i32_e32 v67, 9, v67
	s_delay_alu instid0(VALU_DEP_3) | instskip(NEXT) | instid1(VALU_DEP_3)
	v_and_b32_e32 v66, 0xffffffe0, v3
	v_sub_nc_u32_e32 v131, v36, v5
	s_delay_alu instid0(VALU_DEP_2) | instskip(SKIP_1) | instid1(VALU_DEP_3)
	v_sub_nc_u32_e32 v130, v2, v66
	v_ashrrev_i32_e32 v2, 5, v3
	v_cmp_lt_i32_e32 vcc_lo, 15, v131
	s_delay_alu instid0(VALU_DEP_3) | instskip(NEXT) | instid1(VALU_DEP_1)
	v_lshlrev_b32_e32 v3, 4, v130
	v_lshl_add_u32 v66, v2, 9, v3
	v_add_co_ci_u32_e64 v3, s13, 0, v67, vcc_lo
	s_delay_alu instid0(VALU_DEP_2) | instskip(NEXT) | instid1(VALU_DEP_2)
	v_sub_nc_u32_e32 v36, v36, v66
	v_sub_nc_u32_e32 v133, v3, v2
	s_delay_alu instid0(VALU_DEP_2)
	v_cmpx_lt_i32_e32 15, v36
	s_cbranch_execz .LBB4_229
; %bb.225:                              ;   in Loop: Header=BB4_96 Depth=2
	s_cbranch_execnz .LBB4_1546
; %bb.226:                              ;   in Loop: Header=BB4_96 Depth=2
	ds_load_b64 v[2:3], v0
	v_add_nc_u32_e32 v66, v66, v4
	s_mov_b32 s17, 0
	s_delay_alu instid0(VALU_DEP_1)
	v_ashrrev_i32_e32 v67, 31, v66
.LBB4_227:                              ;   Parent Loop BB4_93 Depth=1
                                        ;     Parent Loop BB4_96 Depth=2
                                        ; =>    This Inner Loop Header: Depth=3
	s_waitcnt lgkmcnt(0)
	v_add_co_u32 v134, s13, v2, v66
	s_delay_alu instid0(VALU_DEP_1)
	v_add_co_ci_u32_e64 v135, s13, v3, v67, s13
	v_sub_nc_u32_e32 v36, v36, v85
	v_add_co_u32 v66, s14, v66, v100
	global_load_b128 v[144:147], v[134:135], off slc dlc
	v_sub_nc_u32_e32 v133, v133, v82
	v_cmp_gt_i32_e64 s13, 16, v36
	v_add_co_ci_u32_e64 v67, s14, v67, v101, s14
	s_delay_alu instid0(VALU_DEP_2)
	s_or_b32 s17, s13, s17
	s_waitcnt vmcnt(0)
	global_store_b128 v[134:135], v[144:147], off glc slc dlc
	s_and_not1_b32 exec_lo, exec_lo, s17
	s_cbranch_execnz .LBB4_227
; %bb.228:                              ;   in Loop: Header=BB4_96 Depth=2
	s_or_b32 exec_lo, exec_lo, s17
.LBB4_229:                              ;   in Loop: Header=BB4_96 Depth=2
	s_delay_alu instid0(SALU_CYCLE_1) | instskip(SKIP_4) | instid1(VALU_DEP_2)
	s_or_b32 exec_lo, exec_lo, s16
	v_and_b32_e32 v2, 15, v55
	v_mov_b32_e32 v36, 0
	s_mov_b32 s14, 0
	s_mov_b32 s16, exec_lo
                                        ; implicit-def: $vgpr67
                                        ; implicit-def: $vgpr132
	v_cndmask_b32_e32 v66, v131, v2, vcc_lo
	s_delay_alu instid0(VALU_DEP_1)
	v_cmpx_ne_u32_e32 0, v66
; %bb.230:                              ;   in Loop: Header=BB4_96 Depth=2
	v_cmp_lt_i32_e64 s13, 0, v133
	v_sub_nc_u32_e32 v2, v131, v2
	s_mov_b32 s14, exec_lo
	s_delay_alu instid0(VALU_DEP_2) | instskip(NEXT) | instid1(VALU_DEP_1)
	v_cndmask_b32_e64 v3, 0, v82, s13
	v_sub_nc_u32_e32 v3, v3, v133
	s_delay_alu instid0(VALU_DEP_1) | instskip(NEXT) | instid1(VALU_DEP_1)
	v_lshl_add_u32 v67, v3, 5, v130
	v_ashrrev_i32_e32 v3, 31, v67
	s_delay_alu instid0(VALU_DEP_1) | instskip(NEXT) | instid1(VALU_DEP_1)
	v_lshrrev_b32_e32 v3, 27, v3
	v_dual_cndmask_b32 v2, 0, v2 :: v_dual_add_nc_u32 v3, v67, v3
	s_delay_alu instid0(VALU_DEP_1) | instskip(NEXT) | instid1(VALU_DEP_2)
	v_add3_u32 v36, v5, v4, v2
	v_ashrrev_i32_e32 v132, 5, v3
; %bb.231:                              ;   in Loop: Header=BB4_96 Depth=2
	s_or_b32 exec_lo, exec_lo, s16
	s_delay_alu instid0(SALU_CYCLE_1)
	s_and_b32 s13, s14, exec_lo
.LBB4_232:                              ;   in Loop: Header=BB4_96 Depth=2
	s_or_b32 exec_lo, exec_lo, s15
.LBB4_233:                              ;   in Loop: Header=BB4_96 Depth=2
	s_and_saveexec_b32 s14, s13
	s_cbranch_execz .LBB4_245
; %bb.234:                              ;   in Loop: Header=BB4_96 Depth=2
	v_ashrrev_i32_e32 v2, 31, v66
	s_mov_b32 s13, exec_lo
	s_delay_alu instid0(VALU_DEP_1) | instskip(NEXT) | instid1(VALU_DEP_1)
	v_lshrrev_b32_e32 v2, 24, v2
	v_add_nc_u32_e32 v2, v66, v2
	s_delay_alu instid0(VALU_DEP_1) | instskip(NEXT) | instid1(VALU_DEP_1)
	v_ashrrev_i32_e32 v131, 8, v2
	v_sub_nc_u32_e32 v130, v131, v132
	s_delay_alu instid0(VALU_DEP_1)
	v_cmpx_lt_i32_e32 0, v130
	s_cbranch_execz .LBB4_239
; %bb.235:                              ;   in Loop: Header=BB4_96 Depth=2
	s_cbranch_execnz .LBB4_1484
; %bb.236:                              ;   in Loop: Header=BB4_96 Depth=2
	v_ashrrev_i32_e32 v2, 31, v67
	s_mov_b32 s15, 0
	s_delay_alu instid0(VALU_DEP_1) | instskip(NEXT) | instid1(VALU_DEP_1)
	v_lshrrev_b32_e32 v2, 27, v2
	v_add_nc_u32_e32 v4, v67, v2
	ds_load_b64 v[2:3], v0
	v_lshlrev_b32_e32 v5, 8, v132
	v_and_b32_e32 v4, 0xffffffe0, v4
	s_delay_alu instid0(VALU_DEP_1) | instskip(NEXT) | instid1(VALU_DEP_1)
	v_sub_nc_u32_e32 v4, v67, v4
	v_add3_u32 v132, v36, v4, v5
	s_delay_alu instid0(VALU_DEP_1)
	v_ashrrev_i32_e32 v133, 31, v132
	s_waitcnt lgkmcnt(0)
	v_dual_mov_b32 v5, v3 :: v_dual_mov_b32 v4, v2
.LBB4_237:                              ;   Parent Loop BB4_93 Depth=1
                                        ;     Parent Loop BB4_96 Depth=2
                                        ; =>    This Inner Loop Header: Depth=3
	s_delay_alu instid0(VALU_DEP_1) | instskip(NEXT) | instid1(VALU_DEP_2)
	v_add_co_u32 v134, vcc_lo, v132, v4
	v_add_co_ci_u32_e32 v135, vcc_lo, v133, v5, vcc_lo
	v_sub_nc_u32_e32 v130, v130, v82
	s_clause 0x7
	flat_load_u8 v144, v[134:135] slc dlc
	flat_load_u8 v145, v[134:135] offset:32 slc dlc
	flat_load_u8 v146, v[134:135] offset:64 slc dlc
	;; [unrolled: 1-line block ×7, first 2 shown]
	v_add_co_u32 v134, vcc_lo, v132, v2
	v_add_co_ci_u32_e32 v135, vcc_lo, v133, v3, vcc_lo
	v_add_co_u32 v4, vcc_lo, v4, v103
	v_add_co_ci_u32_e32 v5, vcc_lo, v5, v112, vcc_lo
	;; [unrolled: 2-line block ×3, first 2 shown]
	v_cmp_gt_i32_e32 vcc_lo, 1, v130
	s_waitcnt vmcnt(7) lgkmcnt(7)
	flat_store_b8 v[134:135], v144 glc slc dlc
	s_waitcnt vmcnt(6) lgkmcnt(7)
	flat_store_b8 v[134:135], v145 offset:32 glc slc dlc
	s_waitcnt vmcnt(5) lgkmcnt(7)
	flat_store_b8 v[134:135], v146 offset:64 glc slc dlc
	;; [unrolled: 2-line block ×7, first 2 shown]
	s_or_b32 s15, vcc_lo, s15
	s_delay_alu instid0(SALU_CYCLE_1)
	s_and_not1_b32 exec_lo, exec_lo, s15
	s_cbranch_execnz .LBB4_237
; %bb.238:                              ;   in Loop: Header=BB4_96 Depth=2
	s_or_b32 exec_lo, exec_lo, s15
.LBB4_239:                              ;   in Loop: Header=BB4_96 Depth=2
	s_delay_alu instid0(SALU_CYCLE_1) | instskip(SKIP_2) | instid1(VALU_DEP_1)
	s_or_b32 exec_lo, exec_lo, s13
	v_lshlrev_b32_e32 v2, 8, v131
	s_mov_b32 s15, exec_lo
	v_cmpx_ne_u32_e64 v66, v2
	s_cbranch_execz .LBB4_244
; %bb.240:                              ;   in Loop: Header=BB4_96 Depth=2
	v_ashrrev_i32_e32 v3, 31, v67
	v_lshlrev_b32_e32 v4, 5, v130
	s_delay_alu instid0(VALU_DEP_2) | instskip(NEXT) | instid1(VALU_DEP_1)
	v_lshrrev_b32_e32 v3, 27, v3
	v_add_nc_u32_e32 v3, v67, v3
	s_delay_alu instid0(VALU_DEP_1) | instskip(NEXT) | instid1(VALU_DEP_1)
	v_and_b32_e32 v3, 0xffffffe0, v3
	v_sub_nc_u32_e32 v3, v67, v3
	s_delay_alu instid0(VALU_DEP_1) | instskip(NEXT) | instid1(VALU_DEP_1)
	v_sub_nc_u32_e32 v3, v3, v4
	v_add_nc_u32_e32 v5, v2, v3
	s_delay_alu instid0(VALU_DEP_1) | instskip(NEXT) | instid1(VALU_DEP_1)
	v_sub_nc_u32_e32 v4, v66, v5
	v_cmp_lt_i32_e32 vcc_lo, 0, v4
	s_and_b32 exec_lo, exec_lo, vcc_lo
	s_cbranch_execz .LBB4_244
; %bb.241:                              ;   in Loop: Header=BB4_96 Depth=2
	s_cbranch_execnz .LBB4_1538
; %bb.242:                              ;   in Loop: Header=BB4_96 Depth=2
	ds_load_b64 v[2:3], v0
	v_add_nc_u32_e32 v5, v5, v36
	s_mov_b32 s16, 0
	s_delay_alu instid0(VALU_DEP_1)
	v_ashrrev_i32_e32 v36, 31, v5
.LBB4_243:                              ;   Parent Loop BB4_93 Depth=1
                                        ;     Parent Loop BB4_96 Depth=2
                                        ; =>    This Inner Loop Header: Depth=3
	s_waitcnt lgkmcnt(0)
	v_add_co_u32 v66, vcc_lo, v2, v5
	s_delay_alu instid0(VALU_DEP_2)
	v_add_co_ci_u32_e32 v67, vcc_lo, v3, v36, vcc_lo
	v_sub_nc_u32_e32 v4, v4, v84
	v_add_co_u32 v5, s13, v5, v114
	flat_load_u8 v130, v[66:67] slc dlc
	v_add_co_ci_u32_e64 v36, s13, v36, v115, s13
	v_cmp_gt_i32_e32 vcc_lo, 1, v4
	s_or_b32 s16, vcc_lo, s16
	s_waitcnt vmcnt(0) lgkmcnt(0)
	flat_store_b8 v[66:67], v130 glc slc dlc
	s_and_not1_b32 exec_lo, exec_lo, s16
	s_cbranch_execnz .LBB4_243
.LBB4_244:                              ;   in Loop: Header=BB4_96 Depth=2
	s_or_b32 exec_lo, exec_lo, s15
.LBB4_245:                              ;   in Loop: Header=BB4_96 Depth=2
	s_delay_alu instid0(SALU_CYCLE_1)
	s_or_b32 exec_lo, exec_lo, s14
.LBB4_246:                              ;   in Loop: Header=BB4_96 Depth=2
	s_and_saveexec_b32 s13, s2
	s_cbranch_execz .LBB4_268
; %bb.247:                              ;   in Loop: Header=BB4_96 Depth=2
	s_and_saveexec_b32 s14, s3
	s_delay_alu instid0(SALU_CYCLE_1)
	s_xor_b32 s14, exec_lo, s14
	s_cbranch_execz .LBB4_265
; %bb.248:                              ;   in Loop: Header=BB4_96 Depth=2
	s_and_saveexec_b32 s15, s1
	s_cbranch_execz .LBB4_264
; %bb.249:                              ;   in Loop: Header=BB4_96 Depth=2
	s_mov_b32 s17, exec_lo
	s_mov_b32 s16, exec_lo
	v_mbcnt_lo_u32_b32 v2, s17, 0
	s_waitcnt lgkmcnt(0)
	s_waitcnt_vscnt null, 0x0
	buffer_gl1_inv
	buffer_gl0_inv
	v_cmpx_eq_u32_e32 0, v2
	s_cbranch_execz .LBB4_251
; %bb.250:                              ;   in Loop: Header=BB4_96 Depth=2
	s_bcnt1_i32_b32 s17, s17
	s_delay_alu instid0(SALU_CYCLE_1)
	v_mov_b32_e32 v36, s17
	ds_add_u64 v0, v[36:37]
	s_cbranch_execnz .LBB4_1431
.LBB4_251:                              ;   in Loop: Header=BB4_96 Depth=2
	s_or_b32 exec_lo, exec_lo, s16
	s_cbranch_execnz .LBB4_1395
; %bb.252:                              ;   in Loop: Header=BB4_96 Depth=2
	ds_load_b64 v[2:3], v0
	v_add_co_u32 v32, vcc_lo, v32, v82
	v_add_co_ci_u32_e32 v33, vcc_lo, 0, v33, vcc_lo
	s_mov_b32 s16, exec_lo
	s_waitcnt lgkmcnt(0)
	s_delay_alu instid0(VALU_DEP_1)
	v_cmpx_lt_u64_e64 v[2:3], v[32:33]
	s_cbranch_execz .LBB4_263
; %bb.253:                              ;   in Loop: Header=BB4_96 Depth=2
	s_mov_b32 s17, 0
	s_mov_b32 s34, 0
                                        ; implicit-def: $sgpr30
                                        ; implicit-def: $sgpr31
	s_branch .LBB4_255
.LBB4_254:                              ;   in Loop: Header=BB4_255 Depth=3
	s_or_b32 exec_lo, exec_lo, s36
	s_delay_alu instid0(SALU_CYCLE_1) | instskip(NEXT) | instid1(SALU_CYCLE_1)
	s_and_b32 vcc_lo, exec_lo, vcc_lo
	s_or_b32 s17, vcc_lo, s17
	s_and_not1_b32 vcc_lo, s30, exec_lo
	s_and_b32 s30, s31, exec_lo
	s_delay_alu instid0(SALU_CYCLE_1)
	s_or_b32 s30, vcc_lo, s30
	s_and_not1_b32 exec_lo, exec_lo, s17
	s_cbranch_execz .LBB4_261
.LBB4_255:                              ;   Parent Loop BB4_93 Depth=1
                                        ;     Parent Loop BB4_96 Depth=2
                                        ; =>    This Inner Loop Header: Depth=3
	s_add_i32 s34, s34, 1
                                        ; implicit-def: $sgpr36
	s_delay_alu instid0(SALU_CYCLE_1) | instskip(SKIP_1) | instid1(SALU_CYCLE_1)
	s_cmpk_lg_i32 s34, 0x2710
	s_cselect_b32 s35, -1, 0
	s_and_b32 vcc_lo, exec_lo, s35
	s_cbranch_vccz .LBB4_259
.LBB4_256:                              ;   in Loop: Header=BB4_255 Depth=3
	s_and_not1_b32 s31, s31, exec_lo
	s_and_b32 s36, s36, exec_lo
	s_mov_b32 vcc_lo, -1
	s_or_b32 s31, s31, s36
	s_and_saveexec_b32 s36, s35
	s_cbranch_execz .LBB4_254
; %bb.257:                              ;   in Loop: Header=BB4_255 Depth=3
	s_sleep 1
	s_cbranch_execnz .LBB4_1502
; %bb.258:                              ;   in Loop: Header=BB4_255 Depth=3
	ds_load_b64 v[2:3], v0
	s_and_not1_b32 s31, s31, exec_lo
	s_waitcnt lgkmcnt(0)
	v_cmp_ge_u64_e32 vcc_lo, v[2:3], v[32:33]
	s_or_not1_b32 vcc_lo, vcc_lo, exec_lo
	s_branch .LBB4_254
.LBB4_259:                              ;   in Loop: Header=BB4_255 Depth=3
	s_cbranch_execnz .LBB4_1516
; %bb.260:                              ;   in Loop: Header=BB4_255 Depth=3
	ds_load_b64 v[2:3], v0
	s_and_not1_b32 s35, s35, exec_lo
	s_mov_b32 s34, 0
	s_mov_b32 s36, -1
	s_waitcnt lgkmcnt(0)
	flat_load_b32 v2, v[2:3] glc
	s_waitcnt vmcnt(0) lgkmcnt(0)
	buffer_gl1_inv
	buffer_gl0_inv
	v_cmp_eq_u32_e32 vcc_lo, 0, v2
	s_and_b32 vcc_lo, vcc_lo, exec_lo
	s_delay_alu instid0(SALU_CYCLE_1)
	s_or_b32 s35, s35, vcc_lo
	s_branch .LBB4_256
.LBB4_261:                              ;   in Loop: Header=BB4_96 Depth=2
	s_or_b32 exec_lo, exec_lo, s17
	s_and_saveexec_b32 s17, s30
	s_delay_alu instid0(SALU_CYCLE_1)
	s_xor_b32 s17, exec_lo, s17
	s_cbranch_execz .LBB4_263
; %bb.262:                              ;   in Loop: Header=BB4_96 Depth=2
	ds_store_b32 v0, v118
	s_cbranch_execnz .LBB4_1600
.LBB4_263:                              ;   in Loop: Header=BB4_96 Depth=2
	s_or_b32 exec_lo, exec_lo, s16
	;;#ASMSTART
	s_wakeup
	;;#ASMEND
.LBB4_264:                              ;   in Loop: Header=BB4_96 Depth=2
	s_or_b32 exec_lo, exec_lo, s15
.LBB4_265:                              ;   in Loop: Header=BB4_96 Depth=2
	s_and_not1_saveexec_b32 s14, s14
	s_cbranch_execz .LBB4_267
; %bb.266:                              ;   in Loop: Header=BB4_96 Depth=2
	s_waitcnt lgkmcnt(0)
	s_waitcnt_vscnt null, 0x0
	buffer_gl1_inv
	buffer_gl0_inv
	s_barrier
.LBB4_267:                              ;   in Loop: Header=BB4_96 Depth=2
	s_or_b32 exec_lo, exec_lo, s14
.LBB4_268:                              ;   in Loop: Header=BB4_96 Depth=2
	s_delay_alu instid0(SALU_CYCLE_1) | instskip(SKIP_1) | instid1(SALU_CYCLE_1)
	s_or_b32 exec_lo, exec_lo, s13
                                        ; implicit-def: $vgpr2
	s_and_saveexec_b32 s13, s6
	s_xor_b32 s14, exec_lo, s13
	s_cbranch_execz .LBB4_272
; %bb.269:                              ;   in Loop: Header=BB4_96 Depth=2
	v_and_b32_e32 v2, 16, v30
	v_cmp_lt_i32_e32 vcc_lo, 0, v55
	s_delay_alu instid0(VALU_DEP_2) | instskip(SKIP_1) | instid1(VALU_DEP_2)
	v_cmp_ne_u32_e64 s13, 0, v2
	v_and_b32_e32 v2, 16, v30
	s_and_b32 s15, s13, vcc_lo
	s_delay_alu instid0(SALU_CYCLE_1)
	s_and_saveexec_b32 s13, s15
	s_cbranch_execz .LBB4_271
; %bb.270:                              ;   in Loop: Header=BB4_96 Depth=2
	v_mov_b32_e32 v2, 1
	s_waitcnt lgkmcnt(0)
	s_waitcnt_vscnt null, 0x0
	buffer_gl1_inv
	buffer_gl0_inv
.LBB4_271:                              ;   in Loop: Header=BB4_96 Depth=2
	s_or_b32 exec_lo, exec_lo, s13
.LBB4_272:                              ;   in Loop: Header=BB4_96 Depth=2
	s_and_not1_saveexec_b32 s13, s14
	s_cbranch_execz .LBB4_294
; %bb.273:                              ;   in Loop: Header=BB4_96 Depth=2
	s_and_saveexec_b32 s14, s3
	s_delay_alu instid0(SALU_CYCLE_1)
	s_xor_b32 s14, exec_lo, s14
	s_cbranch_execz .LBB4_291
; %bb.274:                              ;   in Loop: Header=BB4_96 Depth=2
	s_and_saveexec_b32 s15, s1
	s_cbranch_execz .LBB4_290
; %bb.275:                              ;   in Loop: Header=BB4_96 Depth=2
	s_mov_b32 s17, exec_lo
	s_mov_b32 s16, exec_lo
	v_mbcnt_lo_u32_b32 v2, s17, 0
	;;#ASMSTART
	s_waitcnt lgkmcnt(0) vmcnt(0)
	;;#ASMEND
	s_delay_alu instid0(VALU_DEP_1)
	v_cmpx_eq_u32_e32 0, v2
	s_cbranch_execz .LBB4_277
; %bb.276:                              ;   in Loop: Header=BB4_96 Depth=2
	s_bcnt1_i32_b32 s17, s17
	s_delay_alu instid0(SALU_CYCLE_1)
	v_mov_b32_e32 v36, s17
	ds_add_u64 v0, v[36:37]
	s_cbranch_execnz .LBB4_1441
.LBB4_277:                              ;   in Loop: Header=BB4_96 Depth=2
	s_or_b32 exec_lo, exec_lo, s16
	s_cbranch_execnz .LBB4_1403
; %bb.278:                              ;   in Loop: Header=BB4_96 Depth=2
	ds_load_b64 v[2:3], v0
	v_add_co_u32 v32, vcc_lo, v32, v82
	v_add_co_ci_u32_e32 v33, vcc_lo, 0, v33, vcc_lo
	s_mov_b32 s16, exec_lo
	s_waitcnt lgkmcnt(0)
	s_delay_alu instid0(VALU_DEP_1)
	v_cmpx_lt_u64_e64 v[2:3], v[32:33]
	s_cbranch_execz .LBB4_289
; %bb.279:                              ;   in Loop: Header=BB4_96 Depth=2
	s_mov_b32 s17, 0
	s_mov_b32 s34, 0
                                        ; implicit-def: $sgpr30
                                        ; implicit-def: $sgpr31
	s_branch .LBB4_281
.LBB4_280:                              ;   in Loop: Header=BB4_281 Depth=3
	s_or_b32 exec_lo, exec_lo, s36
	s_delay_alu instid0(SALU_CYCLE_1) | instskip(NEXT) | instid1(SALU_CYCLE_1)
	s_and_b32 vcc_lo, exec_lo, vcc_lo
	s_or_b32 s17, vcc_lo, s17
	s_and_not1_b32 vcc_lo, s30, exec_lo
	s_and_b32 s30, s31, exec_lo
	s_delay_alu instid0(SALU_CYCLE_1)
	s_or_b32 s30, vcc_lo, s30
	s_and_not1_b32 exec_lo, exec_lo, s17
	s_cbranch_execz .LBB4_287
.LBB4_281:                              ;   Parent Loop BB4_93 Depth=1
                                        ;     Parent Loop BB4_96 Depth=2
                                        ; =>    This Inner Loop Header: Depth=3
	s_add_i32 s34, s34, 1
                                        ; implicit-def: $sgpr36
	s_delay_alu instid0(SALU_CYCLE_1) | instskip(SKIP_1) | instid1(SALU_CYCLE_1)
	s_cmpk_lg_i32 s34, 0x2710
	s_cselect_b32 s35, -1, 0
	s_and_b32 vcc_lo, exec_lo, s35
	s_cbranch_vccz .LBB4_285
.LBB4_282:                              ;   in Loop: Header=BB4_281 Depth=3
	s_and_not1_b32 s31, s31, exec_lo
	s_and_b32 s36, s36, exec_lo
	s_mov_b32 vcc_lo, -1
	s_or_b32 s31, s31, s36
	s_and_saveexec_b32 s36, s35
	s_cbranch_execz .LBB4_280
; %bb.283:                              ;   in Loop: Header=BB4_281 Depth=3
	s_sleep 1
	s_cbranch_execnz .LBB4_1508
; %bb.284:                              ;   in Loop: Header=BB4_281 Depth=3
	ds_load_b64 v[2:3], v0
	s_and_not1_b32 s31, s31, exec_lo
	s_waitcnt lgkmcnt(0)
	v_cmp_ge_u64_e32 vcc_lo, v[2:3], v[32:33]
	s_or_not1_b32 vcc_lo, vcc_lo, exec_lo
	s_branch .LBB4_280
.LBB4_285:                              ;   in Loop: Header=BB4_281 Depth=3
	s_cbranch_execnz .LBB4_1524
; %bb.286:                              ;   in Loop: Header=BB4_281 Depth=3
	ds_load_b64 v[2:3], v0
	s_and_not1_b32 s35, s35, exec_lo
	s_mov_b32 s34, 0
	s_mov_b32 s36, -1
	s_waitcnt lgkmcnt(0)
	s_waitcnt_vscnt null, 0x0
	flat_load_b32 v2, v[2:3] glc
	s_waitcnt vmcnt(0) lgkmcnt(0)
	buffer_gl1_inv
	buffer_gl0_inv
	v_cmp_eq_u32_e32 vcc_lo, 0, v2
	s_and_b32 vcc_lo, vcc_lo, exec_lo
	s_delay_alu instid0(SALU_CYCLE_1)
	s_or_b32 s35, s35, vcc_lo
	s_branch .LBB4_282
.LBB4_287:                              ;   in Loop: Header=BB4_96 Depth=2
	s_or_b32 exec_lo, exec_lo, s17
	s_and_saveexec_b32 s17, s30
	s_delay_alu instid0(SALU_CYCLE_1)
	s_xor_b32 s17, exec_lo, s17
	s_cbranch_execz .LBB4_289
; %bb.288:                              ;   in Loop: Header=BB4_96 Depth=2
	ds_store_b32 v0, v118
	s_cbranch_execnz .LBB4_1602
.LBB4_289:                              ;   in Loop: Header=BB4_96 Depth=2
	s_or_b32 exec_lo, exec_lo, s16
	;;#ASMSTART
	s_wakeup
	;;#ASMEND
.LBB4_290:                              ;   in Loop: Header=BB4_96 Depth=2
	s_or_b32 exec_lo, exec_lo, s15
.LBB4_291:                              ;   in Loop: Header=BB4_96 Depth=2
	s_and_not1_saveexec_b32 s14, s14
	s_cbranch_execz .LBB4_293
; %bb.292:                              ;   in Loop: Header=BB4_96 Depth=2
	;;#ASMSTART
	s_waitcnt lgkmcnt(0) vmcnt(0)
	;;#ASMEND
	s_waitcnt lgkmcnt(0)
	s_waitcnt_vscnt null, 0x0
	s_barrier
.LBB4_293:                              ;   in Loop: Header=BB4_96 Depth=2
	s_or_b32 exec_lo, exec_lo, s14
	v_and_b32_e32 v2, 16, v30
.LBB4_294:                              ;   in Loop: Header=BB4_96 Depth=2
	s_or_b32 exec_lo, exec_lo, s13
	s_delay_alu instid0(SALU_CYCLE_1) | instskip(NEXT) | instid1(VALU_DEP_1)
	s_mov_b32 s13, exec_lo
	v_cmpx_ne_u32_e32 0, v2
	s_cbranch_execz .LBB4_298
; %bb.295:                              ;   in Loop: Header=BB4_96 Depth=2
	s_and_saveexec_b32 s14, s10
	s_cbranch_execz .LBB4_297
; %bb.296:                              ;   in Loop: Header=BB4_96 Depth=2
	s_waitcnt lgkmcnt(0)
	s_waitcnt_vscnt null, 0x0
	flat_store_b32 v[28:29], v118
.LBB4_297:                              ;   in Loop: Header=BB4_96 Depth=2
	s_or_b32 exec_lo, exec_lo, s14
	v_add_co_u32 v14, vcc_lo, v14, 2
	v_add_co_ci_u32_e32 v15, vcc_lo, 0, v15, vcc_lo
	s_waitcnt lgkmcnt(0)
	s_waitcnt_vscnt null, 0x0
	flat_store_b64 v[24:25], v[14:15]
.LBB4_298:                              ;   in Loop: Header=BB4_96 Depth=2
	s_or_b32 exec_lo, exec_lo, s13
	v_add_nc_u32_e32 v129, v54, v129
	v_readlane_b32 s13, v42, 1
	s_mov_b32 s15, 2
	s_delay_alu instid0(VALU_DEP_2) | instskip(NEXT) | instid1(VALU_DEP_2)
	v_cmp_ge_i32_e32 vcc_lo, v129, v119
	s_xor_b32 s13, s13, -1
	s_delay_alu instid0(SALU_CYCLE_1) | instskip(NEXT) | instid1(SALU_CYCLE_1)
	s_or_b32 s13, s13, vcc_lo
	s_and_b32 s14, exec_lo, s13
	v_readlane_b32 s13, v42, 0
	s_or_b32 vcc_hi, s14, vcc_hi
	s_mov_b32 s14, 0
	s_delay_alu instid0(VALU_DEP_1)
	v_mov_b32_e32 v2, s13
	s_and_not1_b32 exec_lo, exec_lo, vcc_hi
	s_cbranch_execnz .LBB4_96
; %bb.299:                              ;   in Loop: Header=BB4_93 Depth=1
	s_or_b32 exec_lo, exec_lo, vcc_hi
.LBB4_300:                              ;   in Loop: Header=BB4_93 Depth=1
	s_delay_alu instid0(SALU_CYCLE_1) | instskip(NEXT) | instid1(SALU_CYCLE_1)
	s_or_b32 exec_lo, exec_lo, s29
	s_mov_b32 s14, exec_lo
	v_cmpx_gt_i32_e32 2, v2
	s_cbranch_execz .LBB4_381
; %bb.301:                              ;   in Loop: Header=BB4_93 Depth=1
	v_cmp_eq_u32_e64 s13, 0, v2
	s_mov_b32 s15, 0
.LBB4_302:                              ;   Parent Loop BB4_93 Depth=1
                                        ; =>  This Loop Header: Depth=2
                                        ;       Child Loop BB4_308 Depth 3
                                        ;       Child Loop BB4_335 Depth 3
	;; [unrolled: 1-line block ×3, first 2 shown]
	v_and_b32_e32 v2, 8, v30
	s_mov_b32 s17, -1
	s_mov_b32 s16, exec_lo
	s_delay_alu instid0(VALU_DEP_1)
	v_cmpx_ne_u32_e32 0, v2
	s_cbranch_execz .LBB4_316
; %bb.303:                              ;   in Loop: Header=BB4_302 Depth=2
	v_add_co_u32 v4, vcc_lo, v34, 8
	v_add_co_ci_u32_e32 v5, vcc_lo, 0, v35, vcc_lo
	v_add_co_u32 v2, vcc_lo, v14, 2
	v_add_co_ci_u32_e32 v3, vcc_lo, 0, v15, vcc_lo
	s_delay_alu instid0(VALU_DEP_1)
	v_cmp_lt_u64_e32 vcc_lo, v[4:5], v[2:3]
	v_mov_b32_e32 v4, 1
	s_and_saveexec_b32 s17, vcc_lo
	s_cbranch_execz .LBB4_315
; %bb.304:                              ;   in Loop: Header=BB4_302 Depth=2
	v_mov_b32_e32 v4, 0
	s_mov_b32 s29, 0
                                        ; implicit-def: $vcc_hi
	s_branch .LBB4_308
.LBB4_305:                              ;   in Loop: Header=BB4_308 Depth=3
	s_or_b32 exec_lo, exec_lo, s35
	v_mov_b32_e32 v5, 0
	s_or_not1_b32 s34, s34, exec_lo
.LBB4_306:                              ;   in Loop: Header=BB4_308 Depth=3
	s_or_b32 exec_lo, exec_lo, s31
	s_delay_alu instid0(VALU_DEP_1) | instskip(SKIP_2) | instid1(SALU_CYCLE_1)
	v_mov_b32_e32 v4, v5
	s_and_not1_b32 vcc_lo, vcc_hi, exec_lo
	s_and_b32 vcc_hi, s34, exec_lo
	s_or_b32 vcc_hi, vcc_lo, vcc_hi
.LBB4_307:                              ;   in Loop: Header=BB4_308 Depth=3
	s_or_b32 exec_lo, exec_lo, s30
	s_waitcnt vmcnt(0) lgkmcnt(0)
	v_add_co_u32 v64, vcc_lo, v34, 8
	v_add_co_ci_u32_e32 v65, vcc_lo, 0, v35, vcc_lo
	s_delay_alu instid0(VALU_DEP_1) | instskip(SKIP_1) | instid1(SALU_CYCLE_1)
	v_cmp_ge_u64_e32 vcc_lo, v[64:65], v[2:3]
	s_xor_b32 s30, vcc_hi, -1
	s_or_b32 vcc_lo, s30, vcc_lo
	s_delay_alu instid0(SALU_CYCLE_1) | instskip(NEXT) | instid1(SALU_CYCLE_1)
	s_and_b32 vcc_lo, exec_lo, vcc_lo
	s_or_b32 s29, vcc_lo, s29
	s_delay_alu instid0(SALU_CYCLE_1)
	s_and_not1_b32 exec_lo, exec_lo, s29
	s_cbranch_execz .LBB4_314
.LBB4_308:                              ;   Parent Loop BB4_93 Depth=1
                                        ;     Parent Loop BB4_302 Depth=2
                                        ; =>    This Inner Loop Header: Depth=3
	s_sleep 1
	flat_load_b64 v[34:35], v[24:25] glc
	v_and_b32_e32 v5, 64, v30
	s_and_not1_b32 vcc_hi, vcc_hi, exec_lo
	s_mov_b32 s30, exec_lo
	s_delay_alu instid0(VALU_DEP_1)
	v_cmpx_eq_u32_e32 0, v5
	s_cbranch_execz .LBB4_307
; %bb.309:                              ;   in Loop: Header=BB4_308 Depth=3
	v_add_nc_u32_e32 v5, 1, v4
	s_mov_b32 s34, -1
	s_mov_b32 s31, exec_lo
	v_cmpx_lt_i32_e32 0x270e, v4
	s_cbranch_execz .LBB4_306
; %bb.310:                              ;   in Loop: Header=BB4_308 Depth=3
	s_cbranch_execnz .LBB4_1238
; %bb.311:                              ;   in Loop: Header=BB4_308 Depth=3
	ds_load_b64 v[4:5], v0
	s_mov_b32 s35, exec_lo
	s_waitcnt vmcnt(0) lgkmcnt(0)
	s_waitcnt_vscnt null, 0x0
	flat_load_b32 v4, v[4:5] glc
	s_waitcnt vmcnt(0) lgkmcnt(0)
	buffer_gl1_inv
	buffer_gl0_inv
	v_cmpx_ne_u32_e32 0, v4
	s_cbranch_execz .LBB4_305
; %bb.312:                              ;   in Loop: Header=BB4_308 Depth=3
	ds_store_b32 v0, v4
	s_cbranch_execnz .LBB4_1291
; %bb.313:                              ;   in Loop: Header=BB4_308 Depth=3
	v_or_b32_e32 v30, 64, v30
	s_xor_b32 s34, exec_lo, -1
	s_branch .LBB4_305
.LBB4_314:                              ;   in Loop: Header=BB4_302 Depth=2
	s_or_b32 exec_lo, exec_lo, s29
	v_and_b32_e32 v4, 8, v30
.LBB4_315:                              ;   in Loop: Header=BB4_302 Depth=2
	s_or_b32 exec_lo, exec_lo, s17
	s_delay_alu instid0(VALU_DEP_1)
	v_cmp_eq_u32_e32 vcc_lo, 0, v4
	;;#ASMSTART
	s_wakeup
	;;#ASMEND
	s_or_not1_b32 s17, vcc_lo, exec_lo
.LBB4_316:                              ;   in Loop: Header=BB4_302 Depth=2
	s_or_b32 exec_lo, exec_lo, s16
	v_sub_nc_u32_e32 v2, v119, v129
	s_xor_b32 s13, s13, -1
	s_delay_alu instid0(SALU_CYCLE_1) | instskip(NEXT) | instid1(SALU_CYCLE_1)
	s_and_b32 s13, exec_lo, s13
	s_or_b32 s15, s13, s15
	s_delay_alu instid0(VALU_DEP_1) | instskip(SKIP_1) | instid1(SALU_CYCLE_1)
	v_min_i32_e32 v54, v54, v2
	s_xor_b32 s13, s17, -1
	s_and_saveexec_b32 s16, s13
	s_cbranch_execz .LBB4_326
; %bb.317:                              ;   in Loop: Header=BB4_302 Depth=2
	v_and_b32_e32 v2, 0x100, v30
	v_and_b32_e32 v36, 7, v14
	s_mov_b32 s13, -1
	s_delay_alu instid0(VALU_DEP_2)
	v_cmp_ne_u32_e32 vcc_lo, 0, v2
                                        ; implicit-def: $vgpr2_vgpr3
	s_and_saveexec_b32 s17, vcc_lo
	s_cbranch_execz .LBB4_321
; %bb.318:                              ;   in Loop: Header=BB4_302 Depth=2
	v_mad_u64_u32 v[4:5], null, v36, 24, v[12:13]
	v_ashrrev_i32_e32 v55, 31, v54
	flat_load_b32 v2, v[4:5]
	flat_store_b64 v[4:5], v[54:55] offset:8
	s_waitcnt vmcnt(0) lgkmcnt(1)
	v_cmp_ne_u32_e32 vcc_lo, 1, v2
	v_cmp_eq_u32_e64 s13, 1, v2
                                        ; implicit-def: $vgpr2_vgpr3
	s_delay_alu instid0(VALU_DEP_1)
	s_and_saveexec_b32 s29, s13
	s_cbranch_execz .LBB4_320
; %bb.319:                              ;   in Loop: Header=BB4_302 Depth=2
	flat_load_b32 v2, v[4:5] offset:4 glc
	s_waitcnt vmcnt(0) lgkmcnt(0)
	v_ashrrev_i32_e32 v3, 31, v2
.LBB4_320:                              ;   in Loop: Header=BB4_302 Depth=2
	s_or_b32 exec_lo, exec_lo, s29
	s_delay_alu instid0(SALU_CYCLE_1)
	s_or_not1_b32 s13, vcc_lo, exec_lo
.LBB4_321:                              ;   in Loop: Header=BB4_302 Depth=2
	s_or_b32 exec_lo, exec_lo, s17
	s_and_saveexec_b32 s17, s13
; %bb.322:                              ;   in Loop: Header=BB4_302 Depth=2
	v_mad_i64_i32 v[2:3], null, v36, v70, 0
; %bb.323:                              ;   in Loop: Header=BB4_302 Depth=2
	s_or_b32 exec_lo, exec_lo, s17
	s_delay_alu instid0(VALU_DEP_1) | instskip(SKIP_1) | instid1(VALU_DEP_3)
	v_add_co_u32 v2, vcc_lo, v26, v2
	v_and_b32_e32 v4, 0x2000, v30
	v_add_co_ci_u32_e32 v3, vcc_lo, v27, v3, vcc_lo
	s_mov_b32 s13, exec_lo
	ds_store_b64 v0, v[2:3] offset:792
	v_cmpx_ne_u32_e32 0, v4
	s_cbranch_execz .LBB4_325
; %bb.324:                              ;   in Loop: Header=BB4_302 Depth=2
	ds_load_b64 v[2:3], v0 offset:584
	s_waitcnt lgkmcnt(0)
	v_add_co_u32 v2, vcc_lo, v2, 1
	v_add_co_ci_u32_e32 v3, vcc_lo, 0, v3, vcc_lo
	ds_store_b64 v0, v[2:3] offset:584
.LBB4_325:                              ;   in Loop: Header=BB4_302 Depth=2
	s_or_b32 exec_lo, exec_lo, s13
	v_add_co_u32 v14, vcc_lo, v14, 2
	v_add_co_ci_u32_e32 v15, vcc_lo, 0, v15, vcc_lo
.LBB4_326:                              ;   in Loop: Header=BB4_302 Depth=2
	s_or_b32 exec_lo, exec_lo, s16
	s_and_saveexec_b32 s13, s2
	s_cbranch_execz .LBB4_348
; %bb.327:                              ;   in Loop: Header=BB4_302 Depth=2
	s_and_saveexec_b32 s16, s3
	s_delay_alu instid0(SALU_CYCLE_1)
	s_xor_b32 s16, exec_lo, s16
	s_cbranch_execz .LBB4_345
; %bb.328:                              ;   in Loop: Header=BB4_302 Depth=2
	s_and_saveexec_b32 s17, s1
	s_cbranch_execz .LBB4_344
; %bb.329:                              ;   in Loop: Header=BB4_302 Depth=2
	s_mov_b32 vcc_hi, exec_lo
	s_mov_b32 s29, exec_lo
	v_mbcnt_lo_u32_b32 v2, vcc_hi, 0
	s_waitcnt lgkmcnt(0)
	s_waitcnt_vscnt null, 0x0
	buffer_gl1_inv
	buffer_gl0_inv
	v_cmpx_eq_u32_e32 0, v2
	s_cbranch_execz .LBB4_331
; %bb.330:                              ;   in Loop: Header=BB4_302 Depth=2
	s_bcnt1_i32_b32 vcc_lo, vcc_hi
	s_delay_alu instid0(SALU_CYCLE_1)
	v_mov_b32_e32 v36, vcc_lo
	ds_add_u64 v0, v[36:37]
	s_cbranch_execnz .LBB4_1305
.LBB4_331:                              ;   in Loop: Header=BB4_302 Depth=2
	s_or_b32 exec_lo, exec_lo, s29
	s_cbranch_execnz .LBB4_1293
; %bb.332:                              ;   in Loop: Header=BB4_302 Depth=2
	ds_load_b64 v[2:3], v0
	v_add_co_u32 v32, vcc_lo, v32, v82
	v_add_co_ci_u32_e32 v33, vcc_lo, 0, v33, vcc_lo
	s_mov_b32 s29, exec_lo
	s_waitcnt lgkmcnt(0)
	s_delay_alu instid0(VALU_DEP_1)
	v_cmpx_lt_u64_e64 v[2:3], v[32:33]
	s_cbranch_execz .LBB4_343
; %bb.333:                              ;   in Loop: Header=BB4_302 Depth=2
	s_mov_b32 vcc_hi, 0
	s_mov_b32 s34, 0
                                        ; implicit-def: $sgpr30
                                        ; implicit-def: $sgpr31
	s_branch .LBB4_335
.LBB4_334:                              ;   in Loop: Header=BB4_335 Depth=3
	s_or_b32 exec_lo, exec_lo, s36
	s_delay_alu instid0(SALU_CYCLE_1) | instskip(NEXT) | instid1(SALU_CYCLE_1)
	s_and_b32 vcc_lo, exec_lo, vcc_lo
	s_or_b32 vcc_hi, vcc_lo, vcc_hi
	s_and_not1_b32 vcc_lo, s30, exec_lo
	s_and_b32 s30, s31, exec_lo
	s_delay_alu instid0(SALU_CYCLE_1)
	s_or_b32 s30, vcc_lo, s30
	s_and_not1_b32 exec_lo, exec_lo, vcc_hi
	s_cbranch_execz .LBB4_341
.LBB4_335:                              ;   Parent Loop BB4_93 Depth=1
                                        ;     Parent Loop BB4_302 Depth=2
                                        ; =>    This Inner Loop Header: Depth=3
	s_add_i32 s34, s34, 1
                                        ; implicit-def: $sgpr36
	s_delay_alu instid0(SALU_CYCLE_1) | instskip(SKIP_1) | instid1(SALU_CYCLE_1)
	s_cmpk_lg_i32 s34, 0x2710
	s_cselect_b32 s35, -1, 0
	s_and_b32 vcc_lo, exec_lo, s35
	s_cbranch_vccz .LBB4_339
.LBB4_336:                              ;   in Loop: Header=BB4_335 Depth=3
	s_and_not1_b32 s31, s31, exec_lo
	s_and_b32 s36, s36, exec_lo
	s_mov_b32 vcc_lo, -1
	s_or_b32 s31, s31, s36
	s_and_saveexec_b32 s36, s35
	s_cbranch_execz .LBB4_334
; %bb.337:                              ;   in Loop: Header=BB4_335 Depth=3
	s_sleep 1
	s_cbranch_execnz .LBB4_1355
; %bb.338:                              ;   in Loop: Header=BB4_335 Depth=3
	ds_load_b64 v[2:3], v0
	s_and_not1_b32 s31, s31, exec_lo
	s_waitcnt lgkmcnt(0)
	v_cmp_ge_u64_e32 vcc_lo, v[2:3], v[32:33]
	s_or_not1_b32 vcc_lo, vcc_lo, exec_lo
	s_branch .LBB4_334
.LBB4_339:                              ;   in Loop: Header=BB4_335 Depth=3
	s_cbranch_execnz .LBB4_1369
; %bb.340:                              ;   in Loop: Header=BB4_335 Depth=3
	ds_load_b64 v[2:3], v0
	s_and_not1_b32 s35, s35, exec_lo
	s_mov_b32 s34, 0
	s_mov_b32 s36, -1
	s_waitcnt lgkmcnt(0)
	flat_load_b32 v2, v[2:3] glc
	s_waitcnt vmcnt(0) lgkmcnt(0)
	buffer_gl1_inv
	buffer_gl0_inv
	v_cmp_eq_u32_e32 vcc_lo, 0, v2
	s_and_b32 vcc_lo, vcc_lo, exec_lo
	s_delay_alu instid0(SALU_CYCLE_1)
	s_or_b32 s35, s35, vcc_lo
	s_branch .LBB4_336
.LBB4_341:                              ;   in Loop: Header=BB4_302 Depth=2
	s_or_b32 exec_lo, exec_lo, vcc_hi
	s_and_saveexec_b32 vcc_lo, s30
	s_delay_alu instid0(SALU_CYCLE_1)
	s_xor_b32 vcc_lo, exec_lo, vcc_lo
	s_cbranch_execz .LBB4_343
; %bb.342:                              ;   in Loop: Header=BB4_302 Depth=2
	ds_store_b32 v0, v118
	s_cbranch_execnz .LBB4_1564
.LBB4_343:                              ;   in Loop: Header=BB4_302 Depth=2
	s_or_b32 exec_lo, exec_lo, s29
	;;#ASMSTART
	s_wakeup
	;;#ASMEND
.LBB4_344:                              ;   in Loop: Header=BB4_302 Depth=2
	s_or_b32 exec_lo, exec_lo, s17
.LBB4_345:                              ;   in Loop: Header=BB4_302 Depth=2
	s_and_not1_saveexec_b32 s16, s16
	s_cbranch_execz .LBB4_347
; %bb.346:                              ;   in Loop: Header=BB4_302 Depth=2
	s_waitcnt lgkmcnt(0)
	s_waitcnt_vscnt null, 0x0
	buffer_gl1_inv
	buffer_gl0_inv
	s_barrier
.LBB4_347:                              ;   in Loop: Header=BB4_302 Depth=2
	s_or_b32 exec_lo, exec_lo, s16
.LBB4_348:                              ;   in Loop: Header=BB4_302 Depth=2
	s_delay_alu instid0(SALU_CYCLE_1) | instskip(SKIP_1) | instid1(SALU_CYCLE_1)
	s_or_b32 exec_lo, exec_lo, s13
                                        ; implicit-def: $vgpr2
	s_and_saveexec_b32 s13, s6
	s_xor_b32 s16, exec_lo, s13
	s_cbranch_execz .LBB4_353
; %bb.349:                              ;   in Loop: Header=BB4_302 Depth=2
	s_cbranch_execnz .LBB4_1236
; %bb.350:                              ;   in Loop: Header=BB4_302 Depth=2
	ds_load_b32 v2, v0
	v_cmp_lt_i32_e32 vcc_lo, 0, v54
	s_waitcnt lgkmcnt(0)
	v_readfirstlane_b32 s13, v2
	v_and_b32_e32 v2, 16, v30
	s_delay_alu instid0(VALU_DEP_2) | instskip(NEXT) | instid1(VALU_DEP_1)
	s_cmp_eq_u32 s13, 0
	v_cmp_ne_u32_e64 s13, 0, v2
	s_cselect_b32 s17, -1, 0
	v_and_b32_e32 v2, 16, v30
	s_and_b32 s17, vcc_lo, s17
	s_delay_alu instid0(VALU_DEP_2) | instid1(SALU_CYCLE_1)
	s_and_b32 s17, s13, s17
	s_delay_alu instid0(SALU_CYCLE_1)
	s_and_saveexec_b32 s13, s17
	s_cbranch_execz .LBB4_352
; %bb.351:                              ;   in Loop: Header=BB4_302 Depth=2
	v_mov_b32_e32 v2, 1
	s_waitcnt_vscnt null, 0x0
	buffer_gl1_inv
	buffer_gl0_inv
.LBB4_352:                              ;   in Loop: Header=BB4_302 Depth=2
	s_or_b32 exec_lo, exec_lo, s13
.LBB4_353:                              ;   in Loop: Header=BB4_302 Depth=2
	s_and_not1_saveexec_b32 s13, s16
	s_cbranch_execz .LBB4_375
; %bb.354:                              ;   in Loop: Header=BB4_302 Depth=2
	s_and_saveexec_b32 s16, s3
	s_delay_alu instid0(SALU_CYCLE_1)
	s_xor_b32 s16, exec_lo, s16
	s_cbranch_execz .LBB4_372
; %bb.355:                              ;   in Loop: Header=BB4_302 Depth=2
	s_and_saveexec_b32 s17, s1
	s_cbranch_execz .LBB4_371
; %bb.356:                              ;   in Loop: Header=BB4_302 Depth=2
	s_mov_b32 vcc_hi, exec_lo
	s_mov_b32 s29, exec_lo
	v_mbcnt_lo_u32_b32 v2, vcc_hi, 0
	;;#ASMSTART
	s_waitcnt lgkmcnt(0) vmcnt(0)
	;;#ASMEND
	s_delay_alu instid0(VALU_DEP_1)
	v_cmpx_eq_u32_e32 0, v2
	s_cbranch_execz .LBB4_358
; %bb.357:                              ;   in Loop: Header=BB4_302 Depth=2
	s_bcnt1_i32_b32 vcc_lo, vcc_hi
	s_delay_alu instid0(SALU_CYCLE_1)
	v_mov_b32_e32 v36, vcc_lo
	ds_add_u64 v0, v[36:37]
	s_cbranch_execnz .LBB4_1325
.LBB4_358:                              ;   in Loop: Header=BB4_302 Depth=2
	s_or_b32 exec_lo, exec_lo, s29
	s_cbranch_execnz .LBB4_1303
; %bb.359:                              ;   in Loop: Header=BB4_302 Depth=2
	ds_load_b64 v[2:3], v0
	v_add_co_u32 v32, vcc_lo, v32, v82
	v_add_co_ci_u32_e32 v33, vcc_lo, 0, v33, vcc_lo
	s_mov_b32 s29, exec_lo
	s_waitcnt lgkmcnt(0)
	s_delay_alu instid0(VALU_DEP_1)
	v_cmpx_lt_u64_e64 v[2:3], v[32:33]
	s_cbranch_execz .LBB4_370
; %bb.360:                              ;   in Loop: Header=BB4_302 Depth=2
	s_mov_b32 vcc_hi, 0
	s_mov_b32 s34, 0
                                        ; implicit-def: $sgpr30
                                        ; implicit-def: $sgpr31
	s_branch .LBB4_362
.LBB4_361:                              ;   in Loop: Header=BB4_362 Depth=3
	s_or_b32 exec_lo, exec_lo, s36
	s_delay_alu instid0(SALU_CYCLE_1) | instskip(NEXT) | instid1(SALU_CYCLE_1)
	s_and_b32 vcc_lo, exec_lo, vcc_lo
	s_or_b32 vcc_hi, vcc_lo, vcc_hi
	s_and_not1_b32 vcc_lo, s30, exec_lo
	s_and_b32 s30, s31, exec_lo
	s_delay_alu instid0(SALU_CYCLE_1)
	s_or_b32 s30, vcc_lo, s30
	s_and_not1_b32 exec_lo, exec_lo, vcc_hi
	s_cbranch_execz .LBB4_368
.LBB4_362:                              ;   Parent Loop BB4_93 Depth=1
                                        ;     Parent Loop BB4_302 Depth=2
                                        ; =>    This Inner Loop Header: Depth=3
	s_add_i32 s34, s34, 1
                                        ; implicit-def: $sgpr36
	s_delay_alu instid0(SALU_CYCLE_1) | instskip(SKIP_1) | instid1(SALU_CYCLE_1)
	s_cmpk_lg_i32 s34, 0x2710
	s_cselect_b32 s35, -1, 0
	s_and_b32 vcc_lo, exec_lo, s35
	s_cbranch_vccz .LBB4_366
.LBB4_363:                              ;   in Loop: Header=BB4_362 Depth=3
	s_and_not1_b32 s31, s31, exec_lo
	s_and_b32 s36, s36, exec_lo
	s_mov_b32 vcc_lo, -1
	s_or_b32 s31, s31, s36
	s_and_saveexec_b32 s36, s35
	s_cbranch_execz .LBB4_361
; %bb.364:                              ;   in Loop: Header=BB4_362 Depth=3
	s_sleep 1
	s_cbranch_execnz .LBB4_1377
; %bb.365:                              ;   in Loop: Header=BB4_362 Depth=3
	ds_load_b64 v[2:3], v0
	s_and_not1_b32 s31, s31, exec_lo
	s_waitcnt lgkmcnt(0)
	v_cmp_ge_u64_e32 vcc_lo, v[2:3], v[32:33]
	s_or_not1_b32 vcc_lo, vcc_lo, exec_lo
	s_branch .LBB4_361
.LBB4_366:                              ;   in Loop: Header=BB4_362 Depth=3
	s_cbranch_execnz .LBB4_1389
; %bb.367:                              ;   in Loop: Header=BB4_362 Depth=3
	ds_load_b64 v[2:3], v0
	s_and_not1_b32 s35, s35, exec_lo
	s_mov_b32 s34, 0
	s_mov_b32 s36, -1
	s_waitcnt lgkmcnt(0)
	s_waitcnt_vscnt null, 0x0
	flat_load_b32 v2, v[2:3] glc
	s_waitcnt vmcnt(0) lgkmcnt(0)
	buffer_gl1_inv
	buffer_gl0_inv
	v_cmp_eq_u32_e32 vcc_lo, 0, v2
	s_and_b32 vcc_lo, vcc_lo, exec_lo
	s_delay_alu instid0(SALU_CYCLE_1)
	s_or_b32 s35, s35, vcc_lo
	s_branch .LBB4_363
.LBB4_368:                              ;   in Loop: Header=BB4_302 Depth=2
	s_or_b32 exec_lo, exec_lo, vcc_hi
	s_and_saveexec_b32 vcc_lo, s30
	s_delay_alu instid0(SALU_CYCLE_1)
	s_xor_b32 vcc_lo, exec_lo, vcc_lo
	s_cbranch_execz .LBB4_370
; %bb.369:                              ;   in Loop: Header=BB4_302 Depth=2
	ds_store_b32 v0, v118
	s_cbranch_execnz .LBB4_1572
.LBB4_370:                              ;   in Loop: Header=BB4_302 Depth=2
	s_or_b32 exec_lo, exec_lo, s29
	;;#ASMSTART
	s_wakeup
	;;#ASMEND
.LBB4_371:                              ;   in Loop: Header=BB4_302 Depth=2
	s_or_b32 exec_lo, exec_lo, s17
.LBB4_372:                              ;   in Loop: Header=BB4_302 Depth=2
	s_and_not1_saveexec_b32 s16, s16
	s_cbranch_execz .LBB4_374
; %bb.373:                              ;   in Loop: Header=BB4_302 Depth=2
	;;#ASMSTART
	s_waitcnt lgkmcnt(0) vmcnt(0)
	;;#ASMEND
	s_waitcnt lgkmcnt(0)
	s_waitcnt_vscnt null, 0x0
	s_barrier
.LBB4_374:                              ;   in Loop: Header=BB4_302 Depth=2
	s_or_b32 exec_lo, exec_lo, s16
	v_and_b32_e32 v2, 16, v30
.LBB4_375:                              ;   in Loop: Header=BB4_302 Depth=2
	s_or_b32 exec_lo, exec_lo, s13
	s_delay_alu instid0(SALU_CYCLE_1) | instskip(NEXT) | instid1(VALU_DEP_1)
	s_mov_b32 s13, exec_lo
	v_cmpx_ne_u32_e32 0, v2
	s_cbranch_execz .LBB4_379
; %bb.376:                              ;   in Loop: Header=BB4_302 Depth=2
	s_and_saveexec_b32 s16, s10
	s_cbranch_execz .LBB4_378
; %bb.377:                              ;   in Loop: Header=BB4_302 Depth=2
	s_waitcnt lgkmcnt(0)
	s_waitcnt_vscnt null, 0x0
	flat_store_b32 v[28:29], v118
.LBB4_378:                              ;   in Loop: Header=BB4_302 Depth=2
	s_or_b32 exec_lo, exec_lo, s16
	v_add_co_u32 v14, vcc_lo, v14, 2
	v_add_co_ci_u32_e32 v15, vcc_lo, 0, v15, vcc_lo
	s_waitcnt lgkmcnt(0)
	s_waitcnt_vscnt null, 0x0
	flat_store_b64 v[24:25], v[14:15]
.LBB4_379:                              ;   in Loop: Header=BB4_302 Depth=2
	s_or_b32 exec_lo, exec_lo, s13
	v_add_nc_u32_e32 v129, v54, v129
	s_mov_b32 s13, 0
	s_and_not1_b32 exec_lo, exec_lo, s15
	s_cbranch_execnz .LBB4_302
; %bb.380:                              ;   in Loop: Header=BB4_93 Depth=1
	s_or_b32 exec_lo, exec_lo, s15
.LBB4_381:                              ;   in Loop: Header=BB4_93 Depth=1
	s_delay_alu instid0(SALU_CYCLE_1)
	s_or_b32 exec_lo, exec_lo, s14
.LBB4_382:                              ;   in Loop: Header=BB4_93 Depth=1
	s_and_not1_saveexec_b32 s15, s28
	s_cbranch_execz .LBB4_628
; %bb.383:                              ;   in Loop: Header=BB4_93 Depth=1
	v_dual_mov_b32 v3, 0 :: v_dual_mov_b32 v2, v128
	v_mov_b32_e32 v5, 0
	s_mov_b32 s17, 0
	s_and_saveexec_b32 s16, s12
	s_cbranch_execz .LBB4_546
; %bb.384:                              ;   in Loop: Header=BB4_93 Depth=1
	v_dual_mov_b32 v5, 0 :: v_dual_mov_b32 v2, v128
	s_mov_b32 s29, 1
	s_mov_b32 s28, -1
.LBB4_385:                              ;   Parent Loop BB4_93 Depth=1
                                        ; =>  This Loop Header: Depth=2
                                        ;       Child Loop BB4_394 Depth 3
                                        ;       Child Loop BB4_421 Depth 3
	;; [unrolled: 1-line block ×9, first 2 shown]
	s_and_saveexec_b32 s13, s0
	s_cbranch_execz .LBB4_388
; %bb.386:                              ;   in Loop: Header=BB4_385 Depth=2
	s_cbranch_execnz .LBB4_1234
; %bb.387:                              ;   in Loop: Header=BB4_385 Depth=2
	ds_load_b64 v[3:4], v0
	v_ashrrev_i32_e32 v36, 31, v5
	s_waitcnt lgkmcnt(0)
	v_add_co_u32 v3, vcc_lo, v3, v52
	v_add_co_ci_u32_e32 v4, vcc_lo, v4, v53, vcc_lo
	s_delay_alu instid0(VALU_DEP_2) | instskip(NEXT) | instid1(VALU_DEP_2)
	v_add_co_u32 v3, vcc_lo, v3, v5
	v_add_co_ci_u32_e32 v4, vcc_lo, v4, v36, vcc_lo
	v_mov_b32_e32 v36, v37
	ds_store_b64 v0, v[3:4]
	ds_store_b64 v0, v[36:37]
.LBB4_388:                              ;   in Loop: Header=BB4_385 Depth=2
	s_or_b32 exec_lo, exec_lo, s13
	v_and_b32_e32 v3, 8, v30
	s_mov_b32 s14, -1
	s_mov_b32 s13, exec_lo
	s_delay_alu instid0(VALU_DEP_1)
	v_cmpx_ne_u32_e32 0, v3
	s_cbranch_execz .LBB4_402
; %bb.389:                              ;   in Loop: Header=BB4_385 Depth=2
	v_add_co_u32 v54, vcc_lo, v34, 8
	v_add_co_ci_u32_e32 v55, vcc_lo, 0, v35, vcc_lo
	v_add_co_u32 v3, vcc_lo, v14, 2
	v_add_co_ci_u32_e32 v4, vcc_lo, 0, v15, vcc_lo
	v_mov_b32_e32 v36, 1
	s_mov_b32 s14, exec_lo
	s_delay_alu instid0(VALU_DEP_2)
	v_cmpx_lt_u64_e64 v[54:55], v[3:4]
	s_cbranch_execz .LBB4_401
; %bb.390:                              ;   in Loop: Header=BB4_385 Depth=2
	v_mov_b32_e32 v36, 0
	s_mov_b32 vcc_hi, 0
                                        ; implicit-def: $sgpr30
	s_branch .LBB4_394
.LBB4_391:                              ;   in Loop: Header=BB4_394 Depth=3
	s_or_b32 exec_lo, exec_lo, s36
	v_mov_b32_e32 v54, 0
	s_or_not1_b32 s35, s35, exec_lo
.LBB4_392:                              ;   in Loop: Header=BB4_394 Depth=3
	s_or_b32 exec_lo, exec_lo, s34
	s_delay_alu instid0(VALU_DEP_1) | instskip(SKIP_2) | instid1(SALU_CYCLE_1)
	v_mov_b32_e32 v36, v54
	s_and_not1_b32 vcc_lo, s30, exec_lo
	s_and_b32 s30, s35, exec_lo
	s_or_b32 s30, vcc_lo, s30
.LBB4_393:                              ;   in Loop: Header=BB4_394 Depth=3
	s_or_b32 exec_lo, exec_lo, s31
	s_waitcnt vmcnt(0) lgkmcnt(0)
	v_add_co_u32 v54, vcc_lo, v34, 8
	v_add_co_ci_u32_e32 v55, vcc_lo, 0, v35, vcc_lo
	s_xor_b32 s31, s30, -1
	s_delay_alu instid0(VALU_DEP_1) | instskip(SKIP_1) | instid1(SALU_CYCLE_1)
	v_cmp_ge_u64_e32 vcc_lo, v[54:55], v[3:4]
	s_or_b32 vcc_lo, s31, vcc_lo
	s_and_b32 vcc_lo, exec_lo, vcc_lo
	s_delay_alu instid0(SALU_CYCLE_1) | instskip(NEXT) | instid1(SALU_CYCLE_1)
	s_or_b32 vcc_hi, vcc_lo, vcc_hi
	s_and_not1_b32 exec_lo, exec_lo, vcc_hi
	s_cbranch_execz .LBB4_400
.LBB4_394:                              ;   Parent Loop BB4_93 Depth=1
                                        ;     Parent Loop BB4_385 Depth=2
                                        ; =>    This Inner Loop Header: Depth=3
	s_sleep 1
	flat_load_b64 v[34:35], v[24:25] glc
	v_and_b32_e32 v54, 64, v30
	s_and_not1_b32 s30, s30, exec_lo
	s_mov_b32 s31, exec_lo
	s_delay_alu instid0(VALU_DEP_1)
	v_cmpx_eq_u32_e32 0, v54
	s_cbranch_execz .LBB4_393
; %bb.395:                              ;   in Loop: Header=BB4_394 Depth=3
	v_add_nc_u32_e32 v54, 1, v36
	s_mov_b32 s35, -1
	s_mov_b32 s34, exec_lo
	v_cmpx_lt_i32_e32 0x270e, v36
	s_cbranch_execz .LBB4_392
; %bb.396:                              ;   in Loop: Header=BB4_394 Depth=3
	s_cbranch_execnz .LBB4_1256
; %bb.397:                              ;   in Loop: Header=BB4_394 Depth=3
	ds_load_b64 v[54:55], v0
	s_mov_b32 s36, exec_lo
	s_waitcnt vmcnt(0) lgkmcnt(0)
	s_waitcnt_vscnt null, 0x0
	flat_load_b32 v36, v[54:55] glc
	s_waitcnt vmcnt(0) lgkmcnt(0)
	buffer_gl1_inv
	buffer_gl0_inv
	v_cmpx_ne_u32_e32 0, v36
	s_cbranch_execz .LBB4_391
; %bb.398:                              ;   in Loop: Header=BB4_394 Depth=3
	ds_store_b32 v0, v36
	s_cbranch_execnz .LBB4_1309
; %bb.399:                              ;   in Loop: Header=BB4_394 Depth=3
	v_or_b32_e32 v30, 64, v30
	s_xor_b32 s35, exec_lo, -1
	s_branch .LBB4_391
.LBB4_400:                              ;   in Loop: Header=BB4_385 Depth=2
	s_or_b32 exec_lo, exec_lo, vcc_hi
	v_and_b32_e32 v36, 8, v30
.LBB4_401:                              ;   in Loop: Header=BB4_385 Depth=2
	s_or_b32 exec_lo, exec_lo, s14
	s_delay_alu instid0(VALU_DEP_1)
	v_cmp_eq_u32_e32 vcc_lo, 0, v36
	;;#ASMSTART
	s_wakeup
	;;#ASMEND
	s_or_not1_b32 s14, vcc_lo, exec_lo
.LBB4_402:                              ;   in Loop: Header=BB4_385 Depth=2
	s_or_b32 exec_lo, exec_lo, s13
	v_sub_nc_u32_e32 v3, v119, v5
	s_xor_b32 s13, s14, -1
	s_delay_alu instid0(VALU_DEP_1)
	v_min_i32_e32 v2, v2, v3
	s_and_saveexec_b32 s14, s13
	s_cbranch_execz .LBB4_412
; %bb.403:                              ;   in Loop: Header=BB4_385 Depth=2
	v_and_b32_e32 v3, 0x100, v30
	v_and_b32_e32 v36, 7, v14
	s_mov_b32 s13, -1
	s_delay_alu instid0(VALU_DEP_2)
	v_cmp_ne_u32_e32 vcc_lo, 0, v3
                                        ; implicit-def: $vgpr3_vgpr4
	s_and_saveexec_b32 vcc_hi, vcc_lo
	s_cbranch_execz .LBB4_407
; %bb.404:                              ;   in Loop: Header=BB4_385 Depth=2
	v_mad_u64_u32 v[54:55], null, v36, 24, v[12:13]
	v_ashrrev_i32_e32 v3, 31, v2
	flat_load_b32 v4, v[54:55]
	flat_store_b64 v[54:55], v[2:3] offset:8
	s_waitcnt vmcnt(0) lgkmcnt(1)
	v_cmp_ne_u32_e32 vcc_lo, 1, v4
	v_cmp_eq_u32_e64 s13, 1, v4
                                        ; implicit-def: $vgpr3_vgpr4
	s_delay_alu instid0(VALU_DEP_1)
	s_and_saveexec_b32 s30, s13
	s_cbranch_execz .LBB4_406
; %bb.405:                              ;   in Loop: Header=BB4_385 Depth=2
	flat_load_b32 v3, v[54:55] offset:4 glc
	s_waitcnt vmcnt(0) lgkmcnt(0)
	v_ashrrev_i32_e32 v4, 31, v3
.LBB4_406:                              ;   in Loop: Header=BB4_385 Depth=2
	s_or_b32 exec_lo, exec_lo, s30
	s_delay_alu instid0(SALU_CYCLE_1)
	s_or_not1_b32 s13, vcc_lo, exec_lo
.LBB4_407:                              ;   in Loop: Header=BB4_385 Depth=2
	s_or_b32 exec_lo, exec_lo, vcc_hi
	s_and_saveexec_b32 vcc_lo, s13
; %bb.408:                              ;   in Loop: Header=BB4_385 Depth=2
	v_mad_i64_i32 v[3:4], null, v36, v70, 0
; %bb.409:                              ;   in Loop: Header=BB4_385 Depth=2
	s_or_b32 exec_lo, exec_lo, vcc_lo
	s_delay_alu instid0(VALU_DEP_1) | instskip(SKIP_1) | instid1(VALU_DEP_3)
	v_add_co_u32 v3, vcc_lo, v26, v3
	v_and_b32_e32 v36, 0x2000, v30
	v_add_co_ci_u32_e32 v4, vcc_lo, v27, v4, vcc_lo
	s_mov_b32 s13, exec_lo
	ds_store_b64 v0, v[3:4] offset:784
	v_cmpx_ne_u32_e32 0, v36
	s_cbranch_execz .LBB4_411
; %bb.410:                              ;   in Loop: Header=BB4_385 Depth=2
	ds_load_b64 v[3:4], v0 offset:584
	s_waitcnt lgkmcnt(0)
	v_add_co_u32 v3, vcc_lo, v3, 1
	v_add_co_ci_u32_e32 v4, vcc_lo, 0, v4, vcc_lo
	ds_store_b64 v0, v[3:4] offset:584
.LBB4_411:                              ;   in Loop: Header=BB4_385 Depth=2
	s_or_b32 exec_lo, exec_lo, s13
	v_add_co_u32 v14, vcc_lo, v14, 2
	v_add_co_ci_u32_e32 v15, vcc_lo, 0, v15, vcc_lo
.LBB4_412:                              ;   in Loop: Header=BB4_385 Depth=2
	s_or_b32 exec_lo, exec_lo, s14
	s_and_saveexec_b32 s13, s2
	s_cbranch_execz .LBB4_434
; %bb.413:                              ;   in Loop: Header=BB4_385 Depth=2
	s_and_saveexec_b32 s14, s3
	s_delay_alu instid0(SALU_CYCLE_1)
	s_xor_b32 s14, exec_lo, s14
	s_cbranch_execz .LBB4_431
; %bb.414:                              ;   in Loop: Header=BB4_385 Depth=2
	s_and_saveexec_b32 vcc_hi, s1
	s_cbranch_execz .LBB4_430
; %bb.415:                              ;   in Loop: Header=BB4_385 Depth=2
	s_mov_b32 s31, exec_lo
	s_mov_b32 s30, exec_lo
	v_mbcnt_lo_u32_b32 v3, s31, 0
	s_waitcnt lgkmcnt(0)
	s_waitcnt_vscnt null, 0x0
	buffer_gl1_inv
	buffer_gl0_inv
	v_cmpx_eq_u32_e32 0, v3
	s_cbranch_execz .LBB4_417
; %bb.416:                              ;   in Loop: Header=BB4_385 Depth=2
	s_bcnt1_i32_b32 vcc_lo, s31
	s_delay_alu instid0(SALU_CYCLE_1)
	v_mov_b32_e32 v36, vcc_lo
	ds_add_u64 v0, v[36:37]
	s_cbranch_execnz .LBB4_1337
.LBB4_417:                              ;   in Loop: Header=BB4_385 Depth=2
	s_or_b32 exec_lo, exec_lo, s30
	s_cbranch_execnz .LBB4_1315
; %bb.418:                              ;   in Loop: Header=BB4_385 Depth=2
	ds_load_b64 v[3:4], v0
	v_add_co_u32 v32, vcc_lo, v32, v82
	v_add_co_ci_u32_e32 v33, vcc_lo, 0, v33, vcc_lo
	s_mov_b32 s30, exec_lo
	s_waitcnt lgkmcnt(0)
	s_delay_alu instid0(VALU_DEP_1)
	v_cmpx_lt_u64_e64 v[3:4], v[32:33]
	s_cbranch_execz .LBB4_429
; %bb.419:                              ;   in Loop: Header=BB4_385 Depth=2
	s_mov_b32 s31, 0
	s_mov_b32 s36, 0
                                        ; implicit-def: $sgpr34
                                        ; implicit-def: $sgpr35
	s_branch .LBB4_421
.LBB4_420:                              ;   in Loop: Header=BB4_421 Depth=3
	s_or_b32 exec_lo, exec_lo, s38
	s_delay_alu instid0(SALU_CYCLE_1) | instskip(NEXT) | instid1(SALU_CYCLE_1)
	s_and_b32 vcc_lo, exec_lo, vcc_lo
	s_or_b32 s31, vcc_lo, s31
	s_and_not1_b32 vcc_lo, s34, exec_lo
	s_and_b32 s34, s35, exec_lo
	s_delay_alu instid0(SALU_CYCLE_1)
	s_or_b32 s34, vcc_lo, s34
	s_and_not1_b32 exec_lo, exec_lo, s31
	s_cbranch_execz .LBB4_427
.LBB4_421:                              ;   Parent Loop BB4_93 Depth=1
                                        ;     Parent Loop BB4_385 Depth=2
                                        ; =>    This Inner Loop Header: Depth=3
	s_add_i32 s36, s36, 1
                                        ; implicit-def: $sgpr38
	s_delay_alu instid0(SALU_CYCLE_1) | instskip(SKIP_1) | instid1(SALU_CYCLE_1)
	s_cmpk_lg_i32 s36, 0x2710
	s_cselect_b32 s37, -1, 0
	s_and_b32 vcc_lo, exec_lo, s37
	s_cbranch_vccz .LBB4_425
.LBB4_422:                              ;   in Loop: Header=BB4_421 Depth=3
	s_and_not1_b32 s35, s35, exec_lo
	s_and_b32 s38, s38, exec_lo
	s_mov_b32 vcc_lo, -1
	s_or_b32 s35, s35, s38
	s_and_saveexec_b32 s38, s37
	s_cbranch_execz .LBB4_420
; %bb.423:                              ;   in Loop: Header=BB4_421 Depth=3
	s_sleep 1
	s_cbranch_execnz .LBB4_1387
; %bb.424:                              ;   in Loop: Header=BB4_421 Depth=3
	ds_load_b64 v[3:4], v0
	s_and_not1_b32 s35, s35, exec_lo
	s_waitcnt lgkmcnt(0)
	v_cmp_ge_u64_e32 vcc_lo, v[3:4], v[32:33]
	s_or_not1_b32 vcc_lo, vcc_lo, exec_lo
	s_branch .LBB4_420
.LBB4_425:                              ;   in Loop: Header=BB4_421 Depth=3
	s_cbranch_execnz .LBB4_1397
; %bb.426:                              ;   in Loop: Header=BB4_421 Depth=3
	ds_load_b64 v[3:4], v0
	s_and_not1_b32 s37, s37, exec_lo
	s_mov_b32 s36, 0
	s_mov_b32 s38, -1
	s_waitcnt lgkmcnt(0)
	flat_load_b32 v3, v[3:4] glc
	s_waitcnt vmcnt(0) lgkmcnt(0)
	buffer_gl1_inv
	buffer_gl0_inv
	v_cmp_eq_u32_e32 vcc_lo, 0, v3
	s_and_b32 vcc_lo, vcc_lo, exec_lo
	s_delay_alu instid0(SALU_CYCLE_1)
	s_or_b32 s37, s37, vcc_lo
	s_branch .LBB4_422
.LBB4_427:                              ;   in Loop: Header=BB4_385 Depth=2
	s_or_b32 exec_lo, exec_lo, s31
	s_and_saveexec_b32 vcc_lo, s34
	s_delay_alu instid0(SALU_CYCLE_1)
	s_xor_b32 vcc_lo, exec_lo, vcc_lo
	s_cbranch_execz .LBB4_429
; %bb.428:                              ;   in Loop: Header=BB4_385 Depth=2
	ds_store_b32 v0, v118
	s_cbranch_execnz .LBB4_1576
.LBB4_429:                              ;   in Loop: Header=BB4_385 Depth=2
	s_or_b32 exec_lo, exec_lo, s30
	;;#ASMSTART
	s_wakeup
	;;#ASMEND
.LBB4_430:                              ;   in Loop: Header=BB4_385 Depth=2
	s_or_b32 exec_lo, exec_lo, vcc_hi
.LBB4_431:                              ;   in Loop: Header=BB4_385 Depth=2
	s_and_not1_saveexec_b32 s14, s14
	s_cbranch_execz .LBB4_433
; %bb.432:                              ;   in Loop: Header=BB4_385 Depth=2
	s_waitcnt lgkmcnt(0)
	s_waitcnt_vscnt null, 0x0
	buffer_gl1_inv
	buffer_gl0_inv
	s_barrier
.LBB4_433:                              ;   in Loop: Header=BB4_385 Depth=2
	s_or_b32 exec_lo, exec_lo, s14
.LBB4_434:                              ;   in Loop: Header=BB4_385 Depth=2
	s_delay_alu instid0(SALU_CYCLE_1)
	s_or_b32 exec_lo, exec_lo, s13
	s_cbranch_execnz .LBB4_1232
; %bb.435:                              ;   in Loop: Header=BB4_385 Depth=2
	ds_load_b32 v3, v0
	v_and_b32_e32 v4, 0x4000, v30
	s_delay_alu instid0(VALU_DEP_1) | instskip(SKIP_1) | instid1(SALU_CYCLE_1)
	v_cmp_ne_u32_e32 vcc_lo, 0, v4
	s_and_b32 s14, s27, vcc_lo
	s_and_saveexec_b32 s13, s14
	s_cbranch_execz .LBB4_457
; %bb.436:                              ;   in Loop: Header=BB4_385 Depth=2
	s_and_saveexec_b32 s14, s3
	s_delay_alu instid0(SALU_CYCLE_1)
	s_xor_b32 s14, exec_lo, s14
	s_cbranch_execz .LBB4_454
; %bb.437:                              ;   in Loop: Header=BB4_385 Depth=2
	s_and_saveexec_b32 vcc_hi, s1
	s_cbranch_execz .LBB4_453
; %bb.438:                              ;   in Loop: Header=BB4_385 Depth=2
	s_mov_b32 s31, exec_lo
	s_mov_b32 s30, exec_lo
	v_mbcnt_lo_u32_b32 v4, s31, 0
	s_waitcnt lgkmcnt(0)
	s_waitcnt_vscnt null, 0x0
	buffer_gl1_inv
	buffer_gl0_inv
	v_cmpx_eq_u32_e32 0, v4
	s_cbranch_execz .LBB4_440
; %bb.439:                              ;   in Loop: Header=BB4_385 Depth=2
	s_bcnt1_i32_b32 vcc_lo, s31
	s_delay_alu instid0(SALU_CYCLE_1)
	v_mov_b32_e32 v36, vcc_lo
	ds_add_u64 v0, v[36:37]
	s_cbranch_execnz .LBB4_1381
.LBB4_440:                              ;   in Loop: Header=BB4_385 Depth=2
	s_or_b32 exec_lo, exec_lo, s30
	s_cbranch_execnz .LBB4_1359
; %bb.441:                              ;   in Loop: Header=BB4_385 Depth=2
	ds_load_b64 v[54:55], v0
	v_add_co_u32 v32, vcc_lo, v32, v82
	v_add_co_ci_u32_e32 v33, vcc_lo, 0, v33, vcc_lo
	s_mov_b32 s30, exec_lo
	s_waitcnt lgkmcnt(0)
	s_delay_alu instid0(VALU_DEP_1)
	v_cmpx_lt_u64_e64 v[54:55], v[32:33]
	s_cbranch_execz .LBB4_452
; %bb.442:                              ;   in Loop: Header=BB4_385 Depth=2
	s_mov_b32 s31, 0
	s_mov_b32 s36, 0
                                        ; implicit-def: $sgpr34
                                        ; implicit-def: $sgpr35
	s_branch .LBB4_444
.LBB4_443:                              ;   in Loop: Header=BB4_444 Depth=3
	s_or_b32 exec_lo, exec_lo, s38
	s_delay_alu instid0(SALU_CYCLE_1) | instskip(NEXT) | instid1(SALU_CYCLE_1)
	s_and_b32 vcc_lo, exec_lo, vcc_lo
	s_or_b32 s31, vcc_lo, s31
	s_and_not1_b32 vcc_lo, s34, exec_lo
	s_and_b32 s34, s35, exec_lo
	s_delay_alu instid0(SALU_CYCLE_1)
	s_or_b32 s34, vcc_lo, s34
	s_and_not1_b32 exec_lo, exec_lo, s31
	s_cbranch_execz .LBB4_450
.LBB4_444:                              ;   Parent Loop BB4_93 Depth=1
                                        ;     Parent Loop BB4_385 Depth=2
                                        ; =>    This Inner Loop Header: Depth=3
	s_add_i32 s36, s36, 1
                                        ; implicit-def: $sgpr38
	s_delay_alu instid0(SALU_CYCLE_1) | instskip(SKIP_1) | instid1(SALU_CYCLE_1)
	s_cmpk_lg_i32 s36, 0x2710
	s_cselect_b32 s37, -1, 0
	s_and_b32 vcc_lo, exec_lo, s37
	s_cbranch_vccz .LBB4_448
.LBB4_445:                              ;   in Loop: Header=BB4_444 Depth=3
	s_and_not1_b32 s35, s35, exec_lo
	s_and_b32 s38, s38, exec_lo
	s_mov_b32 vcc_lo, -1
	s_or_b32 s35, s35, s38
	s_and_saveexec_b32 s38, s37
	s_cbranch_execz .LBB4_443
; %bb.446:                              ;   in Loop: Header=BB4_444 Depth=3
	s_sleep 1
	s_cbranch_execnz .LBB4_1447
; %bb.447:                              ;   in Loop: Header=BB4_444 Depth=3
	ds_load_b64 v[54:55], v0
	s_and_not1_b32 s35, s35, exec_lo
	s_waitcnt lgkmcnt(0)
	v_cmp_ge_u64_e32 vcc_lo, v[54:55], v[32:33]
	s_or_not1_b32 vcc_lo, vcc_lo, exec_lo
	s_branch .LBB4_443
.LBB4_448:                              ;   in Loop: Header=BB4_444 Depth=3
	s_cbranch_execnz .LBB4_1476
; %bb.449:                              ;   in Loop: Header=BB4_444 Depth=3
	ds_load_b64 v[54:55], v0
	s_and_not1_b32 s37, s37, exec_lo
	s_mov_b32 s36, 0
	s_mov_b32 s38, -1
	s_waitcnt lgkmcnt(0)
	flat_load_b32 v4, v[54:55] glc
	s_waitcnt vmcnt(0) lgkmcnt(0)
	buffer_gl1_inv
	buffer_gl0_inv
	v_cmp_eq_u32_e32 vcc_lo, 0, v4
	s_and_b32 vcc_lo, vcc_lo, exec_lo
	s_delay_alu instid0(SALU_CYCLE_1)
	s_or_b32 s37, s37, vcc_lo
	s_branch .LBB4_445
.LBB4_450:                              ;   in Loop: Header=BB4_385 Depth=2
	s_or_b32 exec_lo, exec_lo, s31
	s_and_saveexec_b32 vcc_lo, s34
	s_delay_alu instid0(SALU_CYCLE_1)
	s_xor_b32 vcc_lo, exec_lo, vcc_lo
	s_cbranch_execz .LBB4_452
; %bb.451:                              ;   in Loop: Header=BB4_385 Depth=2
	ds_store_b32 v0, v118
	s_cbranch_execnz .LBB4_1594
.LBB4_452:                              ;   in Loop: Header=BB4_385 Depth=2
	s_or_b32 exec_lo, exec_lo, s30
	;;#ASMSTART
	s_wakeup
	;;#ASMEND
.LBB4_453:                              ;   in Loop: Header=BB4_385 Depth=2
	s_or_b32 exec_lo, exec_lo, vcc_hi
.LBB4_454:                              ;   in Loop: Header=BB4_385 Depth=2
	s_and_not1_saveexec_b32 s14, s14
	s_cbranch_execz .LBB4_456
; %bb.455:                              ;   in Loop: Header=BB4_385 Depth=2
	s_waitcnt lgkmcnt(0)
	s_waitcnt_vscnt null, 0x0
	buffer_gl1_inv
	buffer_gl0_inv
	s_barrier
.LBB4_456:                              ;   in Loop: Header=BB4_385 Depth=2
	s_or_b32 exec_lo, exec_lo, s14
.LBB4_457:                              ;   in Loop: Header=BB4_385 Depth=2
	s_delay_alu instid0(SALU_CYCLE_1)
	s_or_b32 exec_lo, exec_lo, s13
	s_cbranch_execnz .LBB4_1260
; %bb.458:                              ;   in Loop: Header=BB4_385 Depth=2
	ds_load_b64 v[54:55], v0
	v_mov_b32_e32 v64, 0
	s_waitcnt lgkmcnt(0)
	v_cmp_eq_u64_e32 vcc_lo, 0, v[54:55]
	s_or_b32 s13, vcc_lo, vcc_lo
	s_delay_alu instid0(SALU_CYCLE_1)
	s_and_b32 vcc_lo, exec_lo, s13
	s_cbranch_vccnz .LBB4_492
; %bb.459:                              ;   in Loop: Header=BB4_385 Depth=2
	s_mov_b32 s13, -1
	s_and_saveexec_b32 s14, s4
	s_cbranch_execz .LBB4_461
; %bb.460:                              ;   in Loop: Header=BB4_385 Depth=2
	ds_load_b32 v4, v0 offset:720
	s_waitcnt lgkmcnt(0)
	v_and_b32_e32 v4, 15, v4
	s_delay_alu instid0(VALU_DEP_1)
	v_cmp_eq_u32_e32 vcc_lo, 0, v4
	s_or_not1_b32 s13, vcc_lo, exec_lo
.LBB4_461:                              ;   in Loop: Header=BB4_385 Depth=2
	s_or_b32 exec_lo, exec_lo, s14
	s_and_saveexec_b32 s14, s11
	s_cbranch_execz .LBB4_463
; %bb.462:                              ;   in Loop: Header=BB4_385 Depth=2
	ds_load_b32 v4, v0 offset:784
	s_waitcnt lgkmcnt(0)
	v_and_b32_e32 v4, 15, v4
	s_delay_alu instid0(VALU_DEP_1) | instskip(SKIP_3) | instid1(SALU_CYCLE_1)
	v_cmp_eq_u32_e32 vcc_lo, 0, v4
	s_and_b32 vcc_lo, s13, vcc_lo
	s_and_not1_b32 s13, s13, exec_lo
	s_and_b32 vcc_lo, vcc_lo, exec_lo
	s_or_b32 s13, s13, vcc_lo
.LBB4_463:                              ;   in Loop: Header=BB4_385 Depth=2
	s_or_b32 exec_lo, exec_lo, s14
	v_cmp_eq_u32_e32 vcc_lo, 0, v3
	s_xor_b32 s13, s13, -1
	v_mov_b32_e32 v66, v0
	v_cndmask_b32_e64 v4, 0, 1, s13
	;;#ASMSTART
	;;#ASMEND
	v_cndmask_b32_e32 v64, 0, v2, vcc_lo
	s_delay_alu instid0(VALU_DEP_2)
	v_cmp_ne_u32_e32 vcc_lo, 0, v4
	v_mov_b32_e32 v36, 0
	v_mov_b32_e32 v130, v96
	s_mov_b32 s13, -1
	v_mov_b32_e32 v65, v64
	s_cbranch_vccnz .LBB4_479
; %bb.464:                              ;   in Loop: Header=BB4_385 Depth=2
	v_ashrrev_i32_e32 v3, 31, v64
	s_mov_b32 s14, exec_lo
	s_delay_alu instid0(VALU_DEP_1) | instskip(NEXT) | instid1(VALU_DEP_1)
	v_lshrrev_b32_e32 v3, 22, v3
	v_add_nc_u32_e32 v3, v64, v3
	s_delay_alu instid0(VALU_DEP_1) | instskip(NEXT) | instid1(VALU_DEP_1)
	v_ashrrev_i32_e32 v36, 10, v3
	v_sub_nc_u32_e32 v67, v36, v96
	s_delay_alu instid0(VALU_DEP_1)
	v_cmpx_lt_i32_e32 0, v67
	s_cbranch_execz .LBB4_469
; %bb.465:                              ;   in Loop: Header=BB4_385 Depth=2
	s_cbranch_execnz .LBB4_1401
; %bb.466:                              ;   in Loop: Header=BB4_385 Depth=2
	ds_load_b64 v[3:4], v0
	v_dual_mov_b32 v55, v49 :: v_dual_mov_b32 v54, v48
	s_mov_b32 vcc_hi, 0
.LBB4_467:                              ;   Parent Loop BB4_93 Depth=1
                                        ;     Parent Loop BB4_385 Depth=2
                                        ; =>    This Inner Loop Header: Depth=3
	s_waitcnt lgkmcnt(0)
	s_delay_alu instid0(VALU_DEP_1) | instskip(NEXT) | instid1(VALU_DEP_2)
	v_add_co_u32 v65, vcc_lo, v3, v54
	v_add_co_ci_u32_e32 v66, vcc_lo, v4, v55, vcc_lo
	v_sub_nc_u32_e32 v67, v67, v82
	v_add_co_u32 v54, s13, v54, v116
	s_clause 0x1
	global_load_b128 v[129:132], v[65:66], off slc dlc
	global_load_b128 v[144:147], v[65:66], off offset:512 slc dlc
	v_add_co_ci_u32_e64 v55, s13, v55, v117, s13
	v_cmp_gt_i32_e32 vcc_lo, 1, v67
	s_waitcnt vmcnt(1)
	global_store_b128 v[65:66], v[129:132], off glc slc dlc
	s_waitcnt vmcnt(0)
	global_store_b128 v[65:66], v[144:147], off offset:512 glc slc dlc
	s_or_b32 vcc_hi, vcc_lo, vcc_hi
	s_delay_alu instid0(SALU_CYCLE_1)
	s_and_not1_b32 exec_lo, exec_lo, vcc_hi
	s_cbranch_execnz .LBB4_467
; %bb.468:                              ;   in Loop: Header=BB4_385 Depth=2
	s_or_b32 exec_lo, exec_lo, vcc_hi
.LBB4_469:                              ;   in Loop: Header=BB4_385 Depth=2
	s_delay_alu instid0(SALU_CYCLE_1) | instskip(SKIP_4) | instid1(VALU_DEP_2)
	s_or_b32 exec_lo, exec_lo, s14
	v_lshlrev_b32_e32 v54, 10, v36
	v_mov_b32_e32 v36, 0
	s_mov_b32 s13, 0
	s_mov_b32 vcc_hi, exec_lo
                                        ; implicit-def: $vgpr65
                                        ; implicit-def: $vgpr66
                                        ; implicit-def: $vgpr130
	v_cmpx_ne_u32_e64 v64, v54
	s_cbranch_execz .LBB4_478
; %bb.470:                              ;   in Loop: Header=BB4_385 Depth=2
	v_lshlrev_b32_e32 v3, 5, v67
	v_sub_nc_u32_e32 v36, v64, v54
	s_mov_b32 s30, exec_lo
	s_delay_alu instid0(VALU_DEP_2) | instskip(NEXT) | instid1(VALU_DEP_2)
	v_sub_nc_u32_e32 v3, v97, v3
	v_ashrrev_i32_e32 v55, 31, v36
	s_delay_alu instid0(VALU_DEP_2) | instskip(NEXT) | instid1(VALU_DEP_2)
	v_ashrrev_i32_e32 v4, 31, v3
	v_lshrrev_b32_e32 v55, 23, v55
	s_delay_alu instid0(VALU_DEP_2) | instskip(NEXT) | instid1(VALU_DEP_2)
	v_lshrrev_b32_e32 v4, 27, v4
	v_add_nc_u32_e32 v66, v36, v55
	s_delay_alu instid0(VALU_DEP_2) | instskip(NEXT) | instid1(VALU_DEP_2)
	v_add_nc_u32_e32 v4, v3, v4
	v_and_b32_e32 v55, 0xfffffe00, v66
	v_ashrrev_i32_e32 v66, 9, v66
	s_delay_alu instid0(VALU_DEP_3) | instskip(NEXT) | instid1(VALU_DEP_3)
	v_and_b32_e32 v65, 0xffffffe0, v4
	v_sub_nc_u32_e32 v129, v36, v55
	s_delay_alu instid0(VALU_DEP_2) | instskip(SKIP_1) | instid1(VALU_DEP_3)
	v_sub_nc_u32_e32 v67, v3, v65
	v_ashrrev_i32_e32 v3, 5, v4
	v_cmp_lt_i32_e32 vcc_lo, 15, v129
	s_delay_alu instid0(VALU_DEP_3) | instskip(NEXT) | instid1(VALU_DEP_1)
	v_lshlrev_b32_e32 v4, 4, v67
	v_lshl_add_u32 v65, v3, 9, v4
	v_add_co_ci_u32_e64 v4, s13, 0, v66, vcc_lo
	s_delay_alu instid0(VALU_DEP_2) | instskip(NEXT) | instid1(VALU_DEP_2)
	v_sub_nc_u32_e32 v36, v36, v65
	v_sub_nc_u32_e32 v131, v4, v3
	s_delay_alu instid0(VALU_DEP_2)
	v_cmpx_lt_i32_e32 15, v36
	s_cbranch_execz .LBB4_475
; %bb.471:                              ;   in Loop: Header=BB4_385 Depth=2
	s_cbranch_execnz .LBB4_1482
; %bb.472:                              ;   in Loop: Header=BB4_385 Depth=2
	ds_load_b64 v[3:4], v0
	v_add_nc_u32_e32 v65, v65, v54
	s_mov_b32 s31, 0
	s_delay_alu instid0(VALU_DEP_1)
	v_ashrrev_i32_e32 v66, 31, v65
.LBB4_473:                              ;   Parent Loop BB4_93 Depth=1
                                        ;     Parent Loop BB4_385 Depth=2
                                        ; =>    This Inner Loop Header: Depth=3
	s_waitcnt lgkmcnt(0)
	v_add_co_u32 v144, s13, v3, v65
	s_delay_alu instid0(VALU_DEP_1)
	v_add_co_ci_u32_e64 v145, s13, v4, v66, s13
	v_sub_nc_u32_e32 v36, v36, v85
	v_add_co_u32 v65, s14, v65, v100
	global_load_b128 v[132:135], v[144:145], off slc dlc
	v_sub_nc_u32_e32 v131, v131, v82
	v_cmp_gt_i32_e64 s13, 16, v36
	v_add_co_ci_u32_e64 v66, s14, v66, v101, s14
	s_delay_alu instid0(VALU_DEP_2)
	s_or_b32 s31, s13, s31
	s_waitcnt vmcnt(0)
	global_store_b128 v[144:145], v[132:135], off glc slc dlc
	s_and_not1_b32 exec_lo, exec_lo, s31
	s_cbranch_execnz .LBB4_473
; %bb.474:                              ;   in Loop: Header=BB4_385 Depth=2
	s_or_b32 exec_lo, exec_lo, s31
.LBB4_475:                              ;   in Loop: Header=BB4_385 Depth=2
	s_delay_alu instid0(SALU_CYCLE_1) | instskip(SKIP_3) | instid1(VALU_DEP_1)
	s_or_b32 exec_lo, exec_lo, s30
	v_dual_mov_b32 v36, 0 :: v_dual_and_b32 v3, 15, v64
	s_mov_b32 s14, 0
	s_mov_b32 s30, exec_lo
                                        ; implicit-def: $vgpr66
                                        ; implicit-def: $vgpr130
	v_cndmask_b32_e32 v65, v129, v3, vcc_lo
	s_delay_alu instid0(VALU_DEP_1)
	v_cmpx_ne_u32_e32 0, v65
; %bb.476:                              ;   in Loop: Header=BB4_385 Depth=2
	v_cmp_lt_i32_e64 s13, 0, v131
	v_sub_nc_u32_e32 v3, v129, v3
	s_mov_b32 s14, exec_lo
	s_delay_alu instid0(VALU_DEP_2) | instskip(NEXT) | instid1(VALU_DEP_1)
	v_cndmask_b32_e64 v4, 0, v82, s13
	v_sub_nc_u32_e32 v4, v4, v131
	s_delay_alu instid0(VALU_DEP_1) | instskip(NEXT) | instid1(VALU_DEP_1)
	v_lshl_add_u32 v66, v4, 5, v67
	v_ashrrev_i32_e32 v4, 31, v66
	s_delay_alu instid0(VALU_DEP_1) | instskip(NEXT) | instid1(VALU_DEP_1)
	v_lshrrev_b32_e32 v4, 27, v4
	v_dual_cndmask_b32 v3, 0, v3 :: v_dual_add_nc_u32 v4, v66, v4
	s_delay_alu instid0(VALU_DEP_1) | instskip(NEXT) | instid1(VALU_DEP_2)
	v_add3_u32 v36, v55, v54, v3
	v_ashrrev_i32_e32 v130, 5, v4
; %bb.477:                              ;   in Loop: Header=BB4_385 Depth=2
	s_or_b32 exec_lo, exec_lo, s30
	s_delay_alu instid0(SALU_CYCLE_1)
	s_and_b32 s13, s14, exec_lo
.LBB4_478:                              ;   in Loop: Header=BB4_385 Depth=2
	s_or_b32 exec_lo, exec_lo, vcc_hi
.LBB4_479:                              ;   in Loop: Header=BB4_385 Depth=2
	s_and_saveexec_b32 s14, s13
	s_cbranch_execz .LBB4_491
; %bb.480:                              ;   in Loop: Header=BB4_385 Depth=2
	s_delay_alu instid0(VALU_DEP_1) | instskip(SKIP_1) | instid1(VALU_DEP_1)
	v_ashrrev_i32_e32 v3, 31, v65
	s_mov_b32 s13, exec_lo
	v_lshrrev_b32_e32 v3, 24, v3
	s_delay_alu instid0(VALU_DEP_1) | instskip(NEXT) | instid1(VALU_DEP_1)
	v_add_nc_u32_e32 v3, v65, v3
	v_ashrrev_i32_e32 v129, 8, v3
	s_delay_alu instid0(VALU_DEP_1) | instskip(NEXT) | instid1(VALU_DEP_1)
	v_sub_nc_u32_e32 v67, v129, v130
	v_cmpx_lt_i32_e32 0, v67
	s_cbranch_execz .LBB4_485
; %bb.481:                              ;   in Loop: Header=BB4_385 Depth=2
	s_cbranch_execnz .LBB4_1393
; %bb.482:                              ;   in Loop: Header=BB4_385 Depth=2
	v_ashrrev_i32_e32 v3, 31, v66
	s_mov_b32 vcc_hi, 0
	s_delay_alu instid0(VALU_DEP_1) | instskip(NEXT) | instid1(VALU_DEP_1)
	v_lshrrev_b32_e32 v3, 27, v3
	v_add_nc_u32_e32 v54, v66, v3
	ds_load_b64 v[3:4], v0
	v_lshlrev_b32_e32 v55, 8, v130
	v_and_b32_e32 v54, 0xffffffe0, v54
	s_delay_alu instid0(VALU_DEP_1) | instskip(NEXT) | instid1(VALU_DEP_1)
	v_sub_nc_u32_e32 v54, v66, v54
	v_add3_u32 v130, v36, v54, v55
	s_delay_alu instid0(VALU_DEP_1)
	v_ashrrev_i32_e32 v131, 31, v130
	s_waitcnt lgkmcnt(0)
	v_dual_mov_b32 v55, v4 :: v_dual_mov_b32 v54, v3
.LBB4_483:                              ;   Parent Loop BB4_93 Depth=1
                                        ;     Parent Loop BB4_385 Depth=2
                                        ; =>    This Inner Loop Header: Depth=3
	s_delay_alu instid0(VALU_DEP_1) | instskip(NEXT) | instid1(VALU_DEP_2)
	v_add_co_u32 v132, vcc_lo, v130, v54
	v_add_co_ci_u32_e32 v133, vcc_lo, v131, v55, vcc_lo
	v_sub_nc_u32_e32 v67, v67, v82
	s_clause 0x7
	flat_load_u8 v134, v[132:133] slc dlc
	flat_load_u8 v135, v[132:133] offset:32 slc dlc
	flat_load_u8 v144, v[132:133] offset:64 slc dlc
	;; [unrolled: 1-line block ×7, first 2 shown]
	v_add_co_u32 v132, vcc_lo, v130, v3
	v_add_co_ci_u32_e32 v133, vcc_lo, v131, v4, vcc_lo
	v_add_co_u32 v54, vcc_lo, v54, v103
	v_add_co_ci_u32_e32 v55, vcc_lo, v55, v112, vcc_lo
	;; [unrolled: 2-line block ×3, first 2 shown]
	v_cmp_gt_i32_e32 vcc_lo, 1, v67
	s_waitcnt vmcnt(7) lgkmcnt(7)
	flat_store_b8 v[132:133], v134 glc slc dlc
	s_waitcnt vmcnt(6) lgkmcnt(7)
	flat_store_b8 v[132:133], v135 offset:32 glc slc dlc
	s_waitcnt vmcnt(5) lgkmcnt(7)
	flat_store_b8 v[132:133], v144 offset:64 glc slc dlc
	;; [unrolled: 2-line block ×7, first 2 shown]
	s_or_b32 vcc_hi, vcc_lo, vcc_hi
	s_delay_alu instid0(SALU_CYCLE_1)
	s_and_not1_b32 exec_lo, exec_lo, vcc_hi
	s_cbranch_execnz .LBB4_483
; %bb.484:                              ;   in Loop: Header=BB4_385 Depth=2
	s_or_b32 exec_lo, exec_lo, vcc_hi
.LBB4_485:                              ;   in Loop: Header=BB4_385 Depth=2
	s_delay_alu instid0(SALU_CYCLE_1) | instskip(SKIP_2) | instid1(VALU_DEP_1)
	s_or_b32 exec_lo, exec_lo, s13
	v_lshlrev_b32_e32 v3, 8, v129
	s_mov_b32 vcc_hi, exec_lo
	v_cmpx_ne_u32_e64 v65, v3
	s_cbranch_execz .LBB4_490
; %bb.486:                              ;   in Loop: Header=BB4_385 Depth=2
	v_ashrrev_i32_e32 v4, 31, v66
	v_lshlrev_b32_e32 v54, 5, v67
	s_delay_alu instid0(VALU_DEP_2) | instskip(NEXT) | instid1(VALU_DEP_1)
	v_lshrrev_b32_e32 v4, 27, v4
	v_add_nc_u32_e32 v4, v66, v4
	s_delay_alu instid0(VALU_DEP_1) | instskip(NEXT) | instid1(VALU_DEP_1)
	v_and_b32_e32 v4, 0xffffffe0, v4
	v_sub_nc_u32_e32 v4, v66, v4
	s_delay_alu instid0(VALU_DEP_1) | instskip(NEXT) | instid1(VALU_DEP_1)
	v_sub_nc_u32_e32 v4, v4, v54
	v_add_nc_u32_e32 v55, v3, v4
	s_delay_alu instid0(VALU_DEP_1) | instskip(NEXT) | instid1(VALU_DEP_1)
	v_sub_nc_u32_e32 v54, v65, v55
	v_cmp_lt_i32_e32 vcc_lo, 0, v54
	s_and_b32 exec_lo, exec_lo, vcc_lo
	s_cbranch_execz .LBB4_490
; %bb.487:                              ;   in Loop: Header=BB4_385 Depth=2
	s_cbranch_execnz .LBB4_1478
; %bb.488:                              ;   in Loop: Header=BB4_385 Depth=2
	ds_load_b64 v[3:4], v0
	v_add_nc_u32_e32 v36, v55, v36
	s_mov_b32 s30, 0
	s_delay_alu instid0(VALU_DEP_1)
	v_ashrrev_i32_e32 v55, 31, v36
.LBB4_489:                              ;   Parent Loop BB4_93 Depth=1
                                        ;     Parent Loop BB4_385 Depth=2
                                        ; =>    This Inner Loop Header: Depth=3
	s_waitcnt lgkmcnt(0)
	v_add_co_u32 v65, vcc_lo, v3, v36
	s_delay_alu instid0(VALU_DEP_2)
	v_add_co_ci_u32_e32 v66, vcc_lo, v4, v55, vcc_lo
	v_sub_nc_u32_e32 v54, v54, v84
	v_add_co_u32 v36, s13, v36, v114
	flat_load_u8 v67, v[65:66] slc dlc
	v_add_co_ci_u32_e64 v55, s13, v55, v115, s13
	v_cmp_gt_i32_e32 vcc_lo, 1, v54
	s_or_b32 s30, vcc_lo, s30
	s_waitcnt vmcnt(0) lgkmcnt(0)
	flat_store_b8 v[65:66], v67 glc slc dlc
	s_and_not1_b32 exec_lo, exec_lo, s30
	s_cbranch_execnz .LBB4_489
.LBB4_490:                              ;   in Loop: Header=BB4_385 Depth=2
	s_or_b32 exec_lo, exec_lo, vcc_hi
.LBB4_491:                              ;   in Loop: Header=BB4_385 Depth=2
	s_delay_alu instid0(SALU_CYCLE_1)
	s_or_b32 exec_lo, exec_lo, s14
.LBB4_492:                              ;   in Loop: Header=BB4_385 Depth=2
	s_and_saveexec_b32 s13, s2
	s_cbranch_execz .LBB4_514
; %bb.493:                              ;   in Loop: Header=BB4_385 Depth=2
	s_and_saveexec_b32 s14, s3
	s_delay_alu instid0(SALU_CYCLE_1)
	s_xor_b32 s14, exec_lo, s14
	s_cbranch_execz .LBB4_511
; %bb.494:                              ;   in Loop: Header=BB4_385 Depth=2
	s_and_saveexec_b32 vcc_hi, s1
	s_cbranch_execz .LBB4_510
; %bb.495:                              ;   in Loop: Header=BB4_385 Depth=2
	s_mov_b32 s31, exec_lo
	s_mov_b32 s30, exec_lo
	v_mbcnt_lo_u32_b32 v3, s31, 0
	s_waitcnt lgkmcnt(0)
	s_waitcnt_vscnt null, 0x0
	buffer_gl1_inv
	buffer_gl0_inv
	v_cmpx_eq_u32_e32 0, v3
	s_cbranch_execz .LBB4_497
; %bb.496:                              ;   in Loop: Header=BB4_385 Depth=2
	s_bcnt1_i32_b32 vcc_lo, s31
	s_delay_alu instid0(SALU_CYCLE_1)
	v_mov_b32_e32 v36, vcc_lo
	ds_add_u64 v0, v[36:37]
	s_cbranch_execnz .LBB4_1449
.LBB4_497:                              ;   in Loop: Header=BB4_385 Depth=2
	s_or_b32 exec_lo, exec_lo, s30
	s_cbranch_execnz .LBB4_1413
; %bb.498:                              ;   in Loop: Header=BB4_385 Depth=2
	ds_load_b64 v[3:4], v0
	v_add_co_u32 v32, vcc_lo, v32, v82
	v_add_co_ci_u32_e32 v33, vcc_lo, 0, v33, vcc_lo
	s_mov_b32 s30, exec_lo
	s_waitcnt lgkmcnt(0)
	s_delay_alu instid0(VALU_DEP_1)
	v_cmpx_lt_u64_e64 v[3:4], v[32:33]
	s_cbranch_execz .LBB4_509
; %bb.499:                              ;   in Loop: Header=BB4_385 Depth=2
	s_mov_b32 s31, 0
	s_mov_b32 s36, 0
                                        ; implicit-def: $sgpr34
                                        ; implicit-def: $sgpr35
	s_branch .LBB4_501
.LBB4_500:                              ;   in Loop: Header=BB4_501 Depth=3
	s_or_b32 exec_lo, exec_lo, s38
	s_delay_alu instid0(SALU_CYCLE_1) | instskip(NEXT) | instid1(SALU_CYCLE_1)
	s_and_b32 vcc_lo, exec_lo, vcc_lo
	s_or_b32 s31, vcc_lo, s31
	s_and_not1_b32 vcc_lo, s34, exec_lo
	s_and_b32 s34, s35, exec_lo
	s_delay_alu instid0(SALU_CYCLE_1)
	s_or_b32 s34, vcc_lo, s34
	s_and_not1_b32 exec_lo, exec_lo, s31
	s_cbranch_execz .LBB4_507
.LBB4_501:                              ;   Parent Loop BB4_93 Depth=1
                                        ;     Parent Loop BB4_385 Depth=2
                                        ; =>    This Inner Loop Header: Depth=3
	s_add_i32 s36, s36, 1
                                        ; implicit-def: $sgpr38
	s_delay_alu instid0(SALU_CYCLE_1) | instskip(SKIP_1) | instid1(SALU_CYCLE_1)
	s_cmpk_lg_i32 s36, 0x2710
	s_cselect_b32 s37, -1, 0
	s_and_b32 vcc_lo, exec_lo, s37
	s_cbranch_vccz .LBB4_505
.LBB4_502:                              ;   in Loop: Header=BB4_501 Depth=3
	s_and_not1_b32 s35, s35, exec_lo
	s_and_b32 s38, s38, exec_lo
	s_mov_b32 vcc_lo, -1
	s_or_b32 s35, s35, s38
	s_and_saveexec_b32 s38, s37
	s_cbranch_execz .LBB4_500
; %bb.503:                              ;   in Loop: Header=BB4_501 Depth=3
	s_sleep 1
	s_cbranch_execnz .LBB4_1514
; %bb.504:                              ;   in Loop: Header=BB4_501 Depth=3
	ds_load_b64 v[3:4], v0
	s_and_not1_b32 s35, s35, exec_lo
	s_waitcnt lgkmcnt(0)
	v_cmp_ge_u64_e32 vcc_lo, v[3:4], v[32:33]
	s_or_not1_b32 vcc_lo, vcc_lo, exec_lo
	s_branch .LBB4_500
.LBB4_505:                              ;   in Loop: Header=BB4_501 Depth=3
	s_cbranch_execnz .LBB4_1530
; %bb.506:                              ;   in Loop: Header=BB4_501 Depth=3
	ds_load_b64 v[3:4], v0
	s_and_not1_b32 s37, s37, exec_lo
	s_mov_b32 s36, 0
	s_mov_b32 s38, -1
	s_waitcnt lgkmcnt(0)
	flat_load_b32 v3, v[3:4] glc
	s_waitcnt vmcnt(0) lgkmcnt(0)
	buffer_gl1_inv
	buffer_gl0_inv
	v_cmp_eq_u32_e32 vcc_lo, 0, v3
	s_and_b32 vcc_lo, vcc_lo, exec_lo
	s_delay_alu instid0(SALU_CYCLE_1)
	s_or_b32 s37, s37, vcc_lo
	s_branch .LBB4_502
.LBB4_507:                              ;   in Loop: Header=BB4_385 Depth=2
	s_or_b32 exec_lo, exec_lo, s31
	s_and_saveexec_b32 vcc_lo, s34
	s_delay_alu instid0(SALU_CYCLE_1)
	s_xor_b32 vcc_lo, exec_lo, vcc_lo
	s_cbranch_execz .LBB4_509
; %bb.508:                              ;   in Loop: Header=BB4_385 Depth=2
	ds_store_b32 v0, v118
	s_cbranch_execnz .LBB4_1604
.LBB4_509:                              ;   in Loop: Header=BB4_385 Depth=2
	s_or_b32 exec_lo, exec_lo, s30
	;;#ASMSTART
	s_wakeup
	;;#ASMEND
.LBB4_510:                              ;   in Loop: Header=BB4_385 Depth=2
	s_or_b32 exec_lo, exec_lo, vcc_hi
.LBB4_511:                              ;   in Loop: Header=BB4_385 Depth=2
	s_and_not1_saveexec_b32 s14, s14
	s_cbranch_execz .LBB4_513
; %bb.512:                              ;   in Loop: Header=BB4_385 Depth=2
	s_waitcnt lgkmcnt(0)
	s_waitcnt_vscnt null, 0x0
	buffer_gl1_inv
	buffer_gl0_inv
	s_barrier
.LBB4_513:                              ;   in Loop: Header=BB4_385 Depth=2
	s_or_b32 exec_lo, exec_lo, s14
.LBB4_514:                              ;   in Loop: Header=BB4_385 Depth=2
	s_delay_alu instid0(SALU_CYCLE_1) | instskip(SKIP_1) | instid1(SALU_CYCLE_1)
	s_or_b32 exec_lo, exec_lo, s13
                                        ; implicit-def: $vgpr3
	s_and_saveexec_b32 s13, s6
	s_xor_b32 s14, exec_lo, s13
	s_cbranch_execz .LBB4_518
; %bb.515:                              ;   in Loop: Header=BB4_385 Depth=2
	v_and_b32_e32 v3, 16, v30
	v_cmp_lt_i32_e32 vcc_lo, 0, v64
	s_delay_alu instid0(VALU_DEP_2) | instskip(SKIP_1) | instid1(VALU_DEP_2)
	v_cmp_ne_u32_e64 s13, 0, v3
	v_and_b32_e32 v3, 16, v30
	s_and_b32 vcc_lo, s13, vcc_lo
	s_delay_alu instid0(SALU_CYCLE_1)
	s_and_saveexec_b32 s13, vcc_lo
	s_cbranch_execz .LBB4_517
; %bb.516:                              ;   in Loop: Header=BB4_385 Depth=2
	v_mov_b32_e32 v3, 1
	s_waitcnt lgkmcnt(0)
	s_waitcnt_vscnt null, 0x0
	buffer_gl1_inv
	buffer_gl0_inv
.LBB4_517:                              ;   in Loop: Header=BB4_385 Depth=2
	s_or_b32 exec_lo, exec_lo, s13
.LBB4_518:                              ;   in Loop: Header=BB4_385 Depth=2
	s_and_not1_saveexec_b32 s13, s14
	s_cbranch_execz .LBB4_540
; %bb.519:                              ;   in Loop: Header=BB4_385 Depth=2
	s_and_saveexec_b32 s14, s3
	s_delay_alu instid0(SALU_CYCLE_1)
	s_xor_b32 s14, exec_lo, s14
	s_cbranch_execz .LBB4_537
; %bb.520:                              ;   in Loop: Header=BB4_385 Depth=2
	s_and_saveexec_b32 vcc_hi, s1
	s_cbranch_execz .LBB4_536
; %bb.521:                              ;   in Loop: Header=BB4_385 Depth=2
	s_mov_b32 s31, exec_lo
	s_mov_b32 s30, exec_lo
	v_mbcnt_lo_u32_b32 v3, s31, 0
	;;#ASMSTART
	s_waitcnt lgkmcnt(0) vmcnt(0)
	;;#ASMEND
	s_delay_alu instid0(VALU_DEP_1)
	v_cmpx_eq_u32_e32 0, v3
	s_cbranch_execz .LBB4_523
; %bb.522:                              ;   in Loop: Header=BB4_385 Depth=2
	s_bcnt1_i32_b32 vcc_lo, s31
	s_delay_alu instid0(SALU_CYCLE_1)
	v_mov_b32_e32 v36, vcc_lo
	ds_add_u64 v0, v[36:37]
	s_cbranch_execnz .LBB4_1468
.LBB4_523:                              ;   in Loop: Header=BB4_385 Depth=2
	s_or_b32 exec_lo, exec_lo, s30
	s_cbranch_execnz .LBB4_1421
; %bb.524:                              ;   in Loop: Header=BB4_385 Depth=2
	ds_load_b64 v[3:4], v0
	v_add_co_u32 v32, vcc_lo, v32, v82
	v_add_co_ci_u32_e32 v33, vcc_lo, 0, v33, vcc_lo
	s_mov_b32 s30, exec_lo
	s_waitcnt lgkmcnt(0)
	s_delay_alu instid0(VALU_DEP_1)
	v_cmpx_lt_u64_e64 v[3:4], v[32:33]
	s_cbranch_execz .LBB4_535
; %bb.525:                              ;   in Loop: Header=BB4_385 Depth=2
	s_mov_b32 s31, 0
	s_mov_b32 s36, 0
                                        ; implicit-def: $sgpr34
                                        ; implicit-def: $sgpr35
	s_branch .LBB4_527
.LBB4_526:                              ;   in Loop: Header=BB4_527 Depth=3
	s_or_b32 exec_lo, exec_lo, s38
	s_delay_alu instid0(SALU_CYCLE_1) | instskip(NEXT) | instid1(SALU_CYCLE_1)
	s_and_b32 vcc_lo, exec_lo, vcc_lo
	s_or_b32 s31, vcc_lo, s31
	s_and_not1_b32 vcc_lo, s34, exec_lo
	s_and_b32 s34, s35, exec_lo
	s_delay_alu instid0(SALU_CYCLE_1)
	s_or_b32 s34, vcc_lo, s34
	s_and_not1_b32 exec_lo, exec_lo, s31
	s_cbranch_execz .LBB4_533
.LBB4_527:                              ;   Parent Loop BB4_93 Depth=1
                                        ;     Parent Loop BB4_385 Depth=2
                                        ; =>    This Inner Loop Header: Depth=3
	s_add_i32 s36, s36, 1
                                        ; implicit-def: $sgpr38
	s_delay_alu instid0(SALU_CYCLE_1) | instskip(SKIP_1) | instid1(SALU_CYCLE_1)
	s_cmpk_lg_i32 s36, 0x2710
	s_cselect_b32 s37, -1, 0
	s_and_b32 vcc_lo, exec_lo, s37
	s_cbranch_vccz .LBB4_531
.LBB4_528:                              ;   in Loop: Header=BB4_527 Depth=3
	s_and_not1_b32 s35, s35, exec_lo
	s_and_b32 s38, s38, exec_lo
	s_mov_b32 vcc_lo, -1
	s_or_b32 s35, s35, s38
	s_and_saveexec_b32 s38, s37
	s_cbranch_execz .LBB4_526
; %bb.529:                              ;   in Loop: Header=BB4_527 Depth=3
	s_sleep 1
	s_cbranch_execnz .LBB4_1522
; %bb.530:                              ;   in Loop: Header=BB4_527 Depth=3
	ds_load_b64 v[3:4], v0
	s_and_not1_b32 s35, s35, exec_lo
	s_waitcnt lgkmcnt(0)
	v_cmp_ge_u64_e32 vcc_lo, v[3:4], v[32:33]
	s_or_not1_b32 vcc_lo, vcc_lo, exec_lo
	s_branch .LBB4_526
.LBB4_531:                              ;   in Loop: Header=BB4_527 Depth=3
	s_cbranch_execnz .LBB4_1532
; %bb.532:                              ;   in Loop: Header=BB4_527 Depth=3
	ds_load_b64 v[3:4], v0
	s_and_not1_b32 s37, s37, exec_lo
	s_mov_b32 s36, 0
	s_mov_b32 s38, -1
	s_waitcnt lgkmcnt(0)
	s_waitcnt_vscnt null, 0x0
	flat_load_b32 v3, v[3:4] glc
	s_waitcnt vmcnt(0) lgkmcnt(0)
	buffer_gl1_inv
	buffer_gl0_inv
	v_cmp_eq_u32_e32 vcc_lo, 0, v3
	s_and_b32 vcc_lo, vcc_lo, exec_lo
	s_delay_alu instid0(SALU_CYCLE_1)
	s_or_b32 s37, s37, vcc_lo
	s_branch .LBB4_528
.LBB4_533:                              ;   in Loop: Header=BB4_385 Depth=2
	s_or_b32 exec_lo, exec_lo, s31
	s_and_saveexec_b32 vcc_lo, s34
	s_delay_alu instid0(SALU_CYCLE_1)
	s_xor_b32 vcc_lo, exec_lo, vcc_lo
	s_cbranch_execz .LBB4_535
; %bb.534:                              ;   in Loop: Header=BB4_385 Depth=2
	ds_store_b32 v0, v118
	s_cbranch_execnz .LBB4_1606
.LBB4_535:                              ;   in Loop: Header=BB4_385 Depth=2
	s_or_b32 exec_lo, exec_lo, s30
	;;#ASMSTART
	s_wakeup
	;;#ASMEND
.LBB4_536:                              ;   in Loop: Header=BB4_385 Depth=2
	s_or_b32 exec_lo, exec_lo, vcc_hi
.LBB4_537:                              ;   in Loop: Header=BB4_385 Depth=2
	s_and_not1_saveexec_b32 s14, s14
	s_cbranch_execz .LBB4_539
; %bb.538:                              ;   in Loop: Header=BB4_385 Depth=2
	;;#ASMSTART
	s_waitcnt lgkmcnt(0) vmcnt(0)
	;;#ASMEND
	s_waitcnt lgkmcnt(0)
	s_waitcnt_vscnt null, 0x0
	s_barrier
.LBB4_539:                              ;   in Loop: Header=BB4_385 Depth=2
	s_or_b32 exec_lo, exec_lo, s14
	v_and_b32_e32 v3, 16, v30
.LBB4_540:                              ;   in Loop: Header=BB4_385 Depth=2
	s_or_b32 exec_lo, exec_lo, s13
	s_delay_alu instid0(SALU_CYCLE_1) | instskip(NEXT) | instid1(VALU_DEP_1)
	s_mov_b32 s13, exec_lo
	v_cmpx_ne_u32_e32 0, v3
	s_cbranch_execz .LBB4_544
; %bb.541:                              ;   in Loop: Header=BB4_385 Depth=2
	s_and_saveexec_b32 s14, s10
	s_cbranch_execz .LBB4_543
; %bb.542:                              ;   in Loop: Header=BB4_385 Depth=2
	s_waitcnt lgkmcnt(0)
	s_waitcnt_vscnt null, 0x0
	flat_store_b32 v[28:29], v118
.LBB4_543:                              ;   in Loop: Header=BB4_385 Depth=2
	s_or_b32 exec_lo, exec_lo, s14
	v_add_co_u32 v14, vcc_lo, v14, 2
	v_add_co_ci_u32_e32 v15, vcc_lo, 0, v15, vcc_lo
	s_waitcnt lgkmcnt(0)
	s_waitcnt_vscnt null, 0x0
	flat_store_b64 v[24:25], v[14:15]
.LBB4_544:                              ;   in Loop: Header=BB4_385 Depth=2
	s_or_b32 exec_lo, exec_lo, s13
	v_add_nc_u32_e32 v5, v2, v5
	s_xor_b32 s13, s28, -1
	v_mov_b32_e32 v3, s29
	s_mov_b32 s28, 0
	s_mov_b32 s29, 2
	v_cmp_ge_i32_e32 vcc_lo, v5, v119
	s_or_b32 s13, s13, vcc_lo
	s_delay_alu instid0(SALU_CYCLE_1) | instskip(NEXT) | instid1(SALU_CYCLE_1)
	s_and_b32 s13, exec_lo, s13
	s_or_b32 s17, s13, s17
	s_delay_alu instid0(SALU_CYCLE_1)
	s_and_not1_b32 exec_lo, exec_lo, s17
	s_cbranch_execnz .LBB4_385
; %bb.545:                              ;   in Loop: Header=BB4_93 Depth=1
	s_or_b32 exec_lo, exec_lo, s17
.LBB4_546:                              ;   in Loop: Header=BB4_93 Depth=1
	s_delay_alu instid0(SALU_CYCLE_1) | instskip(NEXT) | instid1(SALU_CYCLE_1)
	s_or_b32 exec_lo, exec_lo, s16
	s_mov_b32 s14, exec_lo
	v_cmpx_gt_i32_e32 2, v3
	s_cbranch_execz .LBB4_627
; %bb.547:                              ;   in Loop: Header=BB4_93 Depth=1
	v_cmp_eq_u32_e64 s13, 0, v3
	s_mov_b32 s16, 0
.LBB4_548:                              ;   Parent Loop BB4_93 Depth=1
                                        ; =>  This Loop Header: Depth=2
                                        ;       Child Loop BB4_554 Depth 3
                                        ;       Child Loop BB4_581 Depth 3
	;; [unrolled: 1-line block ×3, first 2 shown]
	v_and_b32_e32 v3, 8, v30
	s_mov_b32 s28, -1
	s_mov_b32 s17, exec_lo
	s_delay_alu instid0(VALU_DEP_1)
	v_cmpx_ne_u32_e32 0, v3
	s_cbranch_execz .LBB4_562
; %bb.549:                              ;   in Loop: Header=BB4_548 Depth=2
	v_add_co_u32 v54, vcc_lo, v34, 8
	v_add_co_ci_u32_e32 v55, vcc_lo, 0, v35, vcc_lo
	v_add_co_u32 v3, vcc_lo, v14, 2
	v_add_co_ci_u32_e32 v4, vcc_lo, 0, v15, vcc_lo
	v_mov_b32_e32 v36, 1
	s_mov_b32 s28, exec_lo
	s_delay_alu instid0(VALU_DEP_2)
	v_cmpx_lt_u64_e64 v[54:55], v[3:4]
	s_cbranch_execz .LBB4_561
; %bb.550:                              ;   in Loop: Header=BB4_548 Depth=2
	v_mov_b32_e32 v36, 0
	s_mov_b32 s29, 0
                                        ; implicit-def: $vcc_hi
	s_branch .LBB4_554
.LBB4_551:                              ;   in Loop: Header=BB4_554 Depth=3
	s_or_b32 exec_lo, exec_lo, s35
	v_mov_b32_e32 v54, 0
	s_or_not1_b32 s34, s34, exec_lo
.LBB4_552:                              ;   in Loop: Header=BB4_554 Depth=3
	s_or_b32 exec_lo, exec_lo, s31
	s_delay_alu instid0(VALU_DEP_1) | instskip(SKIP_2) | instid1(SALU_CYCLE_1)
	v_mov_b32_e32 v36, v54
	s_and_not1_b32 vcc_lo, vcc_hi, exec_lo
	s_and_b32 vcc_hi, s34, exec_lo
	s_or_b32 vcc_hi, vcc_lo, vcc_hi
.LBB4_553:                              ;   in Loop: Header=BB4_554 Depth=3
	s_or_b32 exec_lo, exec_lo, s30
	s_waitcnt vmcnt(0) lgkmcnt(0)
	v_add_co_u32 v54, vcc_lo, v34, 8
	v_add_co_ci_u32_e32 v55, vcc_lo, 0, v35, vcc_lo
	s_delay_alu instid0(VALU_DEP_1) | instskip(SKIP_1) | instid1(SALU_CYCLE_1)
	v_cmp_ge_u64_e32 vcc_lo, v[54:55], v[3:4]
	s_xor_b32 s30, vcc_hi, -1
	s_or_b32 vcc_lo, s30, vcc_lo
	s_delay_alu instid0(SALU_CYCLE_1) | instskip(NEXT) | instid1(SALU_CYCLE_1)
	s_and_b32 vcc_lo, exec_lo, vcc_lo
	s_or_b32 s29, vcc_lo, s29
	s_delay_alu instid0(SALU_CYCLE_1)
	s_and_not1_b32 exec_lo, exec_lo, s29
	s_cbranch_execz .LBB4_560
.LBB4_554:                              ;   Parent Loop BB4_93 Depth=1
                                        ;     Parent Loop BB4_548 Depth=2
                                        ; =>    This Inner Loop Header: Depth=3
	s_sleep 1
	flat_load_b64 v[34:35], v[24:25] glc
	v_and_b32_e32 v54, 64, v30
	s_and_not1_b32 vcc_hi, vcc_hi, exec_lo
	s_mov_b32 s30, exec_lo
	s_delay_alu instid0(VALU_DEP_1)
	v_cmpx_eq_u32_e32 0, v54
	s_cbranch_execz .LBB4_553
; %bb.555:                              ;   in Loop: Header=BB4_554 Depth=3
	v_add_nc_u32_e32 v54, 1, v36
	s_mov_b32 s34, -1
	s_mov_b32 s31, exec_lo
	v_cmpx_lt_i32_e32 0x270e, v36
	s_cbranch_execz .LBB4_552
; %bb.556:                              ;   in Loop: Header=BB4_554 Depth=3
	s_cbranch_execnz .LBB4_1254
; %bb.557:                              ;   in Loop: Header=BB4_554 Depth=3
	ds_load_b64 v[54:55], v0
	s_mov_b32 s35, exec_lo
	s_waitcnt vmcnt(0) lgkmcnt(0)
	s_waitcnt_vscnt null, 0x0
	flat_load_b32 v36, v[54:55] glc
	s_waitcnt vmcnt(0) lgkmcnt(0)
	buffer_gl1_inv
	buffer_gl0_inv
	v_cmpx_ne_u32_e32 0, v36
	s_cbranch_execz .LBB4_551
; %bb.558:                              ;   in Loop: Header=BB4_554 Depth=3
	ds_store_b32 v0, v36
	s_cbranch_execnz .LBB4_1301
; %bb.559:                              ;   in Loop: Header=BB4_554 Depth=3
	v_or_b32_e32 v30, 64, v30
	s_xor_b32 s34, exec_lo, -1
	s_branch .LBB4_551
.LBB4_560:                              ;   in Loop: Header=BB4_548 Depth=2
	s_or_b32 exec_lo, exec_lo, s29
	v_and_b32_e32 v36, 8, v30
.LBB4_561:                              ;   in Loop: Header=BB4_548 Depth=2
	s_or_b32 exec_lo, exec_lo, s28
	s_delay_alu instid0(VALU_DEP_1)
	v_cmp_eq_u32_e32 vcc_lo, 0, v36
	;;#ASMSTART
	s_wakeup
	;;#ASMEND
	s_or_not1_b32 s28, vcc_lo, exec_lo
.LBB4_562:                              ;   in Loop: Header=BB4_548 Depth=2
	s_or_b32 exec_lo, exec_lo, s17
	v_sub_nc_u32_e32 v3, v119, v5
	s_xor_b32 s13, s13, -1
	s_delay_alu instid0(SALU_CYCLE_1) | instskip(NEXT) | instid1(SALU_CYCLE_1)
	s_and_b32 s13, exec_lo, s13
	s_or_b32 s16, s13, s16
	s_delay_alu instid0(VALU_DEP_1) | instskip(SKIP_1) | instid1(SALU_CYCLE_1)
	v_min_i32_e32 v2, v2, v3
	s_xor_b32 s13, s28, -1
	s_and_saveexec_b32 s17, s13
	s_cbranch_execz .LBB4_572
; %bb.563:                              ;   in Loop: Header=BB4_548 Depth=2
	v_and_b32_e32 v3, 0x100, v30
	v_and_b32_e32 v36, 7, v14
	s_mov_b32 s13, -1
	s_delay_alu instid0(VALU_DEP_2)
	v_cmp_ne_u32_e32 vcc_lo, 0, v3
                                        ; implicit-def: $vgpr3_vgpr4
	s_and_saveexec_b32 s28, vcc_lo
	s_cbranch_execz .LBB4_567
; %bb.564:                              ;   in Loop: Header=BB4_548 Depth=2
	v_mad_u64_u32 v[54:55], null, v36, 24, v[12:13]
	v_ashrrev_i32_e32 v3, 31, v2
	flat_load_b32 v4, v[54:55]
	flat_store_b64 v[54:55], v[2:3] offset:8
	s_waitcnt vmcnt(0) lgkmcnt(1)
	v_cmp_ne_u32_e32 vcc_lo, 1, v4
	v_cmp_eq_u32_e64 s13, 1, v4
                                        ; implicit-def: $vgpr3_vgpr4
	s_delay_alu instid0(VALU_DEP_1)
	s_and_saveexec_b32 s29, s13
	s_cbranch_execz .LBB4_566
; %bb.565:                              ;   in Loop: Header=BB4_548 Depth=2
	flat_load_b32 v3, v[54:55] offset:4 glc
	s_waitcnt vmcnt(0) lgkmcnt(0)
	v_ashrrev_i32_e32 v4, 31, v3
.LBB4_566:                              ;   in Loop: Header=BB4_548 Depth=2
	s_or_b32 exec_lo, exec_lo, s29
	s_delay_alu instid0(SALU_CYCLE_1)
	s_or_not1_b32 s13, vcc_lo, exec_lo
.LBB4_567:                              ;   in Loop: Header=BB4_548 Depth=2
	s_or_b32 exec_lo, exec_lo, s28
	s_and_saveexec_b32 s28, s13
; %bb.568:                              ;   in Loop: Header=BB4_548 Depth=2
	v_mad_i64_i32 v[3:4], null, v36, v70, 0
; %bb.569:                              ;   in Loop: Header=BB4_548 Depth=2
	s_or_b32 exec_lo, exec_lo, s28
	s_delay_alu instid0(VALU_DEP_1) | instskip(SKIP_1) | instid1(VALU_DEP_3)
	v_add_co_u32 v3, vcc_lo, v26, v3
	v_and_b32_e32 v36, 0x2000, v30
	v_add_co_ci_u32_e32 v4, vcc_lo, v27, v4, vcc_lo
	s_mov_b32 s13, exec_lo
	ds_store_b64 v0, v[3:4] offset:784
	v_cmpx_ne_u32_e32 0, v36
	s_cbranch_execz .LBB4_571
; %bb.570:                              ;   in Loop: Header=BB4_548 Depth=2
	ds_load_b64 v[3:4], v0 offset:584
	s_waitcnt lgkmcnt(0)
	v_add_co_u32 v3, vcc_lo, v3, 1
	v_add_co_ci_u32_e32 v4, vcc_lo, 0, v4, vcc_lo
	ds_store_b64 v0, v[3:4] offset:584
.LBB4_571:                              ;   in Loop: Header=BB4_548 Depth=2
	s_or_b32 exec_lo, exec_lo, s13
	v_add_co_u32 v14, vcc_lo, v14, 2
	v_add_co_ci_u32_e32 v15, vcc_lo, 0, v15, vcc_lo
.LBB4_572:                              ;   in Loop: Header=BB4_548 Depth=2
	s_or_b32 exec_lo, exec_lo, s17
	s_and_saveexec_b32 s13, s2
	s_cbranch_execz .LBB4_594
; %bb.573:                              ;   in Loop: Header=BB4_548 Depth=2
	s_and_saveexec_b32 s17, s3
	s_delay_alu instid0(SALU_CYCLE_1)
	s_xor_b32 s17, exec_lo, s17
	s_cbranch_execz .LBB4_591
; %bb.574:                              ;   in Loop: Header=BB4_548 Depth=2
	s_and_saveexec_b32 s28, s1
	s_cbranch_execz .LBB4_590
; %bb.575:                              ;   in Loop: Header=BB4_548 Depth=2
	s_mov_b32 vcc_hi, exec_lo
	s_mov_b32 s29, exec_lo
	v_mbcnt_lo_u32_b32 v3, vcc_hi, 0
	s_waitcnt lgkmcnt(0)
	s_waitcnt_vscnt null, 0x0
	buffer_gl1_inv
	buffer_gl0_inv
	v_cmpx_eq_u32_e32 0, v3
	s_cbranch_execz .LBB4_577
; %bb.576:                              ;   in Loop: Header=BB4_548 Depth=2
	s_bcnt1_i32_b32 vcc_lo, vcc_hi
	s_delay_alu instid0(SALU_CYCLE_1)
	v_mov_b32_e32 v36, vcc_lo
	ds_add_u64 v0, v[36:37]
	s_cbranch_execnz .LBB4_1329
.LBB4_577:                              ;   in Loop: Header=BB4_548 Depth=2
	s_or_b32 exec_lo, exec_lo, s29
	s_cbranch_execnz .LBB4_1311
; %bb.578:                              ;   in Loop: Header=BB4_548 Depth=2
	ds_load_b64 v[3:4], v0
	v_add_co_u32 v32, vcc_lo, v32, v82
	v_add_co_ci_u32_e32 v33, vcc_lo, 0, v33, vcc_lo
	s_mov_b32 s29, exec_lo
	s_waitcnt lgkmcnt(0)
	s_delay_alu instid0(VALU_DEP_1)
	v_cmpx_lt_u64_e64 v[3:4], v[32:33]
	s_cbranch_execz .LBB4_589
; %bb.579:                              ;   in Loop: Header=BB4_548 Depth=2
	s_mov_b32 vcc_hi, 0
	s_mov_b32 s34, 0
                                        ; implicit-def: $sgpr30
                                        ; implicit-def: $sgpr31
	s_branch .LBB4_581
.LBB4_580:                              ;   in Loop: Header=BB4_581 Depth=3
	s_or_b32 exec_lo, exec_lo, s36
	s_delay_alu instid0(SALU_CYCLE_1) | instskip(NEXT) | instid1(SALU_CYCLE_1)
	s_and_b32 vcc_lo, exec_lo, vcc_lo
	s_or_b32 vcc_hi, vcc_lo, vcc_hi
	s_and_not1_b32 vcc_lo, s30, exec_lo
	s_and_b32 s30, s31, exec_lo
	s_delay_alu instid0(SALU_CYCLE_1)
	s_or_b32 s30, vcc_lo, s30
	s_and_not1_b32 exec_lo, exec_lo, vcc_hi
	s_cbranch_execz .LBB4_587
.LBB4_581:                              ;   Parent Loop BB4_93 Depth=1
                                        ;     Parent Loop BB4_548 Depth=2
                                        ; =>    This Inner Loop Header: Depth=3
	s_add_i32 s34, s34, 1
                                        ; implicit-def: $sgpr36
	s_delay_alu instid0(SALU_CYCLE_1) | instskip(SKIP_1) | instid1(SALU_CYCLE_1)
	s_cmpk_lg_i32 s34, 0x2710
	s_cselect_b32 s35, -1, 0
	s_and_b32 vcc_lo, exec_lo, s35
	s_cbranch_vccz .LBB4_585
.LBB4_582:                              ;   in Loop: Header=BB4_581 Depth=3
	s_and_not1_b32 s31, s31, exec_lo
	s_and_b32 s36, s36, exec_lo
	s_mov_b32 vcc_lo, -1
	s_or_b32 s31, s31, s36
	s_and_saveexec_b32 s36, s35
	s_cbranch_execz .LBB4_580
; %bb.583:                              ;   in Loop: Header=BB4_581 Depth=3
	s_sleep 1
	s_cbranch_execnz .LBB4_1379
; %bb.584:                              ;   in Loop: Header=BB4_581 Depth=3
	ds_load_b64 v[3:4], v0
	s_and_not1_b32 s31, s31, exec_lo
	s_waitcnt lgkmcnt(0)
	v_cmp_ge_u64_e32 vcc_lo, v[3:4], v[32:33]
	s_or_not1_b32 vcc_lo, vcc_lo, exec_lo
	s_branch .LBB4_580
.LBB4_585:                              ;   in Loop: Header=BB4_581 Depth=3
	s_cbranch_execnz .LBB4_1391
; %bb.586:                              ;   in Loop: Header=BB4_581 Depth=3
	ds_load_b64 v[3:4], v0
	s_and_not1_b32 s35, s35, exec_lo
	s_mov_b32 s34, 0
	s_mov_b32 s36, -1
	s_waitcnt lgkmcnt(0)
	flat_load_b32 v3, v[3:4] glc
	s_waitcnt vmcnt(0) lgkmcnt(0)
	buffer_gl1_inv
	buffer_gl0_inv
	v_cmp_eq_u32_e32 vcc_lo, 0, v3
	s_and_b32 vcc_lo, vcc_lo, exec_lo
	s_delay_alu instid0(SALU_CYCLE_1)
	s_or_b32 s35, s35, vcc_lo
	s_branch .LBB4_582
.LBB4_587:                              ;   in Loop: Header=BB4_548 Depth=2
	s_or_b32 exec_lo, exec_lo, vcc_hi
	s_and_saveexec_b32 vcc_lo, s30
	s_delay_alu instid0(SALU_CYCLE_1)
	s_xor_b32 vcc_lo, exec_lo, vcc_lo
	s_cbranch_execz .LBB4_589
; %bb.588:                              ;   in Loop: Header=BB4_548 Depth=2
	ds_store_b32 v0, v118
	s_cbranch_execnz .LBB4_1574
.LBB4_589:                              ;   in Loop: Header=BB4_548 Depth=2
	s_or_b32 exec_lo, exec_lo, s29
	;;#ASMSTART
	s_wakeup
	;;#ASMEND
.LBB4_590:                              ;   in Loop: Header=BB4_548 Depth=2
	s_or_b32 exec_lo, exec_lo, s28
.LBB4_591:                              ;   in Loop: Header=BB4_548 Depth=2
	s_and_not1_saveexec_b32 s17, s17
	s_cbranch_execz .LBB4_593
; %bb.592:                              ;   in Loop: Header=BB4_548 Depth=2
	s_waitcnt lgkmcnt(0)
	s_waitcnt_vscnt null, 0x0
	buffer_gl1_inv
	buffer_gl0_inv
	s_barrier
.LBB4_593:                              ;   in Loop: Header=BB4_548 Depth=2
	s_or_b32 exec_lo, exec_lo, s17
.LBB4_594:                              ;   in Loop: Header=BB4_548 Depth=2
	s_delay_alu instid0(SALU_CYCLE_1) | instskip(SKIP_1) | instid1(SALU_CYCLE_1)
	s_or_b32 exec_lo, exec_lo, s13
                                        ; implicit-def: $vgpr3
	s_and_saveexec_b32 s13, s6
	s_xor_b32 s17, exec_lo, s13
	s_cbranch_execz .LBB4_599
; %bb.595:                              ;   in Loop: Header=BB4_548 Depth=2
	s_cbranch_execnz .LBB4_1252
; %bb.596:                              ;   in Loop: Header=BB4_548 Depth=2
	ds_load_b32 v3, v0
	v_cmp_lt_i32_e32 vcc_lo, 0, v2
	s_waitcnt lgkmcnt(0)
	v_readfirstlane_b32 s13, v3
	v_and_b32_e32 v3, 16, v30
	s_delay_alu instid0(VALU_DEP_2) | instskip(NEXT) | instid1(VALU_DEP_1)
	s_cmp_eq_u32 s13, 0
	v_cmp_ne_u32_e64 s13, 0, v3
	s_cselect_b32 s28, -1, 0
	v_and_b32_e32 v3, 16, v30
	s_and_b32 s28, vcc_lo, s28
	s_delay_alu instid0(VALU_DEP_2) | instid1(SALU_CYCLE_1)
	s_and_b32 s28, s13, s28
	s_delay_alu instid0(SALU_CYCLE_1)
	s_and_saveexec_b32 s13, s28
	s_cbranch_execz .LBB4_598
; %bb.597:                              ;   in Loop: Header=BB4_548 Depth=2
	v_mov_b32_e32 v3, 1
	s_waitcnt_vscnt null, 0x0
	buffer_gl1_inv
	buffer_gl0_inv
.LBB4_598:                              ;   in Loop: Header=BB4_548 Depth=2
	s_or_b32 exec_lo, exec_lo, s13
.LBB4_599:                              ;   in Loop: Header=BB4_548 Depth=2
	s_and_not1_saveexec_b32 s13, s17
	s_cbranch_execz .LBB4_621
; %bb.600:                              ;   in Loop: Header=BB4_548 Depth=2
	s_and_saveexec_b32 s17, s3
	s_delay_alu instid0(SALU_CYCLE_1)
	s_xor_b32 s17, exec_lo, s17
	s_cbranch_execz .LBB4_618
; %bb.601:                              ;   in Loop: Header=BB4_548 Depth=2
	s_and_saveexec_b32 s28, s1
	s_cbranch_execz .LBB4_617
; %bb.602:                              ;   in Loop: Header=BB4_548 Depth=2
	s_mov_b32 vcc_hi, exec_lo
	s_mov_b32 s29, exec_lo
	v_mbcnt_lo_u32_b32 v3, vcc_hi, 0
	;;#ASMSTART
	s_waitcnt lgkmcnt(0) vmcnt(0)
	;;#ASMEND
	s_delay_alu instid0(VALU_DEP_1)
	v_cmpx_eq_u32_e32 0, v3
	s_cbranch_execz .LBB4_604
; %bb.603:                              ;   in Loop: Header=BB4_548 Depth=2
	s_bcnt1_i32_b32 vcc_lo, vcc_hi
	s_delay_alu instid0(SALU_CYCLE_1)
	v_mov_b32_e32 v36, vcc_lo
	ds_add_u64 v0, v[36:37]
	s_cbranch_execnz .LBB4_1349
.LBB4_604:                              ;   in Loop: Header=BB4_548 Depth=2
	s_or_b32 exec_lo, exec_lo, s29
	s_cbranch_execnz .LBB4_1327
; %bb.605:                              ;   in Loop: Header=BB4_548 Depth=2
	ds_load_b64 v[3:4], v0
	v_add_co_u32 v32, vcc_lo, v32, v82
	v_add_co_ci_u32_e32 v33, vcc_lo, 0, v33, vcc_lo
	s_mov_b32 s29, exec_lo
	s_waitcnt lgkmcnt(0)
	s_delay_alu instid0(VALU_DEP_1)
	v_cmpx_lt_u64_e64 v[3:4], v[32:33]
	s_cbranch_execz .LBB4_616
; %bb.606:                              ;   in Loop: Header=BB4_548 Depth=2
	s_mov_b32 vcc_hi, 0
	s_mov_b32 s34, 0
                                        ; implicit-def: $sgpr30
                                        ; implicit-def: $sgpr31
	s_branch .LBB4_608
.LBB4_607:                              ;   in Loop: Header=BB4_608 Depth=3
	s_or_b32 exec_lo, exec_lo, s36
	s_delay_alu instid0(SALU_CYCLE_1) | instskip(NEXT) | instid1(SALU_CYCLE_1)
	s_and_b32 vcc_lo, exec_lo, vcc_lo
	s_or_b32 vcc_hi, vcc_lo, vcc_hi
	s_and_not1_b32 vcc_lo, s30, exec_lo
	s_and_b32 s30, s31, exec_lo
	s_delay_alu instid0(SALU_CYCLE_1)
	s_or_b32 s30, vcc_lo, s30
	s_and_not1_b32 exec_lo, exec_lo, vcc_hi
	s_cbranch_execz .LBB4_614
.LBB4_608:                              ;   Parent Loop BB4_93 Depth=1
                                        ;     Parent Loop BB4_548 Depth=2
                                        ; =>    This Inner Loop Header: Depth=3
	s_add_i32 s34, s34, 1
                                        ; implicit-def: $sgpr36
	s_delay_alu instid0(SALU_CYCLE_1) | instskip(SKIP_1) | instid1(SALU_CYCLE_1)
	s_cmpk_lg_i32 s34, 0x2710
	s_cselect_b32 s35, -1, 0
	s_and_b32 vcc_lo, exec_lo, s35
	s_cbranch_vccz .LBB4_612
.LBB4_609:                              ;   in Loop: Header=BB4_608 Depth=3
	s_and_not1_b32 s31, s31, exec_lo
	s_and_b32 s36, s36, exec_lo
	s_mov_b32 vcc_lo, -1
	s_or_b32 s31, s31, s36
	s_and_saveexec_b32 s36, s35
	s_cbranch_execz .LBB4_607
; %bb.610:                              ;   in Loop: Header=BB4_608 Depth=3
	s_sleep 1
	s_cbranch_execnz .LBB4_1399
; %bb.611:                              ;   in Loop: Header=BB4_608 Depth=3
	ds_load_b64 v[3:4], v0
	s_and_not1_b32 s31, s31, exec_lo
	s_waitcnt lgkmcnt(0)
	v_cmp_ge_u64_e32 vcc_lo, v[3:4], v[32:33]
	s_or_not1_b32 vcc_lo, vcc_lo, exec_lo
	s_branch .LBB4_607
.LBB4_612:                              ;   in Loop: Header=BB4_608 Depth=3
	s_cbranch_execnz .LBB4_1417
; %bb.613:                              ;   in Loop: Header=BB4_608 Depth=3
	ds_load_b64 v[3:4], v0
	s_and_not1_b32 s35, s35, exec_lo
	s_mov_b32 s34, 0
	s_mov_b32 s36, -1
	s_waitcnt lgkmcnt(0)
	s_waitcnt_vscnt null, 0x0
	flat_load_b32 v3, v[3:4] glc
	s_waitcnt vmcnt(0) lgkmcnt(0)
	buffer_gl1_inv
	buffer_gl0_inv
	v_cmp_eq_u32_e32 vcc_lo, 0, v3
	s_and_b32 vcc_lo, vcc_lo, exec_lo
	s_delay_alu instid0(SALU_CYCLE_1)
	s_or_b32 s35, s35, vcc_lo
	s_branch .LBB4_609
.LBB4_614:                              ;   in Loop: Header=BB4_548 Depth=2
	s_or_b32 exec_lo, exec_lo, vcc_hi
	s_and_saveexec_b32 vcc_lo, s30
	s_delay_alu instid0(SALU_CYCLE_1)
	s_xor_b32 vcc_lo, exec_lo, vcc_lo
	s_cbranch_execz .LBB4_616
; %bb.615:                              ;   in Loop: Header=BB4_548 Depth=2
	ds_store_b32 v0, v118
	s_cbranch_execnz .LBB4_1578
.LBB4_616:                              ;   in Loop: Header=BB4_548 Depth=2
	s_or_b32 exec_lo, exec_lo, s29
	;;#ASMSTART
	s_wakeup
	;;#ASMEND
.LBB4_617:                              ;   in Loop: Header=BB4_548 Depth=2
	s_or_b32 exec_lo, exec_lo, s28
.LBB4_618:                              ;   in Loop: Header=BB4_548 Depth=2
	s_and_not1_saveexec_b32 s17, s17
	s_cbranch_execz .LBB4_620
; %bb.619:                              ;   in Loop: Header=BB4_548 Depth=2
	;;#ASMSTART
	s_waitcnt lgkmcnt(0) vmcnt(0)
	;;#ASMEND
	s_waitcnt lgkmcnt(0)
	s_waitcnt_vscnt null, 0x0
	s_barrier
.LBB4_620:                              ;   in Loop: Header=BB4_548 Depth=2
	s_or_b32 exec_lo, exec_lo, s17
	v_and_b32_e32 v3, 16, v30
.LBB4_621:                              ;   in Loop: Header=BB4_548 Depth=2
	s_or_b32 exec_lo, exec_lo, s13
	s_delay_alu instid0(SALU_CYCLE_1) | instskip(NEXT) | instid1(VALU_DEP_1)
	s_mov_b32 s13, exec_lo
	v_cmpx_ne_u32_e32 0, v3
	s_cbranch_execz .LBB4_625
; %bb.622:                              ;   in Loop: Header=BB4_548 Depth=2
	s_and_saveexec_b32 s17, s10
	s_cbranch_execz .LBB4_624
; %bb.623:                              ;   in Loop: Header=BB4_548 Depth=2
	s_waitcnt lgkmcnt(0)
	s_waitcnt_vscnt null, 0x0
	flat_store_b32 v[28:29], v118
.LBB4_624:                              ;   in Loop: Header=BB4_548 Depth=2
	s_or_b32 exec_lo, exec_lo, s17
	v_add_co_u32 v14, vcc_lo, v14, 2
	v_add_co_ci_u32_e32 v15, vcc_lo, 0, v15, vcc_lo
	s_waitcnt lgkmcnt(0)
	s_waitcnt_vscnt null, 0x0
	flat_store_b64 v[24:25], v[14:15]
.LBB4_625:                              ;   in Loop: Header=BB4_548 Depth=2
	s_or_b32 exec_lo, exec_lo, s13
	v_add_nc_u32_e32 v5, v2, v5
	s_mov_b32 s13, 0
	s_and_not1_b32 exec_lo, exec_lo, s16
	s_cbranch_execnz .LBB4_548
; %bb.626:                              ;   in Loop: Header=BB4_93 Depth=1
	s_or_b32 exec_lo, exec_lo, s16
.LBB4_627:                              ;   in Loop: Header=BB4_93 Depth=1
	s_delay_alu instid0(SALU_CYCLE_1)
	s_or_b32 exec_lo, exec_lo, s14
.LBB4_628:                              ;   in Loop: Header=BB4_93 Depth=1
	s_delay_alu instid0(SALU_CYCLE_1) | instskip(NEXT) | instid1(SALU_CYCLE_1)
	s_or_b32 exec_lo, exec_lo, s15
	s_and_not1_b32 vcc_lo, exec_lo, s24
	s_cbranch_vccnz .LBB4_929
; %bb.629:                              ;   in Loop: Header=BB4_93 Depth=1
	s_mov_b32 s28, 1
.LBB4_630:                              ;   Parent Loop BB4_93 Depth=1
                                        ; =>  This Loop Header: Depth=2
                                        ;       Child Loop BB4_632 Depth 3
                                        ;         Child Loop BB4_641 Depth 4
                                        ;         Child Loop BB4_673 Depth 4
                                        ;         Child Loop BB4_696 Depth 4
                                        ;         Child Loop BB4_721 Depth 4
                                        ;           Child Loop BB4_722 Depth 5
                                        ;         Child Loop BB4_729 Depth 4
                                        ;           Child Loop BB4_730 Depth 5
                                        ;         Child Loop BB4_741 Depth 4
                                        ;         Child Loop BB4_747 Depth 4
                                        ;           Child Loop BB4_748 Depth 5
                                        ;         Child Loop BB4_762 Depth 4
                                        ;         Child Loop BB4_768 Depth 4
	;; [unrolled: 1-line block ×6, first 2 shown]
                                        ;       Child Loop BB4_843 Depth 3
                                        ;         Child Loop BB4_849 Depth 4
                                        ;         Child Loop BB4_881 Depth 4
	;; [unrolled: 1-line block ×3, first 2 shown]
	v_dual_mov_b32 v2, 0 :: v_dual_mov_b32 v129, 0
	v_mov_b32_e32 v54, v128
	s_mov_b32 vcc_hi, 0
	s_and_saveexec_b32 s29, s12
	s_cbranch_execz .LBB4_841
; %bb.631:                              ;   in Loop: Header=BB4_630 Depth=2
	s_sub_i32 s14, s18, s28
	v_dual_mov_b32 v129, 0 :: v_dual_mov_b32 v54, v128
	s_ashr_i32 s15, s14, 31
	s_mov_b32 s16, -1
	s_lshl_b64 s[14:15], s[14:15], 2
	s_delay_alu instid0(SALU_CYCLE_1)
	v_add_co_u32 v2, vcc_lo, v18, s14
	v_add_co_ci_u32_e32 v3, vcc_lo, s15, v19, vcc_lo
	s_mov_b32 s15, 1
	flat_load_b32 v2, v[2:3]
	s_waitcnt vmcnt(0) lgkmcnt(0)
	v_ashrrev_i32_e32 v3, 31, v2
	v_mul_lo_u32 v4, v69, v2
	v_mad_u64_u32 v[64:65], null, v68, v2, v[52:53]
	s_delay_alu instid0(VALU_DEP_3) | instskip(NEXT) | instid1(VALU_DEP_1)
	v_mul_lo_u32 v2, v68, v3
	v_add3_u32 v65, v4, v65, v2
.LBB4_632:                              ;   Parent Loop BB4_93 Depth=1
                                        ;     Parent Loop BB4_630 Depth=2
                                        ; =>    This Loop Header: Depth=3
                                        ;         Child Loop BB4_641 Depth 4
                                        ;         Child Loop BB4_673 Depth 4
	;; [unrolled: 1-line block ×4, first 2 shown]
                                        ;           Child Loop BB4_722 Depth 5
                                        ;         Child Loop BB4_729 Depth 4
                                        ;           Child Loop BB4_730 Depth 5
                                        ;         Child Loop BB4_741 Depth 4
                                        ;         Child Loop BB4_747 Depth 4
                                        ;           Child Loop BB4_748 Depth 5
                                        ;         Child Loop BB4_762 Depth 4
                                        ;         Child Loop BB4_768 Depth 4
	;; [unrolled: 1-line block ×6, first 2 shown]
	s_and_saveexec_b32 s14, s0
	s_cbranch_execz .LBB4_635
; %bb.633:                              ;   in Loop: Header=BB4_632 Depth=3
	s_cbranch_execnz .LBB4_1240
; %bb.634:                              ;   in Loop: Header=BB4_632 Depth=3
	ds_load_b128 v[2:5], v0
	v_ashrrev_i32_e32 v36, 31, v129
	s_waitcnt lgkmcnt(0)
	v_add_co_u32 v55, vcc_lo, v4, v64
	v_add_co_ci_u32_e32 v66, vcc_lo, v5, v65, vcc_lo
	v_add_co_u32 v2, vcc_lo, v2, v64
	v_add_co_ci_u32_e32 v3, vcc_lo, v3, v65, vcc_lo
	s_delay_alu instid0(VALU_DEP_4) | instskip(NEXT) | instid1(VALU_DEP_4)
	v_add_co_u32 v55, vcc_lo, v55, v129
	v_add_co_ci_u32_e32 v66, vcc_lo, v66, v36, vcc_lo
	v_cmp_ne_u64_e32 vcc_lo, 0, v[4:5]
	v_add_co_u32 v2, s13, v2, v129
	s_delay_alu instid0(VALU_DEP_1) | instskip(NEXT) | instid1(VALU_DEP_4)
	v_add_co_ci_u32_e64 v3, s13, v3, v36, s13
	v_dual_cndmask_b32 v5, 0, v66 :: v_dual_cndmask_b32 v4, 0, v55
	ds_store_b64 v0, v[2:3]
	ds_store_b64 v0, v[4:5]
.LBB4_635:                              ;   in Loop: Header=BB4_632 Depth=3
	s_or_b32 exec_lo, exec_lo, s14
	v_and_b32_e32 v2, 12, v30
	s_mov_b32 s17, -1
	s_mov_b32 s13, exec_lo
	s_delay_alu instid0(VALU_DEP_1)
	v_cmpx_ne_u32_e32 0, v2
	s_cbranch_execz .LBB4_649
; %bb.636:                              ;   in Loop: Header=BB4_632 Depth=3
	v_dual_mov_b32 v5, 1 :: v_dual_and_b32 v4, 8, v30
	s_mov_b32 s14, s15
	s_mov_b32 s15, s16
	s_mov_b32 s16, exec_lo
	s_delay_alu instid0(VALU_DEP_1) | instskip(SKIP_3) | instid1(VALU_DEP_1)
	v_add_co_u32 v66, vcc_lo, v34, v4
	v_add_co_ci_u32_e32 v67, vcc_lo, 0, v35, vcc_lo
	v_add_co_u32 v2, vcc_lo, v14, 2
	v_add_co_ci_u32_e32 v3, vcc_lo, 0, v15, vcc_lo
	v_cmpx_lt_u64_e64 v[66:67], v[2:3]
	s_cbranch_execz .LBB4_648
; %bb.637:                              ;   in Loop: Header=BB4_632 Depth=3
	v_mov_b32_e32 v5, 0
	s_mov_b32 s17, 0
                                        ; implicit-def: $sgpr30
	s_branch .LBB4_641
.LBB4_638:                              ;   in Loop: Header=BB4_641 Depth=4
	s_or_b32 exec_lo, exec_lo, s36
	v_mov_b32_e32 v36, 0
	s_or_not1_b32 s35, s35, exec_lo
.LBB4_639:                              ;   in Loop: Header=BB4_641 Depth=4
	s_or_b32 exec_lo, exec_lo, s34
	s_delay_alu instid0(VALU_DEP_1) | instskip(SKIP_2) | instid1(SALU_CYCLE_1)
	v_mov_b32_e32 v5, v36
	s_and_not1_b32 vcc_lo, s30, exec_lo
	s_and_b32 s30, s35, exec_lo
	s_or_b32 s30, vcc_lo, s30
.LBB4_640:                              ;   in Loop: Header=BB4_641 Depth=4
	s_or_b32 exec_lo, exec_lo, s31
	s_waitcnt vmcnt(0) lgkmcnt(0)
	v_add_co_u32 v66, vcc_lo, v34, v4
	v_add_co_ci_u32_e32 v67, vcc_lo, 0, v35, vcc_lo
	s_xor_b32 s31, s30, -1
	s_delay_alu instid0(VALU_DEP_1) | instskip(SKIP_1) | instid1(SALU_CYCLE_1)
	v_cmp_ge_u64_e32 vcc_lo, v[66:67], v[2:3]
	s_or_b32 vcc_lo, s31, vcc_lo
	s_and_b32 vcc_lo, exec_lo, vcc_lo
	s_delay_alu instid0(SALU_CYCLE_1) | instskip(NEXT) | instid1(SALU_CYCLE_1)
	s_or_b32 s17, vcc_lo, s17
	s_and_not1_b32 exec_lo, exec_lo, s17
	s_cbranch_execz .LBB4_647
.LBB4_641:                              ;   Parent Loop BB4_93 Depth=1
                                        ;     Parent Loop BB4_630 Depth=2
                                        ;       Parent Loop BB4_632 Depth=3
                                        ; =>      This Inner Loop Header: Depth=4
	s_sleep 1
	flat_load_b64 v[34:35], v[24:25] glc
	v_and_b32_e32 v36, 64, v30
	s_and_not1_b32 s30, s30, exec_lo
	s_mov_b32 s31, exec_lo
	s_delay_alu instid0(VALU_DEP_1)
	v_cmpx_eq_u32_e32 0, v36
	s_cbranch_execz .LBB4_640
; %bb.642:                              ;   in Loop: Header=BB4_641 Depth=4
	v_add_nc_u32_e32 v36, 1, v5
	s_mov_b32 s35, -1
	s_mov_b32 s34, exec_lo
	v_cmpx_lt_i32_e32 0x270e, v5
	s_cbranch_execz .LBB4_639
; %bb.643:                              ;   in Loop: Header=BB4_641 Depth=4
	s_cbranch_execnz .LBB4_1266
; %bb.644:                              ;   in Loop: Header=BB4_641 Depth=4
	ds_load_b64 v[66:67], v0
	s_mov_b32 s36, exec_lo
	s_waitcnt vmcnt(0) lgkmcnt(0)
	s_waitcnt_vscnt null, 0x0
	flat_load_b32 v5, v[66:67] glc
	s_waitcnt vmcnt(0) lgkmcnt(0)
	buffer_gl1_inv
	buffer_gl0_inv
	v_cmpx_ne_u32_e32 0, v5
	s_cbranch_execz .LBB4_638
; %bb.645:                              ;   in Loop: Header=BB4_641 Depth=4
	ds_store_b32 v0, v5
	s_cbranch_execnz .LBB4_1319
; %bb.646:                              ;   in Loop: Header=BB4_641 Depth=4
	v_or_b32_e32 v30, 64, v30
	s_xor_b32 s35, exec_lo, -1
	s_branch .LBB4_638
.LBB4_647:                              ;   in Loop: Header=BB4_632 Depth=3
	s_or_b32 exec_lo, exec_lo, s17
	v_and_b32_e32 v5, 12, v30
.LBB4_648:                              ;   in Loop: Header=BB4_632 Depth=3
	s_or_b32 exec_lo, exec_lo, s16
	s_delay_alu instid0(VALU_DEP_1)
	v_cmp_eq_u32_e32 vcc_lo, 0, v5
	s_mov_b32 s16, s15
	s_mov_b32 s15, s14
	;;#ASMSTART
	s_wakeup
	;;#ASMEND
	s_or_not1_b32 s17, vcc_lo, exec_lo
.LBB4_649:                              ;   in Loop: Header=BB4_632 Depth=3
	s_or_b32 exec_lo, exec_lo, s13
	v_sub_nc_u32_e32 v2, v119, v129
	s_xor_b32 s13, s17, -1
	s_delay_alu instid0(VALU_DEP_1)
	v_min_i32_e32 v54, v54, v2
	s_and_saveexec_b32 s14, s13
	s_cbranch_execz .LBB4_664
; %bb.650:                              ;   in Loop: Header=BB4_632 Depth=3
	v_and_b32_e32 v2, 0x108, v30
	s_mov_b32 s13, exec_lo
	s_delay_alu instid0(VALU_DEP_1)
	v_cmpx_ne_u32_e32 0x108, v2
	s_xor_b32 s13, exec_lo, s13
                                        ; implicit-def: $vgpr2_vgpr3
; %bb.651:                              ;   in Loop: Header=BB4_632 Depth=3
	v_and_b32_e32 v2, 7, v14
; %bb.652:                              ;   in Loop: Header=BB4_632 Depth=3
	s_and_not1_saveexec_b32 s13, s13
	s_cbranch_execz .LBB4_654
; %bb.653:                              ;   in Loop: Header=BB4_632 Depth=3
	v_and_b32_e32 v2, 7, v14
	v_ashrrev_i32_e32 v55, 31, v54
	s_delay_alu instid0(VALU_DEP_2)
	v_mad_u64_u32 v[3:4], null, v2, 24, v[12:13]
	flat_store_b64 v[3:4], v[54:55] offset:8
.LBB4_654:                              ;   in Loop: Header=BB4_632 Depth=3
	s_or_b32 exec_lo, exec_lo, s13
	v_and_b32_e32 v3, 0x100, v30
	s_mov_b32 s13, -1
	s_delay_alu instid0(VALU_DEP_1)
	v_cmp_ne_u32_e32 vcc_lo, 0, v3
                                        ; implicit-def: $vgpr3_vgpr4
	s_and_saveexec_b32 s17, vcc_lo
	s_cbranch_execnz .LBB4_657
; %bb.655:                              ;   in Loop: Header=BB4_632 Depth=3
	s_or_b32 exec_lo, exec_lo, s17
	s_and_saveexec_b32 s17, s13
	s_cbranch_execnz .LBB4_660
.LBB4_656:                              ;   in Loop: Header=BB4_632 Depth=3
	s_or_b32 exec_lo, exec_lo, s17
	s_cbranch_execnz .LBB4_1262
	s_branch .LBB4_661
.LBB4_657:                              ;   in Loop: Header=BB4_632 Depth=3
	v_mad_u64_u32 v[66:67], null, v2, 24, v[12:13]
	s_delay_alu instid0(VALU_DEP_1) | instskip(NEXT) | instid1(VALU_DEP_1)
	v_mov_b32_e32 v3, v67
	v_mad_u64_u32 v[4:5], null, v37, 24, v[3:4]
	s_delay_alu instid0(VALU_DEP_1) | instskip(SKIP_4) | instid1(VALU_DEP_1)
	v_mov_b32_e32 v67, v4
	flat_load_b32 v3, v[66:67]
	s_waitcnt vmcnt(0) lgkmcnt(0)
	v_cmp_ne_u32_e32 vcc_lo, 1, v3
	v_cmp_eq_u32_e64 s13, 1, v3
                                        ; implicit-def: $vgpr3_vgpr4
	s_and_saveexec_b32 s30, s13
	s_cbranch_execz .LBB4_659
; %bb.658:                              ;   in Loop: Header=BB4_632 Depth=3
	flat_load_b32 v3, v[66:67] offset:4 glc
	s_waitcnt vmcnt(0) lgkmcnt(0)
	v_ashrrev_i32_e32 v4, 31, v3
.LBB4_659:                              ;   in Loop: Header=BB4_632 Depth=3
	s_or_b32 exec_lo, exec_lo, s30
	s_delay_alu instid0(SALU_CYCLE_1)
	s_or_not1_b32 s13, vcc_lo, exec_lo
	s_or_b32 exec_lo, exec_lo, s17
	s_and_saveexec_b32 s17, s13
	s_cbranch_execz .LBB4_656
.LBB4_660:                              ;   in Loop: Header=BB4_632 Depth=3
	v_mul_lo_u32 v5, v37, v70
	v_mul_lo_u32 v36, v2, v81
	v_mad_u64_u32 v[3:4], null, v2, v70, 0
	s_delay_alu instid0(VALU_DEP_1)
	v_add3_u32 v4, v4, v36, v5
	s_or_b32 exec_lo, exec_lo, s17
	s_cbranch_execnz .LBB4_1262
.LBB4_661:                              ;   in Loop: Header=BB4_632 Depth=3
	s_delay_alu instid0(VALU_DEP_2)
	v_add_co_u32 v2, vcc_lo, v26, v3
	v_and_b32_e32 v5, 0x2000, v30
	v_add_co_ci_u32_e32 v3, vcc_lo, v27, v4, vcc_lo
	s_mov_b32 s13, exec_lo
	ds_store_b64 v0, v[2:3]
	v_cmpx_ne_u32_e32 0, v5
	s_cbranch_execz .LBB4_663
; %bb.662:                              ;   in Loop: Header=BB4_632 Depth=3
	ds_load_b64 v[2:3], v0 offset:584
	s_waitcnt lgkmcnt(0)
	v_add_co_u32 v2, vcc_lo, v2, 1
	v_add_co_ci_u32_e32 v3, vcc_lo, 0, v3, vcc_lo
	ds_store_b64 v0, v[2:3] offset:584
.LBB4_663:                              ;   in Loop: Header=BB4_632 Depth=3
	s_or_b32 exec_lo, exec_lo, s13
	v_add_co_u32 v14, vcc_lo, v14, 2
	v_add_co_ci_u32_e32 v15, vcc_lo, 0, v15, vcc_lo
.LBB4_664:                              ;   in Loop: Header=BB4_632 Depth=3
	v_writelane_b32 v42, s16, 2
	v_writelane_b32 v42, s15, 3
	s_or_b32 exec_lo, exec_lo, s14
	s_and_saveexec_b32 s13, s2
	s_cbranch_execz .LBB4_686
; %bb.665:                              ;   in Loop: Header=BB4_632 Depth=3
	s_and_saveexec_b32 s14, s3
	s_delay_alu instid0(SALU_CYCLE_1)
	s_xor_b32 s14, exec_lo, s14
	s_cbranch_execz .LBB4_683
; %bb.666:                              ;   in Loop: Header=BB4_632 Depth=3
	s_and_saveexec_b32 s15, s1
	s_cbranch_execz .LBB4_682
; %bb.667:                              ;   in Loop: Header=BB4_632 Depth=3
	s_mov_b32 s17, exec_lo
	s_mov_b32 s16, exec_lo
	v_mbcnt_lo_u32_b32 v2, s17, 0
	s_waitcnt lgkmcnt(0)
	s_waitcnt_vscnt null, 0x0
	buffer_gl1_inv
	buffer_gl0_inv
	v_cmpx_eq_u32_e32 0, v2
	s_cbranch_execz .LBB4_669
; %bb.668:                              ;   in Loop: Header=BB4_632 Depth=3
	s_bcnt1_i32_b32 s17, s17
	s_delay_alu instid0(SALU_CYCLE_1)
	v_mov_b32_e32 v36, s17
	ds_add_u64 v0, v[36:37]
	s_cbranch_execnz .LBB4_1365
.LBB4_669:                              ;   in Loop: Header=BB4_632 Depth=3
	s_or_b32 exec_lo, exec_lo, s16
	s_cbranch_execnz .LBB4_1343
; %bb.670:                              ;   in Loop: Header=BB4_632 Depth=3
	ds_load_b64 v[2:3], v0
	v_add_co_u32 v32, vcc_lo, v32, v82
	v_add_co_ci_u32_e32 v33, vcc_lo, 0, v33, vcc_lo
	s_mov_b32 s16, exec_lo
	s_waitcnt lgkmcnt(0)
	s_delay_alu instid0(VALU_DEP_1)
	v_cmpx_lt_u64_e64 v[2:3], v[32:33]
	s_cbranch_execz .LBB4_681
; %bb.671:                              ;   in Loop: Header=BB4_632 Depth=3
	s_mov_b32 s17, 0
	s_mov_b32 s34, 0
                                        ; implicit-def: $sgpr30
                                        ; implicit-def: $sgpr31
	s_branch .LBB4_673
.LBB4_672:                              ;   in Loop: Header=BB4_673 Depth=4
	s_or_b32 exec_lo, exec_lo, s36
	s_delay_alu instid0(SALU_CYCLE_1) | instskip(NEXT) | instid1(SALU_CYCLE_1)
	s_and_b32 vcc_lo, exec_lo, vcc_lo
	s_or_b32 s17, vcc_lo, s17
	s_and_not1_b32 vcc_lo, s30, exec_lo
	s_and_b32 s30, s31, exec_lo
	s_delay_alu instid0(SALU_CYCLE_1)
	s_or_b32 s30, vcc_lo, s30
	s_and_not1_b32 exec_lo, exec_lo, s17
	s_cbranch_execz .LBB4_679
.LBB4_673:                              ;   Parent Loop BB4_93 Depth=1
                                        ;     Parent Loop BB4_630 Depth=2
                                        ;       Parent Loop BB4_632 Depth=3
                                        ; =>      This Inner Loop Header: Depth=4
	s_add_i32 s34, s34, 1
                                        ; implicit-def: $sgpr36
	s_delay_alu instid0(SALU_CYCLE_1) | instskip(SKIP_1) | instid1(SALU_CYCLE_1)
	s_cmpk_lg_i32 s34, 0x2710
	s_cselect_b32 s35, -1, 0
	s_and_b32 vcc_lo, exec_lo, s35
	s_cbranch_vccz .LBB4_677
.LBB4_674:                              ;   in Loop: Header=BB4_673 Depth=4
	s_and_not1_b32 s31, s31, exec_lo
	s_and_b32 s36, s36, exec_lo
	s_mov_b32 vcc_lo, -1
	s_or_b32 s31, s31, s36
	s_and_saveexec_b32 s36, s35
	s_cbranch_execz .LBB4_672
; %bb.675:                              ;   in Loop: Header=BB4_673 Depth=4
	s_sleep 1
	s_cbranch_execnz .LBB4_1419
; %bb.676:                              ;   in Loop: Header=BB4_673 Depth=4
	ds_load_b64 v[2:3], v0
	s_and_not1_b32 s31, s31, exec_lo
	s_waitcnt lgkmcnt(0)
	v_cmp_ge_u64_e32 vcc_lo, v[2:3], v[32:33]
	s_or_not1_b32 vcc_lo, vcc_lo, exec_lo
	s_branch .LBB4_672
.LBB4_677:                              ;   in Loop: Header=BB4_673 Depth=4
	s_cbranch_execnz .LBB4_1443
; %bb.678:                              ;   in Loop: Header=BB4_673 Depth=4
	ds_load_b64 v[2:3], v0
	s_and_not1_b32 s35, s35, exec_lo
	s_mov_b32 s34, 0
	s_mov_b32 s36, -1
	s_waitcnt lgkmcnt(0)
	flat_load_b32 v2, v[2:3] glc
	s_waitcnt vmcnt(0) lgkmcnt(0)
	buffer_gl1_inv
	buffer_gl0_inv
	v_cmp_eq_u32_e32 vcc_lo, 0, v2
	s_and_b32 vcc_lo, vcc_lo, exec_lo
	s_delay_alu instid0(SALU_CYCLE_1)
	s_or_b32 s35, s35, vcc_lo
	s_branch .LBB4_674
.LBB4_679:                              ;   in Loop: Header=BB4_632 Depth=3
	s_or_b32 exec_lo, exec_lo, s17
	s_and_saveexec_b32 s17, s30
	s_delay_alu instid0(SALU_CYCLE_1)
	s_xor_b32 s17, exec_lo, s17
	s_cbranch_execz .LBB4_681
; %bb.680:                              ;   in Loop: Header=BB4_632 Depth=3
	ds_store_b32 v0, v118
	s_cbranch_execnz .LBB4_1586
.LBB4_681:                              ;   in Loop: Header=BB4_632 Depth=3
	s_or_b32 exec_lo, exec_lo, s16
	;;#ASMSTART
	s_wakeup
	;;#ASMEND
.LBB4_682:                              ;   in Loop: Header=BB4_632 Depth=3
	s_or_b32 exec_lo, exec_lo, s15
.LBB4_683:                              ;   in Loop: Header=BB4_632 Depth=3
	s_and_not1_saveexec_b32 s14, s14
	s_cbranch_execz .LBB4_685
; %bb.684:                              ;   in Loop: Header=BB4_632 Depth=3
	s_waitcnt lgkmcnt(0)
	s_waitcnt_vscnt null, 0x0
	buffer_gl1_inv
	buffer_gl0_inv
	s_barrier
.LBB4_685:                              ;   in Loop: Header=BB4_632 Depth=3
	s_or_b32 exec_lo, exec_lo, s14
.LBB4_686:                              ;   in Loop: Header=BB4_632 Depth=3
	s_delay_alu instid0(SALU_CYCLE_1)
	s_or_b32 exec_lo, exec_lo, s13
	s_cbranch_execnz .LBB4_1248
; %bb.687:                              ;   in Loop: Header=BB4_632 Depth=3
	ds_load_b32 v2, v0
	v_and_b32_e32 v3, 0x4000, v30
	s_delay_alu instid0(VALU_DEP_1) | instskip(SKIP_1) | instid1(SALU_CYCLE_1)
	v_cmp_ne_u32_e32 vcc_lo, 0, v3
	s_and_b32 s14, s27, vcc_lo
	s_and_saveexec_b32 s13, s14
	s_cbranch_execz .LBB4_709
; %bb.688:                              ;   in Loop: Header=BB4_632 Depth=3
	s_and_saveexec_b32 s14, s3
	s_delay_alu instid0(SALU_CYCLE_1)
	s_xor_b32 s14, exec_lo, s14
	s_cbranch_execz .LBB4_706
; %bb.689:                              ;   in Loop: Header=BB4_632 Depth=3
	s_and_saveexec_b32 s15, s1
	s_cbranch_execz .LBB4_705
; %bb.690:                              ;   in Loop: Header=BB4_632 Depth=3
	s_mov_b32 s17, exec_lo
	s_mov_b32 s16, exec_lo
	v_mbcnt_lo_u32_b32 v3, s17, 0
	s_waitcnt lgkmcnt(0)
	s_waitcnt_vscnt null, 0x0
	buffer_gl1_inv
	buffer_gl0_inv
	v_cmpx_eq_u32_e32 0, v3
	s_cbranch_execz .LBB4_692
; %bb.691:                              ;   in Loop: Header=BB4_632 Depth=3
	s_bcnt1_i32_b32 s17, s17
	s_delay_alu instid0(SALU_CYCLE_1)
	v_mov_b32_e32 v36, s17
	ds_add_u64 v0, v[36:37]
	s_cbranch_execnz .LBB4_1411
.LBB4_692:                              ;   in Loop: Header=BB4_632 Depth=3
	s_or_b32 exec_lo, exec_lo, s16
	s_cbranch_execnz .LBB4_1385
; %bb.693:                              ;   in Loop: Header=BB4_632 Depth=3
	ds_load_b64 v[3:4], v0
	v_add_co_u32 v32, vcc_lo, v32, v82
	v_add_co_ci_u32_e32 v33, vcc_lo, 0, v33, vcc_lo
	s_mov_b32 s16, exec_lo
	s_waitcnt lgkmcnt(0)
	s_delay_alu instid0(VALU_DEP_1)
	v_cmpx_lt_u64_e64 v[3:4], v[32:33]
	s_cbranch_execz .LBB4_704
; %bb.694:                              ;   in Loop: Header=BB4_632 Depth=3
	s_mov_b32 s17, 0
	s_mov_b32 s34, 0
                                        ; implicit-def: $sgpr30
                                        ; implicit-def: $sgpr31
	s_branch .LBB4_696
.LBB4_695:                              ;   in Loop: Header=BB4_696 Depth=4
	s_or_b32 exec_lo, exec_lo, s36
	s_delay_alu instid0(SALU_CYCLE_1) | instskip(NEXT) | instid1(SALU_CYCLE_1)
	s_and_b32 vcc_lo, exec_lo, vcc_lo
	s_or_b32 s17, vcc_lo, s17
	s_and_not1_b32 vcc_lo, s30, exec_lo
	s_and_b32 s30, s31, exec_lo
	s_delay_alu instid0(SALU_CYCLE_1)
	s_or_b32 s30, vcc_lo, s30
	s_and_not1_b32 exec_lo, exec_lo, s17
	s_cbranch_execz .LBB4_702
.LBB4_696:                              ;   Parent Loop BB4_93 Depth=1
                                        ;     Parent Loop BB4_630 Depth=2
                                        ;       Parent Loop BB4_632 Depth=3
                                        ; =>      This Inner Loop Header: Depth=4
	s_add_i32 s34, s34, 1
                                        ; implicit-def: $sgpr36
	s_delay_alu instid0(SALU_CYCLE_1) | instskip(SKIP_1) | instid1(SALU_CYCLE_1)
	s_cmpk_lg_i32 s34, 0x2710
	s_cselect_b32 s35, -1, 0
	s_and_b32 vcc_lo, exec_lo, s35
	s_cbranch_vccz .LBB4_700
.LBB4_697:                              ;   in Loop: Header=BB4_696 Depth=4
	s_and_not1_b32 s31, s31, exec_lo
	s_and_b32 s36, s36, exec_lo
	s_mov_b32 vcc_lo, -1
	s_or_b32 s31, s31, s36
	s_and_saveexec_b32 s36, s35
	s_cbranch_execz .LBB4_695
; %bb.698:                              ;   in Loop: Header=BB4_696 Depth=4
	s_sleep 1
	s_cbranch_execnz .LBB4_1492
; %bb.699:                              ;   in Loop: Header=BB4_696 Depth=4
	ds_load_b64 v[3:4], v0
	s_and_not1_b32 s31, s31, exec_lo
	s_waitcnt lgkmcnt(0)
	v_cmp_ge_u64_e32 vcc_lo, v[3:4], v[32:33]
	s_or_not1_b32 vcc_lo, vcc_lo, exec_lo
	s_branch .LBB4_695
.LBB4_700:                              ;   in Loop: Header=BB4_696 Depth=4
	s_cbranch_execnz .LBB4_1500
; %bb.701:                              ;   in Loop: Header=BB4_696 Depth=4
	ds_load_b64 v[3:4], v0
	s_and_not1_b32 s35, s35, exec_lo
	s_mov_b32 s34, 0
	s_mov_b32 s36, -1
	s_waitcnt lgkmcnt(0)
	flat_load_b32 v3, v[3:4] glc
	s_waitcnt vmcnt(0) lgkmcnt(0)
	buffer_gl1_inv
	buffer_gl0_inv
	v_cmp_eq_u32_e32 vcc_lo, 0, v3
	s_and_b32 vcc_lo, vcc_lo, exec_lo
	s_delay_alu instid0(SALU_CYCLE_1)
	s_or_b32 s35, s35, vcc_lo
	s_branch .LBB4_697
.LBB4_702:                              ;   in Loop: Header=BB4_632 Depth=3
	s_or_b32 exec_lo, exec_lo, s17
	s_and_saveexec_b32 s17, s30
	s_delay_alu instid0(SALU_CYCLE_1)
	s_xor_b32 s17, exec_lo, s17
	s_cbranch_execz .LBB4_704
; %bb.703:                              ;   in Loop: Header=BB4_632 Depth=3
	ds_store_b32 v0, v118
	s_cbranch_execnz .LBB4_1598
.LBB4_704:                              ;   in Loop: Header=BB4_632 Depth=3
	s_or_b32 exec_lo, exec_lo, s16
	;;#ASMSTART
	s_wakeup
	;;#ASMEND
.LBB4_705:                              ;   in Loop: Header=BB4_632 Depth=3
	s_or_b32 exec_lo, exec_lo, s15
.LBB4_706:                              ;   in Loop: Header=BB4_632 Depth=3
	s_and_not1_saveexec_b32 s14, s14
	s_cbranch_execz .LBB4_708
; %bb.707:                              ;   in Loop: Header=BB4_632 Depth=3
	s_waitcnt lgkmcnt(0)
	s_waitcnt_vscnt null, 0x0
	buffer_gl1_inv
	buffer_gl0_inv
	s_barrier
.LBB4_708:                              ;   in Loop: Header=BB4_632 Depth=3
	s_or_b32 exec_lo, exec_lo, s14
.LBB4_709:                              ;   in Loop: Header=BB4_632 Depth=3
	s_delay_alu instid0(SALU_CYCLE_1)
	s_or_b32 exec_lo, exec_lo, s13
	s_cbranch_execnz .LBB4_1287
; %bb.710:                              ;   in Loop: Header=BB4_632 Depth=3
	ds_load_b64 v[3:4], v0
	v_mov_b32_e32 v55, 0
	s_waitcnt lgkmcnt(0)
	v_cmp_eq_u64_e32 vcc_lo, 0, v[3:4]
	s_or_b32 s13, vcc_lo, vcc_lo
	s_delay_alu instid0(SALU_CYCLE_1)
	s_and_b32 vcc_lo, exec_lo, s13
	s_cbranch_vccnz .LBB4_787
; %bb.711:                              ;   in Loop: Header=BB4_632 Depth=3
	v_cmp_eq_u32_e32 vcc_lo, 0, v2
	s_cbranch_execnz .LBB4_1339
; %bb.712:                              ;   in Loop: Header=BB4_632 Depth=3
	ds_load_b64 v[2:3], v0
	v_cndmask_b32_e32 v55, 0, v54, vcc_lo
	s_waitcnt lgkmcnt(0)
	v_cmp_ne_u64_e64 s13, 0, v[2:3]
	s_delay_alu instid0(VALU_DEP_1)
	s_and_b32 vcc_lo, exec_lo, s13
	s_cbranch_vccz .LBB4_752
; %bb.713:                              ;   in Loop: Header=BB4_632 Depth=3
	s_mov_b32 s13, -1
	s_and_saveexec_b32 s14, s11
	s_cbranch_execz .LBB4_715
; %bb.714:                              ;   in Loop: Header=BB4_632 Depth=3
	ds_load_b32 v2, v0 offset:720
	s_waitcnt lgkmcnt(0)
	v_and_b32_e32 v2, 15, v2
	s_delay_alu instid0(VALU_DEP_1)
	v_cmp_eq_u32_e32 vcc_lo, 0, v2
	s_or_not1_b32 s13, vcc_lo, exec_lo
.LBB4_715:                              ;   in Loop: Header=BB4_632 Depth=3
	s_or_b32 exec_lo, exec_lo, s14
	s_and_saveexec_b32 s14, s5
	s_cbranch_execz .LBB4_717
; %bb.716:                              ;   in Loop: Header=BB4_632 Depth=3
	ds_load_b32 v2, v0 offset:784
	s_waitcnt lgkmcnt(0)
	v_and_b32_e32 v2, 15, v2
	s_delay_alu instid0(VALU_DEP_1) | instskip(SKIP_3) | instid1(SALU_CYCLE_1)
	v_cmp_eq_u32_e32 vcc_lo, 0, v2
	s_and_b32 s15, s13, vcc_lo
	s_and_not1_b32 s13, s13, exec_lo
	s_and_b32 s15, s15, exec_lo
	s_or_b32 s13, s13, s15
.LBB4_717:                              ;   in Loop: Header=BB4_632 Depth=3
	s_or_b32 exec_lo, exec_lo, s14
	s_xor_b32 s13, s13, -1
	v_dual_mov_b32 v36, 0 :: v_dual_mov_b32 v131, v0
	v_cndmask_b32_e64 v2, 0, 1, s13
	;;#ASMSTART
	;;#ASMEND
	s_delay_alu instid0(VALU_DEP_1)
	v_cmp_ne_u32_e32 vcc_lo, 0, v2
	v_mov_b32_e32 v130, v55
	v_mov_b32_e32 v2, v96
	s_mov_b32 s14, -1
	s_cbranch_vccnz .LBB4_737
; %bb.718:                              ;   in Loop: Header=BB4_632 Depth=3
	v_ashrrev_i32_e32 v2, 31, v55
	v_sub_nc_u32_e32 v36, v55, v83
	s_mov_b32 s16, exec_lo
	s_delay_alu instid0(VALU_DEP_2) | instskip(NEXT) | instid1(VALU_DEP_1)
	v_lshrrev_b32_e32 v2, 23, v2
	v_add_nc_u32_e32 v2, v55, v2
	s_delay_alu instid0(VALU_DEP_1) | instskip(SKIP_1) | instid1(VALU_DEP_2)
	v_and_b32_e32 v133, 0xfffffe00, v2
	v_ashrrev_i32_e32 v2, 9, v2
	v_sub_nc_u32_e32 v135, v55, v133
	s_delay_alu instid0(VALU_DEP_1) | instskip(NEXT) | instid1(VALU_DEP_1)
	v_cmp_lt_i32_e64 s13, 15, v135
	v_add_co_ci_u32_e64 v134, vcc_lo, v2, v99, s13
	v_cmpx_lt_i32_e32 15, v36
	s_cbranch_execz .LBB4_725
; %bb.719:                              ;   in Loop: Header=BB4_632 Depth=3
	s_cbranch_execnz .LBB4_1526
; %bb.720:                              ;   in Loop: Header=BB4_632 Depth=3
	ds_load_b64 v[66:67], v0
	ds_load_b128 v[2:5], v0
	s_mov_b32 s17, 0
	s_waitcnt lgkmcnt(1)
	v_add_co_u32 v66, vcc_lo, v66, v83
	v_add_co_ci_u32_e32 v67, vcc_lo, v67, v86, vcc_lo
	s_waitcnt lgkmcnt(0)
	v_add_co_u32 v130, vcc_lo, v2, v83
	v_add_co_ci_u32_e32 v131, vcc_lo, v3, v86, vcc_lo
	v_add_co_u32 v132, vcc_lo, v4, v83
	v_add_co_ci_u32_e32 v144, vcc_lo, v5, v86, vcc_lo
.LBB4_721:                              ;   Parent Loop BB4_93 Depth=1
                                        ;     Parent Loop BB4_630 Depth=2
                                        ;       Parent Loop BB4_632 Depth=3
                                        ; =>      This Loop Header: Depth=4
                                        ;           Child Loop BB4_722 Depth 5
	global_load_b128 v[2:5], v[66:67], off slc dlc
	s_mov_b64 s[14:15], 0
	s_mov_b32 s30, -1
.LBB4_722:                              ;   Parent Loop BB4_93 Depth=1
                                        ;     Parent Loop BB4_630 Depth=2
                                        ;       Parent Loop BB4_632 Depth=3
                                        ;         Parent Loop BB4_721 Depth=4
                                        ; =>        This Inner Loop Header: Depth=5
	s_cmp_eq_u32 s14, 0
	v_cndmask_b32_e64 v147, 0, 1, s30
	s_cselect_b32 vcc_lo, -1, 0
	s_cmp_eq_u32 s14, 1
	s_mov_b32 s30, 0
	s_cselect_b32 s14, -1, 0
	s_delay_alu instid0(SALU_CYCLE_1) | instskip(SKIP_1) | instid1(VALU_DEP_2)
	v_cndmask_b32_e64 v145, v130, v132, s14
	v_cndmask_b32_e64 v146, v131, v144, s14
	v_add_co_u32 v148, s15, 0x200, v145
	s_delay_alu instid0(VALU_DEP_1) | instskip(SKIP_1) | instid1(VALU_DEP_3)
	v_add_co_ci_u32_e64 v149, s15, 0, v146, s15
	v_cmp_ne_u32_e64 s15, 1, v147
	v_cndmask_b32_e64 v132, v132, v148, s14
	v_cndmask_b32_e32 v130, v130, v148, vcc_lo
	s_delay_alu instid0(VALU_DEP_4)
	v_cndmask_b32_e64 v144, v144, v149, s14
	v_cndmask_b32_e32 v131, v131, v149, vcc_lo
	s_and_b32 vcc_lo, exec_lo, s15
	s_mov_b64 s[14:15], 1
	s_waitcnt vmcnt(0)
	global_store_b128 v[145:146], v[2:5], off glc slc dlc
	s_cbranch_vccz .LBB4_722
; %bb.723:                              ;   in Loop: Header=BB4_721 Depth=4
	v_add_co_u32 v130, vcc_lo, v130, v87
	v_sub_nc_u32_e32 v36, v36, v85
	v_add_co_ci_u32_e32 v131, vcc_lo, v131, v98, vcc_lo
	v_add_co_u32 v132, vcc_lo, v132, v87
	v_add_co_ci_u32_e32 v144, vcc_lo, v144, v98, vcc_lo
	s_delay_alu instid0(VALU_DEP_4) | instskip(SKIP_1) | instid1(VALU_DEP_1)
	v_cmp_gt_i32_e32 vcc_lo, 16, v36
	v_add_co_u32 v66, s14, v100, v66
	v_add_co_ci_u32_e64 v67, s14, v101, v67, s14
	v_sub_nc_u32_e32 v134, v134, v82
	s_or_b32 s17, vcc_lo, s17
	s_delay_alu instid0(SALU_CYCLE_1)
	s_and_not1_b32 exec_lo, exec_lo, s17
	s_cbranch_execnz .LBB4_721
; %bb.724:                              ;   in Loop: Header=BB4_632 Depth=3
	s_or_b32 exec_lo, exec_lo, s17
.LBB4_725:                              ;   in Loop: Header=BB4_632 Depth=3
	s_delay_alu instid0(SALU_CYCLE_1) | instskip(SKIP_3) | instid1(VALU_DEP_1)
	s_or_b32 exec_lo, exec_lo, s16
	v_dual_mov_b32 v36, 0 :: v_dual_and_b32 v3, 15, v55
	s_mov_b32 s14, 0
	s_mov_b32 s30, exec_lo
                                        ; implicit-def: $vgpr130
                                        ; implicit-def: $vgpr131
                                        ; implicit-def: $vgpr2
	v_cndmask_b32_e64 v132, v135, v3, s13
	s_delay_alu instid0(VALU_DEP_1)
	v_cmpx_ne_u32_e32 0, v132
	s_cbranch_execz .LBB4_736
; %bb.726:                              ;   in Loop: Header=BB4_632 Depth=3
	v_cmp_lt_i32_e32 vcc_lo, 0, v134
	v_ashrrev_i32_e32 v5, 31, v132
	v_sub_nc_u32_e32 v3, v135, v3
	s_mov_b32 s31, exec_lo
	s_delay_alu instid0(VALU_DEP_2) | instskip(SKIP_1) | instid1(VALU_DEP_3)
	v_lshrrev_b32_e32 v5, 23, v5
	v_cndmask_b32_e32 v2, 0, v82, vcc_lo
	v_cndmask_b32_e64 v3, 0, v3, s13
	s_delay_alu instid0(VALU_DEP_3) | instskip(NEXT) | instid1(VALU_DEP_3)
	v_add_nc_u32_e32 v5, v132, v5
	v_sub_nc_u32_e32 v2, v2, v134
	s_delay_alu instid0(VALU_DEP_3) | instskip(NEXT) | instid1(VALU_DEP_3)
	v_add_nc_u32_e32 v133, v3, v133
	v_and_b32_e32 v134, 0xfffffe00, v5
	s_delay_alu instid0(VALU_DEP_3) | instskip(SKIP_1) | instid1(VALU_DEP_3)
	v_lshl_add_u32 v2, v2, 5, v97
	v_ashrrev_i32_e32 v5, 9, v5
	v_sub_nc_u32_e32 v135, v132, v134
	s_delay_alu instid0(VALU_DEP_3) | instskip(NEXT) | instid1(VALU_DEP_2)
	v_ashrrev_i32_e32 v4, 31, v2
	v_cmp_lt_i32_e64 s13, 15, v135
	s_delay_alu instid0(VALU_DEP_2) | instskip(NEXT) | instid1(VALU_DEP_2)
	v_lshrrev_b32_e32 v4, 27, v4
	v_add_co_ci_u32_e64 v5, vcc_lo, 0, v5, s13
	s_delay_alu instid0(VALU_DEP_2) | instskip(NEXT) | instid1(VALU_DEP_1)
	v_add_nc_u32_e32 v4, v2, v4
	v_and_b32_e32 v36, 0xffffffe0, v4
	v_ashrrev_i32_e32 v4, 5, v4
	s_delay_alu instid0(VALU_DEP_2) | instskip(NEXT) | instid1(VALU_DEP_2)
	v_sub_nc_u32_e32 v144, v2, v36
	v_sub_nc_u32_e32 v145, v5, v4
	s_delay_alu instid0(VALU_DEP_2) | instskip(NEXT) | instid1(VALU_DEP_1)
	v_lshlrev_b32_e32 v2, 4, v144
	v_lshl_add_u32 v2, v4, 9, v2
	s_delay_alu instid0(VALU_DEP_1) | instskip(NEXT) | instid1(VALU_DEP_1)
	v_sub_nc_u32_e32 v36, v132, v2
	v_cmpx_lt_i32_e32 15, v36
	s_cbranch_execz .LBB4_733
; %bb.727:                              ;   in Loop: Header=BB4_632 Depth=3
	s_cbranch_execnz .LBB4_1562
; %bb.728:                              ;   in Loop: Header=BB4_632 Depth=3
	ds_load_b64 v[3:4], v0
	ds_load_b128 v[146:149], v0
	v_add_nc_u32_e32 v2, v2, v133
	s_mov_b32 s34, 0
	s_delay_alu instid0(VALU_DEP_1) | instskip(SKIP_2) | instid1(VALU_DEP_2)
	v_ashrrev_i32_e32 v5, 31, v2
	s_waitcnt lgkmcnt(1)
	v_add_co_u32 v66, vcc_lo, v3, v2
	v_add_co_ci_u32_e32 v67, vcc_lo, v4, v5, vcc_lo
	s_waitcnt lgkmcnt(0)
	v_add_co_u32 v130, vcc_lo, v146, v2
	v_add_co_ci_u32_e32 v131, vcc_lo, v147, v5, vcc_lo
	v_add_co_u32 v146, vcc_lo, v148, v2
	v_add_co_ci_u32_e32 v147, vcc_lo, v149, v5, vcc_lo
.LBB4_729:                              ;   Parent Loop BB4_93 Depth=1
                                        ;     Parent Loop BB4_630 Depth=2
                                        ;       Parent Loop BB4_632 Depth=3
                                        ; =>      This Loop Header: Depth=4
                                        ;           Child Loop BB4_730 Depth 5
	global_load_b128 v[2:5], v[66:67], off slc dlc
	s_mov_b64 s[16:17], 0
	s_mov_b32 s14, -1
.LBB4_730:                              ;   Parent Loop BB4_93 Depth=1
                                        ;     Parent Loop BB4_630 Depth=2
                                        ;       Parent Loop BB4_632 Depth=3
                                        ;         Parent Loop BB4_729 Depth=4
                                        ; =>        This Inner Loop Header: Depth=5
	s_cmp_eq_u32 s16, 0
	v_cndmask_b32_e64 v148, 0, 1, s14
	s_cselect_b32 vcc_lo, -1, 0
	s_cmp_eq_u32 s16, 1
	s_cselect_b32 s14, -1, 0
	s_delay_alu instid0(VALU_DEP_1)
	v_cmp_ne_u32_e64 s15, 1, v148
	v_cndmask_b32_e64 v149, v131, v147, s14
	v_cndmask_b32_e64 v148, v130, v146, s14
	s_waitcnt vmcnt(0)
	global_store_b128 v[148:149], v[2:5], off glc slc dlc
	v_add_co_u32 v148, s16, 0x200, v148
	s_delay_alu instid0(VALU_DEP_1) | instskip(SKIP_1) | instid1(VALU_DEP_2)
	v_add_co_ci_u32_e64 v149, s16, 0, v149, s16
	s_mov_b64 s[16:17], 1
	v_cndmask_b32_e64 v146, v146, v148, s14
	v_cndmask_b32_e32 v130, v130, v148, vcc_lo
	s_delay_alu instid0(VALU_DEP_3)
	v_cndmask_b32_e64 v147, v147, v149, s14
	v_cndmask_b32_e32 v131, v131, v149, vcc_lo
	s_mov_b32 s14, 0
	s_and_b32 vcc_lo, exec_lo, s15
	s_cbranch_vccz .LBB4_730
; %bb.731:                              ;   in Loop: Header=BB4_729 Depth=4
	v_add_co_u32 v130, vcc_lo, v130, v87
	v_sub_nc_u32_e32 v36, v36, v85
	v_add_co_ci_u32_e32 v131, vcc_lo, v131, v98, vcc_lo
	v_add_co_u32 v146, vcc_lo, v146, v87
	v_add_co_ci_u32_e32 v147, vcc_lo, v147, v98, vcc_lo
	s_delay_alu instid0(VALU_DEP_4) | instskip(SKIP_1) | instid1(VALU_DEP_1)
	v_cmp_gt_i32_e32 vcc_lo, 16, v36
	v_add_co_u32 v66, s14, v100, v66
	v_add_co_ci_u32_e64 v67, s14, v101, v67, s14
	v_sub_nc_u32_e32 v145, v145, v82
	s_or_b32 s34, vcc_lo, s34
	s_delay_alu instid0(SALU_CYCLE_1)
	s_and_not1_b32 exec_lo, exec_lo, s34
	s_cbranch_execnz .LBB4_729
; %bb.732:                              ;   in Loop: Header=BB4_632 Depth=3
	s_or_b32 exec_lo, exec_lo, s34
.LBB4_733:                              ;   in Loop: Header=BB4_632 Depth=3
	s_delay_alu instid0(SALU_CYCLE_1) | instskip(SKIP_3) | instid1(VALU_DEP_1)
	s_or_b32 exec_lo, exec_lo, s31
	v_dual_mov_b32 v36, 0 :: v_dual_and_b32 v3, 15, v132
	s_mov_b32 s14, 0
	s_mov_b32 s15, exec_lo
                                        ; implicit-def: $vgpr131
                                        ; implicit-def: $vgpr2
	v_cndmask_b32_e64 v130, v135, v3, s13
	s_delay_alu instid0(VALU_DEP_1)
	v_cmpx_ne_u32_e32 0, v130
	s_cbranch_execz .LBB4_735
; %bb.734:                              ;   in Loop: Header=BB4_632 Depth=3
	v_cmp_lt_i32_e32 vcc_lo, 0, v145
	v_sub_nc_u32_e32 v3, v135, v3
	s_mov_b32 s14, exec_lo
	v_cndmask_b32_e32 v2, 0, v82, vcc_lo
	s_delay_alu instid0(VALU_DEP_2) | instskip(NEXT) | instid1(VALU_DEP_2)
	v_cndmask_b32_e64 v3, 0, v3, s13
	v_sub_nc_u32_e32 v2, v2, v145
	s_delay_alu instid0(VALU_DEP_2) | instskip(NEXT) | instid1(VALU_DEP_2)
	v_add3_u32 v36, v134, v133, v3
	v_lshl_add_u32 v131, v2, 5, v144
	s_delay_alu instid0(VALU_DEP_1) | instskip(NEXT) | instid1(VALU_DEP_1)
	v_ashrrev_i32_e32 v2, 31, v131
	v_lshrrev_b32_e32 v2, 27, v2
	s_delay_alu instid0(VALU_DEP_1) | instskip(NEXT) | instid1(VALU_DEP_1)
	v_add_nc_u32_e32 v2, v131, v2
	v_ashrrev_i32_e32 v2, 5, v2
.LBB4_735:                              ;   in Loop: Header=BB4_632 Depth=3
	s_or_b32 exec_lo, exec_lo, s15
	s_delay_alu instid0(SALU_CYCLE_1)
	s_and_b32 s14, s14, exec_lo
.LBB4_736:                              ;   in Loop: Header=BB4_632 Depth=3
	s_or_b32 exec_lo, exec_lo, s30
.LBB4_737:                              ;   in Loop: Header=BB4_632 Depth=3
	s_and_saveexec_b32 s15, s14
	s_cbranch_execz .LBB4_751
; %bb.738:                              ;   in Loop: Header=BB4_632 Depth=3
	v_ashrrev_i32_e32 v3, 31, v130
	s_mov_b32 s13, exec_lo
	s_delay_alu instid0(VALU_DEP_1) | instskip(NEXT) | instid1(VALU_DEP_1)
	v_lshrrev_b32_e32 v3, 24, v3
	v_add_nc_u32_e32 v3, v130, v3
	s_delay_alu instid0(VALU_DEP_1) | instskip(NEXT) | instid1(VALU_DEP_1)
	v_ashrrev_i32_e32 v133, 8, v3
	v_sub_nc_u32_e32 v132, v133, v2
	s_delay_alu instid0(VALU_DEP_1)
	v_cmpx_lt_i32_e32 0, v132
	s_cbranch_execz .LBB4_743
; %bb.739:                              ;   in Loop: Header=BB4_632 Depth=3
	s_cbranch_execnz .LBB4_1518
; %bb.740:                              ;   in Loop: Header=BB4_632 Depth=3
	v_ashrrev_i32_e32 v3, 31, v131
	v_lshlrev_b32_e32 v2, 8, v2
	s_mov_b32 s14, 0
	ds_load_b128 v[144:147], v0
	v_lshrrev_b32_e32 v3, 27, v3
	s_delay_alu instid0(VALU_DEP_1) | instskip(SKIP_2) | instid1(VALU_DEP_1)
	v_add_nc_u32_e32 v5, v131, v3
	ds_load_b64 v[3:4], v0
	v_and_b32_e32 v5, 0xffffffe0, v5
	v_sub_nc_u32_e32 v5, v131, v5
	s_delay_alu instid0(VALU_DEP_1) | instskip(NEXT) | instid1(VALU_DEP_1)
	v_add3_u32 v66, v36, v5, v2
	v_ashrrev_i32_e32 v67, 31, v66
	s_waitcnt lgkmcnt(0)
	v_add_co_u32 v134, vcc_lo, 0xe0, v3
	v_add_co_ci_u32_e32 v135, vcc_lo, 0, v4, vcc_lo
	v_add_co_u32 v2, vcc_lo, v144, v66
	v_add_co_ci_u32_e32 v3, vcc_lo, v145, v67, vcc_lo
	;; [unrolled: 2-line block ×4, first 2 shown]
.LBB4_741:                              ;   Parent Loop BB4_93 Depth=1
                                        ;     Parent Loop BB4_630 Depth=2
                                        ;       Parent Loop BB4_632 Depth=3
                                        ; =>      This Inner Loop Header: Depth=4
	s_delay_alu instid0(VALU_DEP_2) | instskip(NEXT) | instid1(VALU_DEP_2)
	v_add_co_u32 v134, vcc_lo, 0xffffff20, v66
	v_add_co_ci_u32_e32 v135, vcc_lo, -1, v67, vcc_lo
	v_sub_nc_u32_e32 v132, v132, v82
	flat_load_u8 v144, v[134:135] slc dlc
	v_add_co_u32 v134, vcc_lo, 0xffffff40, v66
	v_add_co_ci_u32_e32 v135, vcc_lo, -1, v67, vcc_lo
	flat_load_u8 v145, v[134:135] slc dlc
	v_add_co_u32 v134, vcc_lo, 0xffffff60, v66
	v_add_co_ci_u32_e32 v135, vcc_lo, -1, v67, vcc_lo
	;; [unrolled: 3-line block ×6, first 2 shown]
	flat_load_u8 v134, v[134:135] slc dlc
	flat_load_u8 v135, v[66:67] slc dlc
	s_waitcnt vmcnt(7) lgkmcnt(7)
	flat_store_b8 v[2:3], v144 glc slc dlc
	s_waitcnt vmcnt(6) lgkmcnt(7)
	flat_store_b8 v[2:3], v145 offset:32 glc slc dlc
	s_waitcnt vmcnt(5) lgkmcnt(7)
	flat_store_b8 v[2:3], v146 offset:64 glc slc dlc
	;; [unrolled: 2-line block ×7, first 2 shown]
	s_clause 0x7
	flat_store_b8 v[4:5], v144 glc slc dlc
	flat_store_b8 v[4:5], v145 offset:32 glc slc dlc
	flat_store_b8 v[4:5], v146 offset:64 glc slc dlc
	;; [unrolled: 1-line block ×7, first 2 shown]
	v_add_co_u32 v2, vcc_lo, v2, v103
	v_add_co_ci_u32_e32 v3, vcc_lo, v3, v112, vcc_lo
	v_add_co_u32 v4, vcc_lo, v4, v103
	v_add_co_ci_u32_e32 v5, vcc_lo, v5, v112, vcc_lo
	;; [unrolled: 2-line block ×3, first 2 shown]
	v_cmp_gt_i32_e32 vcc_lo, 1, v132
	s_or_b32 s14, vcc_lo, s14
	s_delay_alu instid0(SALU_CYCLE_1)
	s_and_not1_b32 exec_lo, exec_lo, s14
	s_cbranch_execnz .LBB4_741
; %bb.742:                              ;   in Loop: Header=BB4_632 Depth=3
	s_or_b32 exec_lo, exec_lo, s14
.LBB4_743:                              ;   in Loop: Header=BB4_632 Depth=3
	s_delay_alu instid0(SALU_CYCLE_1) | instskip(SKIP_2) | instid1(VALU_DEP_1)
	s_or_b32 exec_lo, exec_lo, s13
	v_lshlrev_b32_e32 v2, 8, v133
	s_mov_b32 s30, exec_lo
	v_cmpx_ne_u32_e64 v130, v2
	s_cbranch_execz .LBB4_750
; %bb.744:                              ;   in Loop: Header=BB4_632 Depth=3
	v_ashrrev_i32_e32 v3, 31, v131
	v_lshlrev_b32_e32 v4, 5, v132
	s_delay_alu instid0(VALU_DEP_2) | instskip(NEXT) | instid1(VALU_DEP_1)
	v_lshrrev_b32_e32 v3, 27, v3
	v_add_nc_u32_e32 v3, v131, v3
	s_delay_alu instid0(VALU_DEP_1) | instskip(NEXT) | instid1(VALU_DEP_1)
	v_and_b32_e32 v3, 0xffffffe0, v3
	v_sub_nc_u32_e32 v3, v131, v3
	s_delay_alu instid0(VALU_DEP_1) | instskip(NEXT) | instid1(VALU_DEP_1)
	v_sub_nc_u32_e32 v3, v3, v4
	v_add_nc_u32_e32 v2, v2, v3
	s_delay_alu instid0(VALU_DEP_1) | instskip(NEXT) | instid1(VALU_DEP_1)
	v_sub_nc_u32_e32 v4, v130, v2
	v_cmp_lt_i32_e32 vcc_lo, 0, v4
	s_and_b32 exec_lo, exec_lo, vcc_lo
	s_cbranch_execz .LBB4_750
; %bb.745:                              ;   in Loop: Header=BB4_632 Depth=3
	s_cbranch_execnz .LBB4_1558
; %bb.746:                              ;   in Loop: Header=BB4_632 Depth=3
	ds_load_b64 v[66:67], v0
	ds_load_b128 v[130:133], v0
	v_add_nc_u32_e32 v134, v2, v36
	s_mov_b32 s31, 0
	s_delay_alu instid0(VALU_DEP_1) | instskip(SKIP_2) | instid1(VALU_DEP_2)
	v_ashrrev_i32_e32 v135, 31, v134
	s_waitcnt lgkmcnt(1)
	v_add_co_u32 v2, vcc_lo, v66, v134
	v_add_co_ci_u32_e32 v3, vcc_lo, v67, v135, vcc_lo
	s_waitcnt lgkmcnt(0)
	v_add_co_u32 v5, vcc_lo, v130, v134
	v_add_co_ci_u32_e32 v36, vcc_lo, v131, v135, vcc_lo
	v_add_co_u32 v66, vcc_lo, v132, v134
	v_add_co_ci_u32_e32 v67, vcc_lo, v133, v135, vcc_lo
	s_set_inst_prefetch_distance 0x1
.LBB4_747:                              ;   Parent Loop BB4_93 Depth=1
                                        ;     Parent Loop BB4_630 Depth=2
                                        ;       Parent Loop BB4_632 Depth=3
                                        ; =>      This Loop Header: Depth=4
                                        ;           Child Loop BB4_748 Depth 5
	flat_load_u8 v130, v[2:3] slc dlc
	s_mov_b64 s[16:17], 0
	s_mov_b32 s34, -1
.LBB4_748:                              ;   Parent Loop BB4_93 Depth=1
                                        ;     Parent Loop BB4_630 Depth=2
                                        ;       Parent Loop BB4_632 Depth=3
                                        ;         Parent Loop BB4_747 Depth=4
                                        ; =>        This Inner Loop Header: Depth=5
	s_cmp_eq_u32 s16, 1
	s_cselect_b32 vcc_lo, -1, 0
	s_cmp_eq_u32 s16, 0
	v_dual_cndmask_b32 v132, v36, v67 :: v_dual_cndmask_b32 v131, v5, v66
	s_mov_b64 s[16:17], 1
	s_delay_alu instid0(VALU_DEP_1) | instskip(NEXT) | instid1(VALU_DEP_1)
	v_add_co_u32 v133, s13, v131, 32
	v_add_co_ci_u32_e64 v134, s13, 0, v132, s13
	s_cselect_b32 s13, -1, 0
	s_and_b32 s14, exec_lo, s34
	s_delay_alu instid0(VALU_DEP_1)
	v_dual_cndmask_b32 v66, v66, v133 :: v_dual_cndmask_b32 v67, v67, v134
	v_cndmask_b32_e64 v36, v36, v134, s13
	v_cndmask_b32_e64 v5, v5, v133, s13
	s_mov_b32 s34, 0
	s_mov_b32 vcc_lo, s14
	s_waitcnt vmcnt(0) lgkmcnt(0)
	flat_store_b8 v[131:132], v130 glc slc dlc
	s_cbranch_vccnz .LBB4_748
; %bb.749:                              ;   in Loop: Header=BB4_747 Depth=4
	v_add_co_u32 v5, vcc_lo, v5, v102
	v_sub_nc_u32_e32 v4, v4, v84
	v_add_co_ci_u32_e32 v36, vcc_lo, v36, v113, vcc_lo
	v_add_co_u32 v66, vcc_lo, v66, v102
	v_add_co_ci_u32_e32 v67, vcc_lo, v67, v113, vcc_lo
	s_delay_alu instid0(VALU_DEP_4) | instskip(SKIP_1) | instid1(VALU_DEP_1)
	v_cmp_gt_i32_e32 vcc_lo, 1, v4
	v_add_co_u32 v2, s13, v114, v2
	v_add_co_ci_u32_e64 v3, s13, v115, v3, s13
	s_or_b32 s31, vcc_lo, s31
	s_delay_alu instid0(SALU_CYCLE_1)
	s_and_not1_b32 exec_lo, exec_lo, s31
	s_cbranch_execnz .LBB4_747
.LBB4_750:                              ;   in Loop: Header=BB4_632 Depth=3
	s_set_inst_prefetch_distance 0x2
	s_or_b32 exec_lo, exec_lo, s30
.LBB4_751:                              ;   in Loop: Header=BB4_632 Depth=3
	s_delay_alu instid0(SALU_CYCLE_1)
	s_or_b32 exec_lo, exec_lo, s15
	s_mov_b32 s13, 0
	s_branch .LBB4_753
.LBB4_752:                              ;   in Loop: Header=BB4_632 Depth=3
	s_mov_b32 s13, -1
.LBB4_753:                              ;   in Loop: Header=BB4_632 Depth=3
	s_delay_alu instid0(SALU_CYCLE_1)
	s_and_b32 vcc_lo, exec_lo, s13
	s_cbranch_vccz .LBB4_787
; %bb.754:                              ;   in Loop: Header=BB4_632 Depth=3
	s_mov_b32 s13, -1
	s_and_saveexec_b32 s14, s11
	s_cbranch_execz .LBB4_756
; %bb.755:                              ;   in Loop: Header=BB4_632 Depth=3
	ds_load_b32 v2, v0 offset:720
	s_waitcnt lgkmcnt(0)
	v_and_b32_e32 v2, 15, v2
	s_delay_alu instid0(VALU_DEP_1)
	v_cmp_eq_u32_e32 vcc_lo, 0, v2
	s_or_not1_b32 s13, vcc_lo, exec_lo
.LBB4_756:                              ;   in Loop: Header=BB4_632 Depth=3
	s_or_b32 exec_lo, exec_lo, s14
	s_and_saveexec_b32 s14, s4
	s_cbranch_execz .LBB4_758
; %bb.757:                              ;   in Loop: Header=BB4_632 Depth=3
	ds_load_b32 v2, v0 offset:784
	s_waitcnt lgkmcnt(0)
	v_and_b32_e32 v2, 15, v2
	s_delay_alu instid0(VALU_DEP_1) | instskip(SKIP_3) | instid1(SALU_CYCLE_1)
	v_cmp_eq_u32_e32 vcc_lo, 0, v2
	s_and_b32 s15, s13, vcc_lo
	s_and_not1_b32 s13, s13, exec_lo
	s_and_b32 s15, s15, exec_lo
	s_or_b32 s13, s13, s15
.LBB4_758:                              ;   in Loop: Header=BB4_632 Depth=3
	s_or_b32 exec_lo, exec_lo, s14
	s_xor_b32 s13, s13, -1
	v_dual_mov_b32 v36, 0 :: v_dual_mov_b32 v67, v0
	v_cndmask_b32_e64 v2, 0, 1, s13
	;;#ASMSTART
	;;#ASMEND
	s_delay_alu instid0(VALU_DEP_1)
	v_cmp_ne_u32_e32 vcc_lo, 0, v2
	v_mov_b32_e32 v66, v55
	v_mov_b32_e32 v132, v96
	s_mov_b32 s13, -1
	s_cbranch_vccnz .LBB4_774
; %bb.759:                              ;   in Loop: Header=BB4_632 Depth=3
	v_ashrrev_i32_e32 v2, 31, v55
	s_mov_b32 s14, exec_lo
	s_delay_alu instid0(VALU_DEP_1) | instskip(NEXT) | instid1(VALU_DEP_1)
	v_lshrrev_b32_e32 v2, 22, v2
	v_add_nc_u32_e32 v2, v55, v2
	s_delay_alu instid0(VALU_DEP_1) | instskip(NEXT) | instid1(VALU_DEP_1)
	v_ashrrev_i32_e32 v36, 10, v2
	v_sub_nc_u32_e32 v130, v36, v96
	s_delay_alu instid0(VALU_DEP_1)
	v_cmpx_lt_i32_e32 0, v130
	s_cbranch_execz .LBB4_764
; %bb.760:                              ;   in Loop: Header=BB4_632 Depth=3
	s_cbranch_execnz .LBB4_1544
; %bb.761:                              ;   in Loop: Header=BB4_632 Depth=3
	ds_load_b64 v[2:3], v0
	v_dual_mov_b32 v4, v48 :: v_dual_mov_b32 v5, v49
	s_mov_b32 s15, 0
.LBB4_762:                              ;   Parent Loop BB4_93 Depth=1
                                        ;     Parent Loop BB4_630 Depth=2
                                        ;       Parent Loop BB4_632 Depth=3
                                        ; =>      This Inner Loop Header: Depth=4
	s_waitcnt lgkmcnt(0)
	s_delay_alu instid0(VALU_DEP_1) | instskip(NEXT) | instid1(VALU_DEP_2)
	v_add_co_u32 v66, vcc_lo, v2, v4
	v_add_co_ci_u32_e32 v67, vcc_lo, v3, v5, vcc_lo
	v_sub_nc_u32_e32 v130, v130, v82
	v_add_co_u32 v4, s13, v4, v116
	s_clause 0x1
	global_load_b128 v[131:134], v[66:67], off slc dlc
	global_load_b128 v[144:147], v[66:67], off offset:512 slc dlc
	v_add_co_ci_u32_e64 v5, s13, v5, v117, s13
	v_cmp_gt_i32_e32 vcc_lo, 1, v130
	s_waitcnt vmcnt(1)
	global_store_b128 v[66:67], v[131:134], off glc slc dlc
	s_waitcnt vmcnt(0)
	global_store_b128 v[66:67], v[144:147], off offset:512 glc slc dlc
	s_or_b32 s15, vcc_lo, s15
	s_delay_alu instid0(SALU_CYCLE_1)
	s_and_not1_b32 exec_lo, exec_lo, s15
	s_cbranch_execnz .LBB4_762
; %bb.763:                              ;   in Loop: Header=BB4_632 Depth=3
	s_or_b32 exec_lo, exec_lo, s15
.LBB4_764:                              ;   in Loop: Header=BB4_632 Depth=3
	s_delay_alu instid0(SALU_CYCLE_1) | instskip(SKIP_4) | instid1(VALU_DEP_2)
	s_or_b32 exec_lo, exec_lo, s14
	v_lshlrev_b32_e32 v4, 10, v36
	v_mov_b32_e32 v36, 0
	s_mov_b32 s13, 0
	s_mov_b32 s15, exec_lo
                                        ; implicit-def: $vgpr66
                                        ; implicit-def: $vgpr67
                                        ; implicit-def: $vgpr132
	v_cmpx_ne_u32_e64 v55, v4
	s_cbranch_execz .LBB4_773
; %bb.765:                              ;   in Loop: Header=BB4_632 Depth=3
	v_lshlrev_b32_e32 v2, 5, v130
	v_sub_nc_u32_e32 v36, v55, v4
	s_mov_b32 s16, exec_lo
	s_delay_alu instid0(VALU_DEP_2) | instskip(NEXT) | instid1(VALU_DEP_2)
	v_sub_nc_u32_e32 v2, v97, v2
	v_ashrrev_i32_e32 v5, 31, v36
	s_delay_alu instid0(VALU_DEP_2) | instskip(NEXT) | instid1(VALU_DEP_2)
	v_ashrrev_i32_e32 v3, 31, v2
	v_lshrrev_b32_e32 v5, 23, v5
	s_delay_alu instid0(VALU_DEP_2) | instskip(NEXT) | instid1(VALU_DEP_2)
	v_lshrrev_b32_e32 v3, 27, v3
	v_add_nc_u32_e32 v67, v36, v5
	s_delay_alu instid0(VALU_DEP_2) | instskip(NEXT) | instid1(VALU_DEP_2)
	v_add_nc_u32_e32 v3, v2, v3
	v_and_b32_e32 v5, 0xfffffe00, v67
	v_ashrrev_i32_e32 v67, 9, v67
	s_delay_alu instid0(VALU_DEP_3) | instskip(NEXT) | instid1(VALU_DEP_3)
	v_and_b32_e32 v66, 0xffffffe0, v3
	v_sub_nc_u32_e32 v131, v36, v5
	s_delay_alu instid0(VALU_DEP_2) | instskip(SKIP_1) | instid1(VALU_DEP_3)
	v_sub_nc_u32_e32 v130, v2, v66
	v_ashrrev_i32_e32 v2, 5, v3
	v_cmp_lt_i32_e32 vcc_lo, 15, v131
	s_delay_alu instid0(VALU_DEP_3) | instskip(NEXT) | instid1(VALU_DEP_1)
	v_lshlrev_b32_e32 v3, 4, v130
	v_lshl_add_u32 v66, v2, 9, v3
	v_add_co_ci_u32_e64 v3, s13, 0, v67, vcc_lo
	s_delay_alu instid0(VALU_DEP_2) | instskip(NEXT) | instid1(VALU_DEP_2)
	v_sub_nc_u32_e32 v36, v36, v66
	v_sub_nc_u32_e32 v133, v3, v2
	s_delay_alu instid0(VALU_DEP_2)
	v_cmpx_lt_i32_e32 15, v36
	s_cbranch_execz .LBB4_770
; %bb.766:                              ;   in Loop: Header=BB4_632 Depth=3
	s_cbranch_execnz .LBB4_1570
; %bb.767:                              ;   in Loop: Header=BB4_632 Depth=3
	ds_load_b64 v[2:3], v0
	v_add_nc_u32_e32 v66, v66, v4
	s_mov_b32 s17, 0
	s_delay_alu instid0(VALU_DEP_1)
	v_ashrrev_i32_e32 v67, 31, v66
.LBB4_768:                              ;   Parent Loop BB4_93 Depth=1
                                        ;     Parent Loop BB4_630 Depth=2
                                        ;       Parent Loop BB4_632 Depth=3
                                        ; =>      This Inner Loop Header: Depth=4
	s_waitcnt lgkmcnt(0)
	v_add_co_u32 v134, s13, v2, v66
	s_delay_alu instid0(VALU_DEP_1)
	v_add_co_ci_u32_e64 v135, s13, v3, v67, s13
	v_sub_nc_u32_e32 v36, v36, v85
	v_add_co_u32 v66, s14, v66, v100
	global_load_b128 v[144:147], v[134:135], off slc dlc
	v_sub_nc_u32_e32 v133, v133, v82
	v_cmp_gt_i32_e64 s13, 16, v36
	v_add_co_ci_u32_e64 v67, s14, v67, v101, s14
	s_delay_alu instid0(VALU_DEP_2)
	s_or_b32 s17, s13, s17
	s_waitcnt vmcnt(0)
	global_store_b128 v[134:135], v[144:147], off glc slc dlc
	s_and_not1_b32 exec_lo, exec_lo, s17
	s_cbranch_execnz .LBB4_768
; %bb.769:                              ;   in Loop: Header=BB4_632 Depth=3
	s_or_b32 exec_lo, exec_lo, s17
.LBB4_770:                              ;   in Loop: Header=BB4_632 Depth=3
	s_delay_alu instid0(SALU_CYCLE_1) | instskip(SKIP_4) | instid1(VALU_DEP_2)
	s_or_b32 exec_lo, exec_lo, s16
	v_and_b32_e32 v2, 15, v55
	v_mov_b32_e32 v36, 0
	s_mov_b32 s14, 0
	s_mov_b32 s16, exec_lo
                                        ; implicit-def: $vgpr67
                                        ; implicit-def: $vgpr132
	v_cndmask_b32_e32 v66, v131, v2, vcc_lo
	s_delay_alu instid0(VALU_DEP_1)
	v_cmpx_ne_u32_e32 0, v66
; %bb.771:                              ;   in Loop: Header=BB4_632 Depth=3
	v_cmp_lt_i32_e64 s13, 0, v133
	v_sub_nc_u32_e32 v2, v131, v2
	s_mov_b32 s14, exec_lo
	s_delay_alu instid0(VALU_DEP_2) | instskip(NEXT) | instid1(VALU_DEP_1)
	v_cndmask_b32_e64 v3, 0, v82, s13
	v_sub_nc_u32_e32 v3, v3, v133
	s_delay_alu instid0(VALU_DEP_1) | instskip(NEXT) | instid1(VALU_DEP_1)
	v_lshl_add_u32 v67, v3, 5, v130
	v_ashrrev_i32_e32 v3, 31, v67
	s_delay_alu instid0(VALU_DEP_1) | instskip(NEXT) | instid1(VALU_DEP_1)
	v_lshrrev_b32_e32 v3, 27, v3
	v_dual_cndmask_b32 v2, 0, v2 :: v_dual_add_nc_u32 v3, v67, v3
	s_delay_alu instid0(VALU_DEP_1) | instskip(NEXT) | instid1(VALU_DEP_2)
	v_add3_u32 v36, v5, v4, v2
	v_ashrrev_i32_e32 v132, 5, v3
; %bb.772:                              ;   in Loop: Header=BB4_632 Depth=3
	s_or_b32 exec_lo, exec_lo, s16
	s_delay_alu instid0(SALU_CYCLE_1)
	s_and_b32 s13, s14, exec_lo
.LBB4_773:                              ;   in Loop: Header=BB4_632 Depth=3
	s_or_b32 exec_lo, exec_lo, s15
.LBB4_774:                              ;   in Loop: Header=BB4_632 Depth=3
	s_and_saveexec_b32 s14, s13
	s_cbranch_execz .LBB4_786
; %bb.775:                              ;   in Loop: Header=BB4_632 Depth=3
	v_ashrrev_i32_e32 v2, 31, v66
	s_mov_b32 s13, exec_lo
	s_delay_alu instid0(VALU_DEP_1) | instskip(NEXT) | instid1(VALU_DEP_1)
	v_lshrrev_b32_e32 v2, 24, v2
	v_add_nc_u32_e32 v2, v66, v2
	s_delay_alu instid0(VALU_DEP_1) | instskip(NEXT) | instid1(VALU_DEP_1)
	v_ashrrev_i32_e32 v131, 8, v2
	v_sub_nc_u32_e32 v130, v131, v132
	s_delay_alu instid0(VALU_DEP_1)
	v_cmpx_lt_i32_e32 0, v130
	s_cbranch_execz .LBB4_780
; %bb.776:                              ;   in Loop: Header=BB4_632 Depth=3
	s_cbranch_execnz .LBB4_1534
; %bb.777:                              ;   in Loop: Header=BB4_632 Depth=3
	v_ashrrev_i32_e32 v2, 31, v67
	s_mov_b32 s15, 0
	s_delay_alu instid0(VALU_DEP_1) | instskip(NEXT) | instid1(VALU_DEP_1)
	v_lshrrev_b32_e32 v2, 27, v2
	v_add_nc_u32_e32 v4, v67, v2
	ds_load_b64 v[2:3], v0
	v_lshlrev_b32_e32 v5, 8, v132
	v_and_b32_e32 v4, 0xffffffe0, v4
	s_delay_alu instid0(VALU_DEP_1) | instskip(NEXT) | instid1(VALU_DEP_1)
	v_sub_nc_u32_e32 v4, v67, v4
	v_add3_u32 v132, v36, v4, v5
	s_delay_alu instid0(VALU_DEP_1)
	v_ashrrev_i32_e32 v133, 31, v132
	s_waitcnt lgkmcnt(0)
	v_dual_mov_b32 v5, v3 :: v_dual_mov_b32 v4, v2
.LBB4_778:                              ;   Parent Loop BB4_93 Depth=1
                                        ;     Parent Loop BB4_630 Depth=2
                                        ;       Parent Loop BB4_632 Depth=3
                                        ; =>      This Inner Loop Header: Depth=4
	s_delay_alu instid0(VALU_DEP_1) | instskip(NEXT) | instid1(VALU_DEP_2)
	v_add_co_u32 v134, vcc_lo, v132, v4
	v_add_co_ci_u32_e32 v135, vcc_lo, v133, v5, vcc_lo
	v_sub_nc_u32_e32 v130, v130, v82
	s_clause 0x7
	flat_load_u8 v144, v[134:135] slc dlc
	flat_load_u8 v145, v[134:135] offset:32 slc dlc
	flat_load_u8 v146, v[134:135] offset:64 slc dlc
	;; [unrolled: 1-line block ×7, first 2 shown]
	v_add_co_u32 v134, vcc_lo, v132, v2
	v_add_co_ci_u32_e32 v135, vcc_lo, v133, v3, vcc_lo
	v_add_co_u32 v4, vcc_lo, v4, v103
	v_add_co_ci_u32_e32 v5, vcc_lo, v5, v112, vcc_lo
	v_add_co_u32 v2, vcc_lo, v2, v103
	v_add_co_ci_u32_e32 v3, vcc_lo, v3, v112, vcc_lo
	v_cmp_gt_i32_e32 vcc_lo, 1, v130
	s_waitcnt vmcnt(7) lgkmcnt(7)
	flat_store_b8 v[134:135], v144 glc slc dlc
	s_waitcnt vmcnt(6) lgkmcnt(7)
	flat_store_b8 v[134:135], v145 offset:32 glc slc dlc
	s_waitcnt vmcnt(5) lgkmcnt(7)
	flat_store_b8 v[134:135], v146 offset:64 glc slc dlc
	;; [unrolled: 2-line block ×7, first 2 shown]
	s_or_b32 s15, vcc_lo, s15
	s_delay_alu instid0(SALU_CYCLE_1)
	s_and_not1_b32 exec_lo, exec_lo, s15
	s_cbranch_execnz .LBB4_778
; %bb.779:                              ;   in Loop: Header=BB4_632 Depth=3
	s_or_b32 exec_lo, exec_lo, s15
.LBB4_780:                              ;   in Loop: Header=BB4_632 Depth=3
	s_delay_alu instid0(SALU_CYCLE_1) | instskip(SKIP_2) | instid1(VALU_DEP_1)
	s_or_b32 exec_lo, exec_lo, s13
	v_lshlrev_b32_e32 v2, 8, v131
	s_mov_b32 s15, exec_lo
	v_cmpx_ne_u32_e64 v66, v2
	s_cbranch_execz .LBB4_785
; %bb.781:                              ;   in Loop: Header=BB4_632 Depth=3
	v_ashrrev_i32_e32 v3, 31, v67
	v_lshlrev_b32_e32 v4, 5, v130
	s_delay_alu instid0(VALU_DEP_2) | instskip(NEXT) | instid1(VALU_DEP_1)
	v_lshrrev_b32_e32 v3, 27, v3
	v_add_nc_u32_e32 v3, v67, v3
	s_delay_alu instid0(VALU_DEP_1) | instskip(NEXT) | instid1(VALU_DEP_1)
	v_and_b32_e32 v3, 0xffffffe0, v3
	v_sub_nc_u32_e32 v3, v67, v3
	s_delay_alu instid0(VALU_DEP_1) | instskip(NEXT) | instid1(VALU_DEP_1)
	v_sub_nc_u32_e32 v3, v3, v4
	v_add_nc_u32_e32 v5, v2, v3
	s_delay_alu instid0(VALU_DEP_1) | instskip(NEXT) | instid1(VALU_DEP_1)
	v_sub_nc_u32_e32 v4, v66, v5
	v_cmp_lt_i32_e32 vcc_lo, 0, v4
	s_and_b32 exec_lo, exec_lo, vcc_lo
	s_cbranch_execz .LBB4_785
; %bb.782:                              ;   in Loop: Header=BB4_632 Depth=3
	s_cbranch_execnz .LBB4_1566
; %bb.783:                              ;   in Loop: Header=BB4_632 Depth=3
	ds_load_b64 v[2:3], v0
	v_add_nc_u32_e32 v5, v5, v36
	s_mov_b32 s16, 0
	s_delay_alu instid0(VALU_DEP_1)
	v_ashrrev_i32_e32 v36, 31, v5
.LBB4_784:                              ;   Parent Loop BB4_93 Depth=1
                                        ;     Parent Loop BB4_630 Depth=2
                                        ;       Parent Loop BB4_632 Depth=3
                                        ; =>      This Inner Loop Header: Depth=4
	s_waitcnt lgkmcnt(0)
	v_add_co_u32 v66, vcc_lo, v2, v5
	s_delay_alu instid0(VALU_DEP_2)
	v_add_co_ci_u32_e32 v67, vcc_lo, v3, v36, vcc_lo
	v_sub_nc_u32_e32 v4, v4, v84
	v_add_co_u32 v5, s13, v5, v114
	flat_load_u8 v130, v[66:67] slc dlc
	v_add_co_ci_u32_e64 v36, s13, v36, v115, s13
	v_cmp_gt_i32_e32 vcc_lo, 1, v4
	s_or_b32 s16, vcc_lo, s16
	s_waitcnt vmcnt(0) lgkmcnt(0)
	flat_store_b8 v[66:67], v130 glc slc dlc
	s_and_not1_b32 exec_lo, exec_lo, s16
	s_cbranch_execnz .LBB4_784
.LBB4_785:                              ;   in Loop: Header=BB4_632 Depth=3
	s_or_b32 exec_lo, exec_lo, s15
.LBB4_786:                              ;   in Loop: Header=BB4_632 Depth=3
	s_delay_alu instid0(SALU_CYCLE_1)
	s_or_b32 exec_lo, exec_lo, s14
.LBB4_787:                              ;   in Loop: Header=BB4_632 Depth=3
	s_and_saveexec_b32 s13, s2
	s_cbranch_execz .LBB4_809
; %bb.788:                              ;   in Loop: Header=BB4_632 Depth=3
	s_and_saveexec_b32 s14, s3
	s_delay_alu instid0(SALU_CYCLE_1)
	s_xor_b32 s14, exec_lo, s14
	s_cbranch_execz .LBB4_806
; %bb.789:                              ;   in Loop: Header=BB4_632 Depth=3
	s_and_saveexec_b32 s15, s1
	s_cbranch_execz .LBB4_805
; %bb.790:                              ;   in Loop: Header=BB4_632 Depth=3
	s_mov_b32 s17, exec_lo
	s_mov_b32 s16, exec_lo
	v_mbcnt_lo_u32_b32 v2, s17, 0
	s_waitcnt lgkmcnt(0)
	s_waitcnt_vscnt null, 0x0
	buffer_gl1_inv
	buffer_gl0_inv
	v_cmpx_eq_u32_e32 0, v2
	s_cbranch_execz .LBB4_792
; %bb.791:                              ;   in Loop: Header=BB4_632 Depth=3
	s_bcnt1_i32_b32 s17, s17
	s_delay_alu instid0(SALU_CYCLE_1)
	v_mov_b32_e32 v36, s17
	ds_add_u64 v0, v[36:37]
	s_cbranch_execnz .LBB4_1506
.LBB4_792:                              ;   in Loop: Header=BB4_632 Depth=3
	s_or_b32 exec_lo, exec_lo, s16
	s_cbranch_execnz .LBB4_1480
; %bb.793:                              ;   in Loop: Header=BB4_632 Depth=3
	ds_load_b64 v[2:3], v0
	v_add_co_u32 v32, vcc_lo, v32, v82
	v_add_co_ci_u32_e32 v33, vcc_lo, 0, v33, vcc_lo
	s_mov_b32 s16, exec_lo
	s_waitcnt lgkmcnt(0)
	s_delay_alu instid0(VALU_DEP_1)
	v_cmpx_lt_u64_e64 v[2:3], v[32:33]
	s_cbranch_execz .LBB4_804
; %bb.794:                              ;   in Loop: Header=BB4_632 Depth=3
	s_mov_b32 s17, 0
	s_mov_b32 s34, 0
                                        ; implicit-def: $sgpr30
                                        ; implicit-def: $sgpr31
	s_branch .LBB4_796
.LBB4_795:                              ;   in Loop: Header=BB4_796 Depth=4
	s_or_b32 exec_lo, exec_lo, s36
	s_delay_alu instid0(SALU_CYCLE_1) | instskip(NEXT) | instid1(SALU_CYCLE_1)
	s_and_b32 vcc_lo, exec_lo, vcc_lo
	s_or_b32 s17, vcc_lo, s17
	s_and_not1_b32 vcc_lo, s30, exec_lo
	s_and_b32 s30, s31, exec_lo
	s_delay_alu instid0(SALU_CYCLE_1)
	s_or_b32 s30, vcc_lo, s30
	s_and_not1_b32 exec_lo, exec_lo, s17
	s_cbranch_execz .LBB4_802
.LBB4_796:                              ;   Parent Loop BB4_93 Depth=1
                                        ;     Parent Loop BB4_630 Depth=2
                                        ;       Parent Loop BB4_632 Depth=3
                                        ; =>      This Inner Loop Header: Depth=4
	s_add_i32 s34, s34, 1
                                        ; implicit-def: $sgpr36
	s_delay_alu instid0(SALU_CYCLE_1) | instskip(SKIP_1) | instid1(SALU_CYCLE_1)
	s_cmpk_lg_i32 s34, 0x2710
	s_cselect_b32 s35, -1, 0
	s_and_b32 vcc_lo, exec_lo, s35
	s_cbranch_vccz .LBB4_800
.LBB4_797:                              ;   in Loop: Header=BB4_796 Depth=4
	s_and_not1_b32 s31, s31, exec_lo
	s_and_b32 s36, s36, exec_lo
	s_mov_b32 vcc_lo, -1
	s_or_b32 s31, s31, s36
	s_and_saveexec_b32 s36, s35
	s_cbranch_execz .LBB4_795
; %bb.798:                              ;   in Loop: Header=BB4_796 Depth=4
	s_sleep 1
	s_cbranch_execnz .LBB4_1550
; %bb.799:                              ;   in Loop: Header=BB4_796 Depth=4
	ds_load_b64 v[2:3], v0
	s_and_not1_b32 s31, s31, exec_lo
	s_waitcnt lgkmcnt(0)
	v_cmp_ge_u64_e32 vcc_lo, v[2:3], v[32:33]
	s_or_not1_b32 vcc_lo, vcc_lo, exec_lo
	s_branch .LBB4_795
.LBB4_800:                              ;   in Loop: Header=BB4_796 Depth=4
	s_cbranch_execnz .LBB4_1556
; %bb.801:                              ;   in Loop: Header=BB4_796 Depth=4
	ds_load_b64 v[2:3], v0
	s_and_not1_b32 s35, s35, exec_lo
	s_mov_b32 s34, 0
	s_mov_b32 s36, -1
	s_waitcnt lgkmcnt(0)
	flat_load_b32 v2, v[2:3] glc
	s_waitcnt vmcnt(0) lgkmcnt(0)
	buffer_gl1_inv
	buffer_gl0_inv
	v_cmp_eq_u32_e32 vcc_lo, 0, v2
	s_and_b32 vcc_lo, vcc_lo, exec_lo
	s_delay_alu instid0(SALU_CYCLE_1)
	s_or_b32 s35, s35, vcc_lo
	s_branch .LBB4_797
.LBB4_802:                              ;   in Loop: Header=BB4_632 Depth=3
	s_or_b32 exec_lo, exec_lo, s17
	s_and_saveexec_b32 s17, s30
	s_delay_alu instid0(SALU_CYCLE_1)
	s_xor_b32 s17, exec_lo, s17
	s_cbranch_execz .LBB4_804
; %bb.803:                              ;   in Loop: Header=BB4_632 Depth=3
	ds_store_b32 v0, v118
	s_cbranch_execnz .LBB4_1612
.LBB4_804:                              ;   in Loop: Header=BB4_632 Depth=3
	s_or_b32 exec_lo, exec_lo, s16
	;;#ASMSTART
	s_wakeup
	;;#ASMEND
.LBB4_805:                              ;   in Loop: Header=BB4_632 Depth=3
	s_or_b32 exec_lo, exec_lo, s15
.LBB4_806:                              ;   in Loop: Header=BB4_632 Depth=3
	s_and_not1_saveexec_b32 s14, s14
	s_cbranch_execz .LBB4_808
; %bb.807:                              ;   in Loop: Header=BB4_632 Depth=3
	s_waitcnt lgkmcnt(0)
	s_waitcnt_vscnt null, 0x0
	buffer_gl1_inv
	buffer_gl0_inv
	s_barrier
.LBB4_808:                              ;   in Loop: Header=BB4_632 Depth=3
	s_or_b32 exec_lo, exec_lo, s14
.LBB4_809:                              ;   in Loop: Header=BB4_632 Depth=3
	s_delay_alu instid0(SALU_CYCLE_1) | instskip(SKIP_1) | instid1(SALU_CYCLE_1)
	s_or_b32 exec_lo, exec_lo, s13
                                        ; implicit-def: $vgpr2
	s_and_saveexec_b32 s13, s6
	s_xor_b32 s14, exec_lo, s13
	s_cbranch_execz .LBB4_813
; %bb.810:                              ;   in Loop: Header=BB4_632 Depth=3
	v_and_b32_e32 v2, 16, v30
	v_cmp_lt_i32_e32 vcc_lo, 0, v55
	s_delay_alu instid0(VALU_DEP_2) | instskip(SKIP_1) | instid1(VALU_DEP_2)
	v_cmp_ne_u32_e64 s13, 0, v2
	v_and_b32_e32 v2, 16, v30
	s_and_b32 s15, s13, vcc_lo
	s_delay_alu instid0(SALU_CYCLE_1)
	s_and_saveexec_b32 s13, s15
	s_cbranch_execz .LBB4_812
; %bb.811:                              ;   in Loop: Header=BB4_632 Depth=3
	v_mov_b32_e32 v2, 1
	s_waitcnt lgkmcnt(0)
	s_waitcnt_vscnt null, 0x0
	buffer_gl1_inv
	buffer_gl0_inv
.LBB4_812:                              ;   in Loop: Header=BB4_632 Depth=3
	s_or_b32 exec_lo, exec_lo, s13
.LBB4_813:                              ;   in Loop: Header=BB4_632 Depth=3
	s_and_not1_saveexec_b32 s13, s14
	s_cbranch_execz .LBB4_835
; %bb.814:                              ;   in Loop: Header=BB4_632 Depth=3
	s_and_saveexec_b32 s14, s3
	s_delay_alu instid0(SALU_CYCLE_1)
	s_xor_b32 s14, exec_lo, s14
	s_cbranch_execz .LBB4_832
; %bb.815:                              ;   in Loop: Header=BB4_632 Depth=3
	s_and_saveexec_b32 s15, s1
	s_cbranch_execz .LBB4_831
; %bb.816:                              ;   in Loop: Header=BB4_632 Depth=3
	s_mov_b32 s17, exec_lo
	s_mov_b32 s16, exec_lo
	v_mbcnt_lo_u32_b32 v2, s17, 0
	;;#ASMSTART
	s_waitcnt lgkmcnt(0) vmcnt(0)
	;;#ASMEND
	s_delay_alu instid0(VALU_DEP_1)
	v_cmpx_eq_u32_e32 0, v2
	s_cbranch_execz .LBB4_818
; %bb.817:                              ;   in Loop: Header=BB4_632 Depth=3
	s_bcnt1_i32_b32 s17, s17
	s_delay_alu instid0(SALU_CYCLE_1)
	v_mov_b32_e32 v36, s17
	ds_add_u64 v0, v[36:37]
	s_cbranch_execnz .LBB4_1510
.LBB4_818:                              ;   in Loop: Header=BB4_632 Depth=3
	s_or_b32 exec_lo, exec_lo, s16
	s_cbranch_execnz .LBB4_1488
; %bb.819:                              ;   in Loop: Header=BB4_632 Depth=3
	ds_load_b64 v[2:3], v0
	v_add_co_u32 v32, vcc_lo, v32, v82
	v_add_co_ci_u32_e32 v33, vcc_lo, 0, v33, vcc_lo
	s_mov_b32 s16, exec_lo
	s_waitcnt lgkmcnt(0)
	s_delay_alu instid0(VALU_DEP_1)
	v_cmpx_lt_u64_e64 v[2:3], v[32:33]
	s_cbranch_execz .LBB4_830
; %bb.820:                              ;   in Loop: Header=BB4_632 Depth=3
	s_mov_b32 s17, 0
	s_mov_b32 s34, 0
                                        ; implicit-def: $sgpr30
                                        ; implicit-def: $sgpr31
	s_branch .LBB4_822
.LBB4_821:                              ;   in Loop: Header=BB4_822 Depth=4
	s_or_b32 exec_lo, exec_lo, s36
	s_delay_alu instid0(SALU_CYCLE_1) | instskip(NEXT) | instid1(SALU_CYCLE_1)
	s_and_b32 vcc_lo, exec_lo, vcc_lo
	s_or_b32 s17, vcc_lo, s17
	s_and_not1_b32 vcc_lo, s30, exec_lo
	s_and_b32 s30, s31, exec_lo
	s_delay_alu instid0(SALU_CYCLE_1)
	s_or_b32 s30, vcc_lo, s30
	s_and_not1_b32 exec_lo, exec_lo, s17
	s_cbranch_execz .LBB4_828
.LBB4_822:                              ;   Parent Loop BB4_93 Depth=1
                                        ;     Parent Loop BB4_630 Depth=2
                                        ;       Parent Loop BB4_632 Depth=3
                                        ; =>      This Inner Loop Header: Depth=4
	s_add_i32 s34, s34, 1
                                        ; implicit-def: $sgpr36
	s_delay_alu instid0(SALU_CYCLE_1) | instskip(SKIP_1) | instid1(SALU_CYCLE_1)
	s_cmpk_lg_i32 s34, 0x2710
	s_cselect_b32 s35, -1, 0
	s_and_b32 vcc_lo, exec_lo, s35
	s_cbranch_vccz .LBB4_826
.LBB4_823:                              ;   in Loop: Header=BB4_822 Depth=4
	s_and_not1_b32 s31, s31, exec_lo
	s_and_b32 s36, s36, exec_lo
	s_mov_b32 vcc_lo, -1
	s_or_b32 s31, s31, s36
	s_and_saveexec_b32 s36, s35
	s_cbranch_execz .LBB4_821
; %bb.824:                              ;   in Loop: Header=BB4_822 Depth=4
	s_sleep 1
	s_cbranch_execnz .LBB4_1554
; %bb.825:                              ;   in Loop: Header=BB4_822 Depth=4
	ds_load_b64 v[2:3], v0
	s_and_not1_b32 s31, s31, exec_lo
	s_waitcnt lgkmcnt(0)
	v_cmp_ge_u64_e32 vcc_lo, v[2:3], v[32:33]
	s_or_not1_b32 vcc_lo, vcc_lo, exec_lo
	s_branch .LBB4_821
.LBB4_826:                              ;   in Loop: Header=BB4_822 Depth=4
	s_cbranch_execnz .LBB4_1560
; %bb.827:                              ;   in Loop: Header=BB4_822 Depth=4
	ds_load_b64 v[2:3], v0
	s_and_not1_b32 s35, s35, exec_lo
	s_mov_b32 s34, 0
	s_mov_b32 s36, -1
	s_waitcnt lgkmcnt(0)
	s_waitcnt_vscnt null, 0x0
	flat_load_b32 v2, v[2:3] glc
	s_waitcnt vmcnt(0) lgkmcnt(0)
	buffer_gl1_inv
	buffer_gl0_inv
	v_cmp_eq_u32_e32 vcc_lo, 0, v2
	s_and_b32 vcc_lo, vcc_lo, exec_lo
	s_delay_alu instid0(SALU_CYCLE_1)
	s_or_b32 s35, s35, vcc_lo
	s_branch .LBB4_823
.LBB4_828:                              ;   in Loop: Header=BB4_632 Depth=3
	s_or_b32 exec_lo, exec_lo, s17
	s_and_saveexec_b32 s17, s30
	s_delay_alu instid0(SALU_CYCLE_1)
	s_xor_b32 s17, exec_lo, s17
	s_cbranch_execz .LBB4_830
; %bb.829:                              ;   in Loop: Header=BB4_632 Depth=3
	ds_store_b32 v0, v118
	s_cbranch_execnz .LBB4_1614
.LBB4_830:                              ;   in Loop: Header=BB4_632 Depth=3
	s_or_b32 exec_lo, exec_lo, s16
	;;#ASMSTART
	s_wakeup
	;;#ASMEND
.LBB4_831:                              ;   in Loop: Header=BB4_632 Depth=3
	s_or_b32 exec_lo, exec_lo, s15
.LBB4_832:                              ;   in Loop: Header=BB4_632 Depth=3
	s_and_not1_saveexec_b32 s14, s14
	s_cbranch_execz .LBB4_834
; %bb.833:                              ;   in Loop: Header=BB4_632 Depth=3
	;;#ASMSTART
	s_waitcnt lgkmcnt(0) vmcnt(0)
	;;#ASMEND
	s_waitcnt lgkmcnt(0)
	s_waitcnt_vscnt null, 0x0
	s_barrier
.LBB4_834:                              ;   in Loop: Header=BB4_632 Depth=3
	s_or_b32 exec_lo, exec_lo, s14
	v_and_b32_e32 v2, 16, v30
.LBB4_835:                              ;   in Loop: Header=BB4_632 Depth=3
	s_or_b32 exec_lo, exec_lo, s13
	s_delay_alu instid0(VALU_DEP_1) | instskip(SKIP_1) | instid1(SALU_CYCLE_1)
	v_cmp_ne_u32_e32 vcc_lo, 0, v2
	s_xor_b32 s13, s7, -1
	s_and_b32 s14, vcc_lo, s13
	s_delay_alu instid0(SALU_CYCLE_1)
	s_and_saveexec_b32 s13, s14
	s_cbranch_execz .LBB4_837
; %bb.836:                              ;   in Loop: Header=BB4_632 Depth=3
	s_waitcnt lgkmcnt(0)
	s_waitcnt_vscnt null, 0x0
	flat_store_b32 v[28:29], v118
.LBB4_837:                              ;   in Loop: Header=BB4_632 Depth=3
	s_or_b32 exec_lo, exec_lo, s13
	v_and_b32_e32 v2, 48, v30
	s_mov_b32 s13, exec_lo
	s_delay_alu instid0(VALU_DEP_1)
	v_cmpx_ne_u32_e32 0, v2
	s_cbranch_execz .LBB4_839
; %bb.838:                              ;   in Loop: Header=BB4_632 Depth=3
	v_add_co_u32 v14, vcc_lo, v14, 2
	v_add_co_ci_u32_e32 v15, vcc_lo, 0, v15, vcc_lo
	s_waitcnt lgkmcnt(0)
	s_waitcnt_vscnt null, 0x0
	flat_store_b64 v[24:25], v[14:15]
.LBB4_839:                              ;   in Loop: Header=BB4_632 Depth=3
	s_or_b32 exec_lo, exec_lo, s13
	v_add_nc_u32_e32 v129, v54, v129
	v_readlane_b32 s13, v42, 2
	s_mov_b32 s16, 0
	s_mov_b32 s15, 2
	s_delay_alu instid0(VALU_DEP_2) | instskip(NEXT) | instid1(VALU_DEP_2)
	v_cmp_ge_i32_e32 vcc_lo, v129, v119
	s_xor_b32 s13, s13, -1
	s_delay_alu instid0(SALU_CYCLE_1) | instskip(NEXT) | instid1(SALU_CYCLE_1)
	s_or_b32 s13, s13, vcc_lo
	s_and_b32 s14, exec_lo, s13
	v_readlane_b32 s13, v42, 3
	s_or_b32 vcc_hi, s14, vcc_hi
	s_delay_alu instid0(VALU_DEP_1)
	v_mov_b32_e32 v2, s13
	s_and_not1_b32 exec_lo, exec_lo, vcc_hi
	s_cbranch_execnz .LBB4_632
; %bb.840:                              ;   in Loop: Header=BB4_630 Depth=2
	s_or_b32 exec_lo, exec_lo, vcc_hi
.LBB4_841:                              ;   in Loop: Header=BB4_630 Depth=2
	s_delay_alu instid0(SALU_CYCLE_1) | instskip(NEXT) | instid1(SALU_CYCLE_1)
	s_or_b32 exec_lo, exec_lo, s29
	s_mov_b32 s14, exec_lo
	v_cmpx_gt_i32_e32 2, v2
	s_cbranch_execz .LBB4_927
; %bb.842:                              ;   in Loop: Header=BB4_630 Depth=2
	v_cmp_eq_u32_e64 s13, 0, v2
	s_mov_b32 s15, 0
.LBB4_843:                              ;   Parent Loop BB4_93 Depth=1
                                        ;     Parent Loop BB4_630 Depth=2
                                        ; =>    This Loop Header: Depth=3
                                        ;         Child Loop BB4_849 Depth 4
                                        ;         Child Loop BB4_881 Depth 4
	;; [unrolled: 1-line block ×3, first 2 shown]
	v_and_b32_e32 v2, 12, v30
	s_mov_b32 s17, -1
	s_mov_b32 s16, exec_lo
	s_delay_alu instid0(VALU_DEP_1)
	v_cmpx_ne_u32_e32 0, v2
	s_cbranch_execz .LBB4_857
; %bb.844:                              ;   in Loop: Header=BB4_843 Depth=3
	v_dual_mov_b32 v5, 1 :: v_dual_and_b32 v4, 8, v30
	s_mov_b32 s17, exec_lo
	s_delay_alu instid0(VALU_DEP_1) | instskip(SKIP_3) | instid1(VALU_DEP_1)
	v_add_co_u32 v64, vcc_lo, v34, v4
	v_add_co_ci_u32_e32 v65, vcc_lo, 0, v35, vcc_lo
	v_add_co_u32 v2, vcc_lo, v14, 2
	v_add_co_ci_u32_e32 v3, vcc_lo, 0, v15, vcc_lo
	v_cmpx_lt_u64_e64 v[64:65], v[2:3]
	s_cbranch_execz .LBB4_856
; %bb.845:                              ;   in Loop: Header=BB4_843 Depth=3
	v_mov_b32_e32 v5, 0
	s_mov_b32 s29, 0
                                        ; implicit-def: $vcc_hi
	s_branch .LBB4_849
.LBB4_846:                              ;   in Loop: Header=BB4_849 Depth=4
	s_or_b32 exec_lo, exec_lo, s35
	v_mov_b32_e32 v36, 0
	s_or_not1_b32 s34, s34, exec_lo
.LBB4_847:                              ;   in Loop: Header=BB4_849 Depth=4
	s_or_b32 exec_lo, exec_lo, s31
	s_delay_alu instid0(VALU_DEP_1) | instskip(SKIP_2) | instid1(SALU_CYCLE_1)
	v_mov_b32_e32 v5, v36
	s_and_not1_b32 vcc_lo, vcc_hi, exec_lo
	s_and_b32 vcc_hi, s34, exec_lo
	s_or_b32 vcc_hi, vcc_lo, vcc_hi
.LBB4_848:                              ;   in Loop: Header=BB4_849 Depth=4
	s_or_b32 exec_lo, exec_lo, s30
	s_waitcnt vmcnt(0) lgkmcnt(0)
	v_add_co_u32 v64, vcc_lo, v34, v4
	v_add_co_ci_u32_e32 v65, vcc_lo, 0, v35, vcc_lo
	s_delay_alu instid0(VALU_DEP_1) | instskip(SKIP_1) | instid1(SALU_CYCLE_1)
	v_cmp_ge_u64_e32 vcc_lo, v[64:65], v[2:3]
	s_xor_b32 s30, vcc_hi, -1
	s_or_b32 vcc_lo, s30, vcc_lo
	s_delay_alu instid0(SALU_CYCLE_1) | instskip(NEXT) | instid1(SALU_CYCLE_1)
	s_and_b32 vcc_lo, exec_lo, vcc_lo
	s_or_b32 s29, vcc_lo, s29
	s_delay_alu instid0(SALU_CYCLE_1)
	s_and_not1_b32 exec_lo, exec_lo, s29
	s_cbranch_execz .LBB4_855
.LBB4_849:                              ;   Parent Loop BB4_93 Depth=1
                                        ;     Parent Loop BB4_630 Depth=2
                                        ;       Parent Loop BB4_843 Depth=3
                                        ; =>      This Inner Loop Header: Depth=4
	s_sleep 1
	flat_load_b64 v[34:35], v[24:25] glc
	v_and_b32_e32 v36, 64, v30
	s_and_not1_b32 vcc_hi, vcc_hi, exec_lo
	s_mov_b32 s30, exec_lo
	s_delay_alu instid0(VALU_DEP_1)
	v_cmpx_eq_u32_e32 0, v36
	s_cbranch_execz .LBB4_848
; %bb.850:                              ;   in Loop: Header=BB4_849 Depth=4
	v_add_nc_u32_e32 v36, 1, v5
	s_mov_b32 s34, -1
	s_mov_b32 s31, exec_lo
	v_cmpx_lt_i32_e32 0x270e, v5
	s_cbranch_execz .LBB4_847
; %bb.851:                              ;   in Loop: Header=BB4_849 Depth=4
	s_cbranch_execnz .LBB4_1268
; %bb.852:                              ;   in Loop: Header=BB4_849 Depth=4
	ds_load_b64 v[64:65], v0
	s_mov_b32 s35, exec_lo
	s_waitcnt vmcnt(0) lgkmcnt(0)
	s_waitcnt_vscnt null, 0x0
	flat_load_b32 v5, v[64:65] glc
	s_waitcnt vmcnt(0) lgkmcnt(0)
	buffer_gl1_inv
	buffer_gl0_inv
	v_cmpx_ne_u32_e32 0, v5
	s_cbranch_execz .LBB4_846
; %bb.853:                              ;   in Loop: Header=BB4_849 Depth=4
	ds_store_b32 v0, v5
	s_cbranch_execnz .LBB4_1321
; %bb.854:                              ;   in Loop: Header=BB4_849 Depth=4
	v_or_b32_e32 v30, 64, v30
	s_xor_b32 s34, exec_lo, -1
	s_branch .LBB4_846
.LBB4_855:                              ;   in Loop: Header=BB4_843 Depth=3
	s_or_b32 exec_lo, exec_lo, s29
	v_and_b32_e32 v5, 12, v30
.LBB4_856:                              ;   in Loop: Header=BB4_843 Depth=3
	s_or_b32 exec_lo, exec_lo, s17
	s_delay_alu instid0(VALU_DEP_1)
	v_cmp_eq_u32_e32 vcc_lo, 0, v5
	;;#ASMSTART
	s_wakeup
	;;#ASMEND
	s_or_not1_b32 s17, vcc_lo, exec_lo
.LBB4_857:                              ;   in Loop: Header=BB4_843 Depth=3
	s_or_b32 exec_lo, exec_lo, s16
	v_sub_nc_u32_e32 v2, v119, v129
	s_xor_b32 s13, s13, -1
	s_delay_alu instid0(SALU_CYCLE_1) | instskip(NEXT) | instid1(SALU_CYCLE_1)
	s_and_b32 s13, exec_lo, s13
	s_or_b32 s15, s13, s15
	s_delay_alu instid0(VALU_DEP_1) | instskip(SKIP_1) | instid1(SALU_CYCLE_1)
	v_min_i32_e32 v54, v54, v2
	s_xor_b32 s13, s17, -1
	s_and_saveexec_b32 s16, s13
	s_cbranch_execz .LBB4_872
; %bb.858:                              ;   in Loop: Header=BB4_843 Depth=3
	v_and_b32_e32 v2, 0x108, v30
	s_mov_b32 s13, exec_lo
	s_delay_alu instid0(VALU_DEP_1)
	v_cmpx_ne_u32_e32 0x108, v2
	s_xor_b32 s13, exec_lo, s13
                                        ; implicit-def: $vgpr2_vgpr3
; %bb.859:                              ;   in Loop: Header=BB4_843 Depth=3
	v_and_b32_e32 v2, 7, v14
; %bb.860:                              ;   in Loop: Header=BB4_843 Depth=3
	s_and_not1_saveexec_b32 s13, s13
	s_cbranch_execz .LBB4_862
; %bb.861:                              ;   in Loop: Header=BB4_843 Depth=3
	v_and_b32_e32 v2, 7, v14
	v_ashrrev_i32_e32 v55, 31, v54
	s_delay_alu instid0(VALU_DEP_2)
	v_mad_u64_u32 v[3:4], null, v2, 24, v[12:13]
	flat_store_b64 v[3:4], v[54:55] offset:8
.LBB4_862:                              ;   in Loop: Header=BB4_843 Depth=3
	s_or_b32 exec_lo, exec_lo, s13
	v_and_b32_e32 v3, 0x100, v30
	s_mov_b32 s13, -1
	s_delay_alu instid0(VALU_DEP_1)
	v_cmp_ne_u32_e32 vcc_lo, 0, v3
                                        ; implicit-def: $vgpr3_vgpr4
	s_and_saveexec_b32 s17, vcc_lo
	s_cbranch_execnz .LBB4_865
; %bb.863:                              ;   in Loop: Header=BB4_843 Depth=3
	s_or_b32 exec_lo, exec_lo, s17
	s_and_saveexec_b32 s17, s13
	s_cbranch_execnz .LBB4_868
.LBB4_864:                              ;   in Loop: Header=BB4_843 Depth=3
	s_or_b32 exec_lo, exec_lo, s17
	s_cbranch_execnz .LBB4_1264
	s_branch .LBB4_869
.LBB4_865:                              ;   in Loop: Header=BB4_843 Depth=3
	v_mad_u64_u32 v[64:65], null, v2, 24, v[12:13]
	s_delay_alu instid0(VALU_DEP_1) | instskip(NEXT) | instid1(VALU_DEP_1)
	v_mov_b32_e32 v3, v65
	v_mad_u64_u32 v[4:5], null, v37, 24, v[3:4]
	s_delay_alu instid0(VALU_DEP_1) | instskip(SKIP_4) | instid1(VALU_DEP_1)
	v_mov_b32_e32 v65, v4
	flat_load_b32 v3, v[64:65]
	s_waitcnt vmcnt(0) lgkmcnt(0)
	v_cmp_ne_u32_e32 vcc_lo, 1, v3
	v_cmp_eq_u32_e64 s13, 1, v3
                                        ; implicit-def: $vgpr3_vgpr4
	s_and_saveexec_b32 s29, s13
	s_cbranch_execz .LBB4_867
; %bb.866:                              ;   in Loop: Header=BB4_843 Depth=3
	flat_load_b32 v3, v[64:65] offset:4 glc
	s_waitcnt vmcnt(0) lgkmcnt(0)
	v_ashrrev_i32_e32 v4, 31, v3
.LBB4_867:                              ;   in Loop: Header=BB4_843 Depth=3
	s_or_b32 exec_lo, exec_lo, s29
	s_delay_alu instid0(SALU_CYCLE_1)
	s_or_not1_b32 s13, vcc_lo, exec_lo
	s_or_b32 exec_lo, exec_lo, s17
	s_and_saveexec_b32 s17, s13
	s_cbranch_execz .LBB4_864
.LBB4_868:                              ;   in Loop: Header=BB4_843 Depth=3
	v_mul_lo_u32 v5, v37, v70
	v_mul_lo_u32 v36, v2, v81
	v_mad_u64_u32 v[3:4], null, v2, v70, 0
	s_delay_alu instid0(VALU_DEP_1)
	v_add3_u32 v4, v4, v36, v5
	s_or_b32 exec_lo, exec_lo, s17
	s_cbranch_execnz .LBB4_1264
.LBB4_869:                              ;   in Loop: Header=BB4_843 Depth=3
	s_delay_alu instid0(VALU_DEP_2)
	v_add_co_u32 v2, vcc_lo, v26, v3
	v_and_b32_e32 v5, 0x2000, v30
	v_add_co_ci_u32_e32 v3, vcc_lo, v27, v4, vcc_lo
	s_mov_b32 s13, exec_lo
	ds_store_b64 v0, v[2:3]
	v_cmpx_ne_u32_e32 0, v5
	s_cbranch_execz .LBB4_871
; %bb.870:                              ;   in Loop: Header=BB4_843 Depth=3
	ds_load_b64 v[2:3], v0 offset:584
	s_waitcnt lgkmcnt(0)
	v_add_co_u32 v2, vcc_lo, v2, 1
	v_add_co_ci_u32_e32 v3, vcc_lo, 0, v3, vcc_lo
	ds_store_b64 v0, v[2:3] offset:584
.LBB4_871:                              ;   in Loop: Header=BB4_843 Depth=3
	s_or_b32 exec_lo, exec_lo, s13
	v_add_co_u32 v14, vcc_lo, v14, 2
	v_add_co_ci_u32_e32 v15, vcc_lo, 0, v15, vcc_lo
.LBB4_872:                              ;   in Loop: Header=BB4_843 Depth=3
	s_or_b32 exec_lo, exec_lo, s16
	s_and_saveexec_b32 s13, s2
	s_cbranch_execz .LBB4_894
; %bb.873:                              ;   in Loop: Header=BB4_843 Depth=3
	s_and_saveexec_b32 s16, s3
	s_delay_alu instid0(SALU_CYCLE_1)
	s_xor_b32 s16, exec_lo, s16
	s_cbranch_execz .LBB4_891
; %bb.874:                              ;   in Loop: Header=BB4_843 Depth=3
	s_and_saveexec_b32 s17, s1
	s_cbranch_execz .LBB4_890
; %bb.875:                              ;   in Loop: Header=BB4_843 Depth=3
	s_mov_b32 vcc_hi, exec_lo
	s_mov_b32 s29, exec_lo
	v_mbcnt_lo_u32_b32 v2, vcc_hi, 0
	s_waitcnt lgkmcnt(0)
	s_waitcnt_vscnt null, 0x0
	buffer_gl1_inv
	buffer_gl0_inv
	v_cmpx_eq_u32_e32 0, v2
	s_cbranch_execz .LBB4_877
; %bb.876:                              ;   in Loop: Header=BB4_843 Depth=3
	s_bcnt1_i32_b32 vcc_lo, vcc_hi
	s_delay_alu instid0(SALU_CYCLE_1)
	v_mov_b32_e32 v36, vcc_lo
	ds_add_u64 v0, v[36:37]
	s_cbranch_execnz .LBB4_1367
.LBB4_877:                              ;   in Loop: Header=BB4_843 Depth=3
	s_or_b32 exec_lo, exec_lo, s29
	s_cbranch_execnz .LBB4_1345
; %bb.878:                              ;   in Loop: Header=BB4_843 Depth=3
	ds_load_b64 v[2:3], v0
	v_add_co_u32 v32, vcc_lo, v32, v82
	v_add_co_ci_u32_e32 v33, vcc_lo, 0, v33, vcc_lo
	s_mov_b32 s29, exec_lo
	s_waitcnt lgkmcnt(0)
	s_delay_alu instid0(VALU_DEP_1)
	v_cmpx_lt_u64_e64 v[2:3], v[32:33]
	s_cbranch_execz .LBB4_889
; %bb.879:                              ;   in Loop: Header=BB4_843 Depth=3
	s_mov_b32 vcc_hi, 0
	s_mov_b32 s34, 0
                                        ; implicit-def: $sgpr30
                                        ; implicit-def: $sgpr31
	s_branch .LBB4_881
.LBB4_880:                              ;   in Loop: Header=BB4_881 Depth=4
	s_or_b32 exec_lo, exec_lo, s36
	s_delay_alu instid0(SALU_CYCLE_1) | instskip(NEXT) | instid1(SALU_CYCLE_1)
	s_and_b32 vcc_lo, exec_lo, vcc_lo
	s_or_b32 vcc_hi, vcc_lo, vcc_hi
	s_and_not1_b32 vcc_lo, s30, exec_lo
	s_and_b32 s30, s31, exec_lo
	s_delay_alu instid0(SALU_CYCLE_1)
	s_or_b32 s30, vcc_lo, s30
	s_and_not1_b32 exec_lo, exec_lo, vcc_hi
	s_cbranch_execz .LBB4_887
.LBB4_881:                              ;   Parent Loop BB4_93 Depth=1
                                        ;     Parent Loop BB4_630 Depth=2
                                        ;       Parent Loop BB4_843 Depth=3
                                        ; =>      This Inner Loop Header: Depth=4
	s_add_i32 s34, s34, 1
                                        ; implicit-def: $sgpr36
	s_delay_alu instid0(SALU_CYCLE_1) | instskip(SKIP_1) | instid1(SALU_CYCLE_1)
	s_cmpk_lg_i32 s34, 0x2710
	s_cselect_b32 s35, -1, 0
	s_and_b32 vcc_lo, exec_lo, s35
	s_cbranch_vccz .LBB4_885
.LBB4_882:                              ;   in Loop: Header=BB4_881 Depth=4
	s_and_not1_b32 s31, s31, exec_lo
	s_and_b32 s36, s36, exec_lo
	s_mov_b32 vcc_lo, -1
	s_or_b32 s31, s31, s36
	s_and_saveexec_b32 s36, s35
	s_cbranch_execz .LBB4_880
; %bb.883:                              ;   in Loop: Header=BB4_881 Depth=4
	s_sleep 1
	s_cbranch_execnz .LBB4_1423
; %bb.884:                              ;   in Loop: Header=BB4_881 Depth=4
	ds_load_b64 v[2:3], v0
	s_and_not1_b32 s31, s31, exec_lo
	s_waitcnt lgkmcnt(0)
	v_cmp_ge_u64_e32 vcc_lo, v[2:3], v[32:33]
	s_or_not1_b32 vcc_lo, vcc_lo, exec_lo
	s_branch .LBB4_880
.LBB4_885:                              ;   in Loop: Header=BB4_881 Depth=4
	s_cbranch_execnz .LBB4_1445
; %bb.886:                              ;   in Loop: Header=BB4_881 Depth=4
	ds_load_b64 v[2:3], v0
	s_and_not1_b32 s35, s35, exec_lo
	s_mov_b32 s34, 0
	s_mov_b32 s36, -1
	s_waitcnt lgkmcnt(0)
	flat_load_b32 v2, v[2:3] glc
	s_waitcnt vmcnt(0) lgkmcnt(0)
	buffer_gl1_inv
	buffer_gl0_inv
	v_cmp_eq_u32_e32 vcc_lo, 0, v2
	s_and_b32 vcc_lo, vcc_lo, exec_lo
	s_delay_alu instid0(SALU_CYCLE_1)
	s_or_b32 s35, s35, vcc_lo
	s_branch .LBB4_882
.LBB4_887:                              ;   in Loop: Header=BB4_843 Depth=3
	s_or_b32 exec_lo, exec_lo, vcc_hi
	s_and_saveexec_b32 vcc_lo, s30
	s_delay_alu instid0(SALU_CYCLE_1)
	s_xor_b32 vcc_lo, exec_lo, vcc_lo
	s_cbranch_execz .LBB4_889
; %bb.888:                              ;   in Loop: Header=BB4_843 Depth=3
	ds_store_b32 v0, v118
	s_cbranch_execnz .LBB4_1588
.LBB4_889:                              ;   in Loop: Header=BB4_843 Depth=3
	s_or_b32 exec_lo, exec_lo, s29
	;;#ASMSTART
	s_wakeup
	;;#ASMEND
.LBB4_890:                              ;   in Loop: Header=BB4_843 Depth=3
	s_or_b32 exec_lo, exec_lo, s17
.LBB4_891:                              ;   in Loop: Header=BB4_843 Depth=3
	s_and_not1_saveexec_b32 s16, s16
	s_cbranch_execz .LBB4_893
; %bb.892:                              ;   in Loop: Header=BB4_843 Depth=3
	s_waitcnt lgkmcnt(0)
	s_waitcnt_vscnt null, 0x0
	buffer_gl1_inv
	buffer_gl0_inv
	s_barrier
.LBB4_893:                              ;   in Loop: Header=BB4_843 Depth=3
	s_or_b32 exec_lo, exec_lo, s16
.LBB4_894:                              ;   in Loop: Header=BB4_843 Depth=3
	s_delay_alu instid0(SALU_CYCLE_1) | instskip(SKIP_1) | instid1(SALU_CYCLE_1)
	s_or_b32 exec_lo, exec_lo, s13
                                        ; implicit-def: $vgpr2
	s_and_saveexec_b32 s13, s25
	s_xor_b32 s13, exec_lo, s13
	s_cbranch_execz .LBB4_916
; %bb.895:                              ;   in Loop: Header=BB4_843 Depth=3
	s_and_saveexec_b32 s16, s3
	s_delay_alu instid0(SALU_CYCLE_1)
	s_xor_b32 s16, exec_lo, s16
	s_cbranch_execz .LBB4_913
; %bb.896:                              ;   in Loop: Header=BB4_843 Depth=3
	s_and_saveexec_b32 s17, s1
	s_cbranch_execz .LBB4_912
; %bb.897:                              ;   in Loop: Header=BB4_843 Depth=3
	s_mov_b32 vcc_hi, exec_lo
	s_mov_b32 s29, exec_lo
	v_mbcnt_lo_u32_b32 v2, vcc_hi, 0
	;;#ASMSTART
	s_waitcnt lgkmcnt(0) vmcnt(0)
	;;#ASMEND
	s_delay_alu instid0(VALU_DEP_1)
	v_cmpx_eq_u32_e32 0, v2
	s_cbranch_execz .LBB4_899
; %bb.898:                              ;   in Loop: Header=BB4_843 Depth=3
	s_bcnt1_i32_b32 vcc_lo, vcc_hi
	s_delay_alu instid0(SALU_CYCLE_1)
	v_mov_b32_e32 v36, vcc_lo
	ds_add_u64 v0, v[36:37]
	s_cbranch_execnz .LBB4_1371
.LBB4_899:                              ;   in Loop: Header=BB4_843 Depth=3
	s_or_b32 exec_lo, exec_lo, s29
	s_cbranch_execnz .LBB4_1347
; %bb.900:                              ;   in Loop: Header=BB4_843 Depth=3
	ds_load_b64 v[2:3], v0
	v_add_co_u32 v32, vcc_lo, v32, v82
	v_add_co_ci_u32_e32 v33, vcc_lo, 0, v33, vcc_lo
	s_mov_b32 s29, exec_lo
	s_waitcnt lgkmcnt(0)
	s_delay_alu instid0(VALU_DEP_1)
	v_cmpx_lt_u64_e64 v[2:3], v[32:33]
	s_cbranch_execz .LBB4_911
; %bb.901:                              ;   in Loop: Header=BB4_843 Depth=3
	s_mov_b32 vcc_hi, 0
	s_mov_b32 s34, 0
                                        ; implicit-def: $sgpr30
                                        ; implicit-def: $sgpr31
	s_branch .LBB4_903
.LBB4_902:                              ;   in Loop: Header=BB4_903 Depth=4
	s_or_b32 exec_lo, exec_lo, s36
	s_delay_alu instid0(SALU_CYCLE_1) | instskip(NEXT) | instid1(SALU_CYCLE_1)
	s_and_b32 vcc_lo, exec_lo, vcc_lo
	s_or_b32 vcc_hi, vcc_lo, vcc_hi
	s_and_not1_b32 vcc_lo, s30, exec_lo
	s_and_b32 s30, s31, exec_lo
	s_delay_alu instid0(SALU_CYCLE_1)
	s_or_b32 s30, vcc_lo, s30
	s_and_not1_b32 exec_lo, exec_lo, vcc_hi
	s_cbranch_execz .LBB4_909
.LBB4_903:                              ;   Parent Loop BB4_93 Depth=1
                                        ;     Parent Loop BB4_630 Depth=2
                                        ;       Parent Loop BB4_843 Depth=3
                                        ; =>      This Inner Loop Header: Depth=4
	s_add_i32 s34, s34, 1
                                        ; implicit-def: $sgpr36
	s_delay_alu instid0(SALU_CYCLE_1) | instskip(SKIP_1) | instid1(SALU_CYCLE_1)
	s_cmpk_lg_i32 s34, 0x2710
	s_cselect_b32 s35, -1, 0
	s_and_b32 vcc_lo, exec_lo, s35
	s_cbranch_vccz .LBB4_907
.LBB4_904:                              ;   in Loop: Header=BB4_903 Depth=4
	s_and_not1_b32 s31, s31, exec_lo
	s_and_b32 s36, s36, exec_lo
	s_mov_b32 vcc_lo, -1
	s_or_b32 s31, s31, s36
	s_and_saveexec_b32 s36, s35
	s_cbranch_execz .LBB4_902
; %bb.905:                              ;   in Loop: Header=BB4_903 Depth=4
	s_sleep 1
	s_cbranch_execnz .LBB4_1433
; %bb.906:                              ;   in Loop: Header=BB4_903 Depth=4
	ds_load_b64 v[2:3], v0
	s_and_not1_b32 s31, s31, exec_lo
	s_waitcnt lgkmcnt(0)
	v_cmp_ge_u64_e32 vcc_lo, v[2:3], v[32:33]
	s_or_not1_b32 vcc_lo, vcc_lo, exec_lo
	s_branch .LBB4_902
.LBB4_907:                              ;   in Loop: Header=BB4_903 Depth=4
	s_cbranch_execnz .LBB4_1453
; %bb.908:                              ;   in Loop: Header=BB4_903 Depth=4
	ds_load_b64 v[2:3], v0
	s_and_not1_b32 s35, s35, exec_lo
	s_mov_b32 s34, 0
	s_mov_b32 s36, -1
	s_waitcnt lgkmcnt(0)
	s_waitcnt_vscnt null, 0x0
	flat_load_b32 v2, v[2:3] glc
	s_waitcnt vmcnt(0) lgkmcnt(0)
	buffer_gl1_inv
	buffer_gl0_inv
	v_cmp_eq_u32_e32 vcc_lo, 0, v2
	s_and_b32 vcc_lo, vcc_lo, exec_lo
	s_delay_alu instid0(SALU_CYCLE_1)
	s_or_b32 s35, s35, vcc_lo
	s_branch .LBB4_904
.LBB4_909:                              ;   in Loop: Header=BB4_843 Depth=3
	s_or_b32 exec_lo, exec_lo, vcc_hi
	s_and_saveexec_b32 vcc_lo, s30
	s_delay_alu instid0(SALU_CYCLE_1)
	s_xor_b32 vcc_lo, exec_lo, vcc_lo
	s_cbranch_execz .LBB4_911
; %bb.910:                              ;   in Loop: Header=BB4_843 Depth=3
	ds_store_b32 v0, v118
	s_cbranch_execnz .LBB4_1590
.LBB4_911:                              ;   in Loop: Header=BB4_843 Depth=3
	s_or_b32 exec_lo, exec_lo, s29
	;;#ASMSTART
	s_wakeup
	;;#ASMEND
.LBB4_912:                              ;   in Loop: Header=BB4_843 Depth=3
	s_or_b32 exec_lo, exec_lo, s17
.LBB4_913:                              ;   in Loop: Header=BB4_843 Depth=3
	s_and_not1_saveexec_b32 s16, s16
	s_cbranch_execz .LBB4_915
; %bb.914:                              ;   in Loop: Header=BB4_843 Depth=3
	;;#ASMSTART
	s_waitcnt lgkmcnt(0) vmcnt(0)
	;;#ASMEND
	s_waitcnt lgkmcnt(0)
	s_waitcnt_vscnt null, 0x0
	s_barrier
.LBB4_915:                              ;   in Loop: Header=BB4_843 Depth=3
	s_or_b32 exec_lo, exec_lo, s16
	v_and_b32_e32 v2, 16, v30
.LBB4_916:                              ;   in Loop: Header=BB4_843 Depth=3
	s_and_not1_saveexec_b32 s16, s13
	s_cbranch_execz .LBB4_921
; %bb.917:                              ;   in Loop: Header=BB4_843 Depth=3
	s_cbranch_execnz .LBB4_1289
; %bb.918:                              ;   in Loop: Header=BB4_843 Depth=3
	ds_load_b32 v2, v0
	v_cmp_lt_i32_e32 vcc_lo, 0, v54
	s_waitcnt lgkmcnt(0)
	v_readfirstlane_b32 s13, v2
	v_and_b32_e32 v2, 16, v30
	s_delay_alu instid0(VALU_DEP_2) | instskip(NEXT) | instid1(VALU_DEP_1)
	s_cmp_eq_u32 s13, 0
	v_cmp_ne_u32_e64 s13, 0, v2
	s_cselect_b32 s17, -1, 0
	v_and_b32_e32 v2, 16, v30
	s_and_b32 s17, vcc_lo, s17
	s_delay_alu instid0(VALU_DEP_2) | instid1(SALU_CYCLE_1)
	s_and_b32 s17, s13, s17
	s_delay_alu instid0(SALU_CYCLE_1)
	s_and_saveexec_b32 s13, s17
	s_cbranch_execz .LBB4_920
; %bb.919:                              ;   in Loop: Header=BB4_843 Depth=3
	v_mov_b32_e32 v2, 1
	s_waitcnt_vscnt null, 0x0
	buffer_gl1_inv
	buffer_gl0_inv
.LBB4_920:                              ;   in Loop: Header=BB4_843 Depth=3
	s_or_b32 exec_lo, exec_lo, s13
.LBB4_921:                              ;   in Loop: Header=BB4_843 Depth=3
	s_delay_alu instid0(SALU_CYCLE_1) | instskip(NEXT) | instid1(VALU_DEP_1)
	s_or_b32 exec_lo, exec_lo, s16
	v_cmp_ne_u32_e32 vcc_lo, 0, v2
	s_xor_b32 s13, s7, -1
	s_delay_alu instid0(SALU_CYCLE_1) | instskip(NEXT) | instid1(SALU_CYCLE_1)
	s_and_b32 s16, vcc_lo, s13
	s_and_saveexec_b32 s13, s16
	s_cbranch_execz .LBB4_923
; %bb.922:                              ;   in Loop: Header=BB4_843 Depth=3
	s_waitcnt lgkmcnt(0)
	s_waitcnt_vscnt null, 0x0
	flat_store_b32 v[28:29], v118
.LBB4_923:                              ;   in Loop: Header=BB4_843 Depth=3
	s_or_b32 exec_lo, exec_lo, s13
	v_and_b32_e32 v2, 48, v30
	s_mov_b32 s13, exec_lo
	s_delay_alu instid0(VALU_DEP_1)
	v_cmpx_ne_u32_e32 0, v2
	s_cbranch_execz .LBB4_925
; %bb.924:                              ;   in Loop: Header=BB4_843 Depth=3
	v_add_co_u32 v14, vcc_lo, v14, 2
	v_add_co_ci_u32_e32 v15, vcc_lo, 0, v15, vcc_lo
	s_waitcnt lgkmcnt(0)
	s_waitcnt_vscnt null, 0x0
	flat_store_b64 v[24:25], v[14:15]
.LBB4_925:                              ;   in Loop: Header=BB4_843 Depth=3
	s_or_b32 exec_lo, exec_lo, s13
	v_add_nc_u32_e32 v129, v54, v129
	s_mov_b32 s13, 0
	s_and_not1_b32 exec_lo, exec_lo, s15
	s_cbranch_execnz .LBB4_843
; %bb.926:                              ;   in Loop: Header=BB4_630 Depth=2
	s_or_b32 exec_lo, exec_lo, s15
.LBB4_927:                              ;   in Loop: Header=BB4_630 Depth=2
	s_delay_alu instid0(SALU_CYCLE_1)
	s_or_b32 exec_lo, exec_lo, s14
	s_add_i32 s13, s28, 1
	s_cmp_eq_u32 s28, s26
	s_cbranch_scc1 .LBB4_929
; %bb.928:                              ;   in Loop: Header=BB4_630 Depth=2
	s_mov_b32 s28, s13
	s_branch .LBB4_630
.LBB4_929:                              ;   in Loop: Header=BB4_93 Depth=1
	v_mov_b32_e32 v4, 0
	v_mov_b32_e32 v54, 0
	s_mov_b32 s15, 0
	s_and_saveexec_b32 s14, s12
	s_cbranch_execz .LBB4_1090
; %bb.930:                              ;   in Loop: Header=BB4_93 Depth=1
	flat_load_b32 v4, v[18:19] offset:4
	v_mov_b32_e32 v54, 0
	s_mov_b32 s17, 1
	s_mov_b32 s16, -1
	s_waitcnt vmcnt(0) lgkmcnt(0)
	v_ashrrev_i32_e32 v5, 31, v4
	v_mad_u64_u32 v[2:3], null, v68, v4, v[52:53]
	v_mul_lo_u32 v4, v69, v4
	s_delay_alu instid0(VALU_DEP_3) | instskip(NEXT) | instid1(VALU_DEP_1)
	v_mul_lo_u32 v5, v68, v5
	v_add3_u32 v3, v4, v3, v5
.LBB4_931:                              ;   Parent Loop BB4_93 Depth=1
                                        ; =>  This Loop Header: Depth=2
                                        ;       Child Loop BB4_940 Depth 3
                                        ;       Child Loop BB4_967 Depth 3
	;; [unrolled: 1-line block ×9, first 2 shown]
	s_and_saveexec_b32 s13, s0
	s_cbranch_execz .LBB4_934
; %bb.932:                              ;   in Loop: Header=BB4_931 Depth=2
	s_cbranch_execnz .LBB4_1250
; %bb.933:                              ;   in Loop: Header=BB4_931 Depth=2
	ds_load_b128 v[64:67], v0
	v_ashrrev_i32_e32 v5, 31, v54
	s_waitcnt lgkmcnt(0)
	v_add_co_u32 v4, vcc_lo, v66, v2
	v_add_co_ci_u32_e32 v36, vcc_lo, v67, v3, vcc_lo
	v_add_co_u32 v52, vcc_lo, v64, v2
	v_add_co_ci_u32_e32 v53, vcc_lo, v65, v3, vcc_lo
	s_delay_alu instid0(VALU_DEP_4) | instskip(NEXT) | instid1(VALU_DEP_4)
	v_add_co_u32 v55, vcc_lo, v4, v54
	v_add_co_ci_u32_e32 v36, vcc_lo, v36, v5, vcc_lo
	v_cmp_ne_u64_e32 vcc_lo, 0, v[66:67]
	v_add_co_u32 v4, s12, v52, v54
	s_delay_alu instid0(VALU_DEP_1) | instskip(NEXT) | instid1(VALU_DEP_4)
	v_add_co_ci_u32_e64 v5, s12, v53, v5, s12
	v_dual_cndmask_b32 v53, 0, v36 :: v_dual_cndmask_b32 v52, 0, v55
	ds_store_b64 v0, v[4:5]
	ds_store_b64 v0, v[52:53]
.LBB4_934:                              ;   in Loop: Header=BB4_931 Depth=2
	s_or_b32 exec_lo, exec_lo, s13
	v_and_b32_e32 v4, 4, v30
	s_mov_b32 s13, -1
	s_mov_b32 s12, exec_lo
	s_delay_alu instid0(VALU_DEP_1)
	v_cmpx_ne_u32_e32 0, v4
	s_cbranch_execz .LBB4_948
; %bb.935:                              ;   in Loop: Header=BB4_931 Depth=2
	v_add_co_u32 v4, vcc_lo, v14, 2
	v_add_co_ci_u32_e32 v5, vcc_lo, 0, v15, vcc_lo
	v_mov_b32_e32 v36, 1
	s_mov_b32 s13, exec_lo
	s_delay_alu instid0(VALU_DEP_2)
	v_cmpx_lt_u64_e64 v[34:35], v[4:5]
	s_cbranch_execz .LBB4_947
; %bb.936:                              ;   in Loop: Header=BB4_931 Depth=2
	v_mov_b32_e32 v36, 0
	s_mov_b32 s28, 0
                                        ; implicit-def: $sgpr29
	s_branch .LBB4_940
.LBB4_937:                              ;   in Loop: Header=BB4_940 Depth=3
	s_or_b32 exec_lo, exec_lo, s34
	v_mov_b32_e32 v52, 0
	s_or_not1_b32 s31, s31, exec_lo
.LBB4_938:                              ;   in Loop: Header=BB4_940 Depth=3
	s_or_b32 exec_lo, exec_lo, s30
	s_delay_alu instid0(VALU_DEP_1) | instskip(SKIP_2) | instid1(SALU_CYCLE_1)
	v_mov_b32_e32 v36, v52
	s_and_not1_b32 s29, s29, exec_lo
	s_and_b32 vcc_lo, s31, exec_lo
	s_or_b32 s29, s29, vcc_lo
.LBB4_939:                              ;   in Loop: Header=BB4_940 Depth=3
	s_or_b32 exec_lo, exec_lo, vcc_hi
	s_waitcnt vmcnt(0) lgkmcnt(0)
	v_cmp_ge_u64_e32 vcc_lo, v[34:35], v[4:5]
	s_xor_b32 vcc_hi, s29, -1
	s_delay_alu instid0(SALU_CYCLE_1) | instskip(NEXT) | instid1(SALU_CYCLE_1)
	s_or_b32 vcc_lo, vcc_hi, vcc_lo
	s_and_b32 vcc_lo, exec_lo, vcc_lo
	s_delay_alu instid0(SALU_CYCLE_1) | instskip(NEXT) | instid1(SALU_CYCLE_1)
	s_or_b32 s28, vcc_lo, s28
	s_and_not1_b32 exec_lo, exec_lo, s28
	s_cbranch_execz .LBB4_946
.LBB4_940:                              ;   Parent Loop BB4_93 Depth=1
                                        ;     Parent Loop BB4_931 Depth=2
                                        ; =>    This Inner Loop Header: Depth=3
	s_sleep 1
	flat_load_b64 v[34:35], v[24:25] glc
	v_and_b32_e32 v52, 64, v30
	s_and_not1_b32 s29, s29, exec_lo
	s_mov_b32 vcc_hi, exec_lo
	s_delay_alu instid0(VALU_DEP_1)
	v_cmpx_eq_u32_e32 0, v52
	s_cbranch_execz .LBB4_939
; %bb.941:                              ;   in Loop: Header=BB4_940 Depth=3
	v_add_nc_u32_e32 v52, 1, v36
	s_mov_b32 s31, -1
	s_mov_b32 s30, exec_lo
	v_cmpx_lt_i32_e32 0x270e, v36
	s_cbranch_execz .LBB4_938
; %bb.942:                              ;   in Loop: Header=BB4_940 Depth=3
	s_cbranch_execnz .LBB4_1283
; %bb.943:                              ;   in Loop: Header=BB4_940 Depth=3
	ds_load_b64 v[52:53], v0
	s_mov_b32 s34, exec_lo
	s_waitcnt vmcnt(0) lgkmcnt(0)
	s_waitcnt_vscnt null, 0x0
	flat_load_b32 v36, v[52:53] glc
	s_waitcnt vmcnt(0) lgkmcnt(0)
	buffer_gl1_inv
	buffer_gl0_inv
	v_cmpx_ne_u32_e32 0, v36
	s_cbranch_execz .LBB4_937
; %bb.944:                              ;   in Loop: Header=BB4_940 Depth=3
	ds_store_b32 v0, v36
	s_cbranch_execnz .LBB4_1331
; %bb.945:                              ;   in Loop: Header=BB4_940 Depth=3
	v_or_b32_e32 v30, 64, v30
	s_xor_b32 s31, exec_lo, -1
	s_branch .LBB4_937
.LBB4_946:                              ;   in Loop: Header=BB4_931 Depth=2
	s_or_b32 exec_lo, exec_lo, s28
	v_and_b32_e32 v36, 4, v30
.LBB4_947:                              ;   in Loop: Header=BB4_931 Depth=2
	s_or_b32 exec_lo, exec_lo, s13
	s_delay_alu instid0(VALU_DEP_1)
	v_cmp_eq_u32_e32 vcc_lo, 0, v36
	;;#ASMSTART
	s_wakeup
	;;#ASMEND
	s_or_not1_b32 s13, vcc_lo, exec_lo
.LBB4_948:                              ;   in Loop: Header=BB4_931 Depth=2
	s_or_b32 exec_lo, exec_lo, s12
	s_xor_b32 s12, s13, -1
	s_delay_alu instid0(SALU_CYCLE_1)
	s_and_saveexec_b32 s13, s12
	s_cbranch_execz .LBB4_958
; %bb.949:                              ;   in Loop: Header=BB4_931 Depth=2
	v_and_b32_e32 v4, 0x100, v30
	v_and_b32_e32 v36, 7, v14
	s_mov_b32 s12, -1
	s_delay_alu instid0(VALU_DEP_2)
	v_cmp_ne_u32_e32 vcc_lo, 0, v4
                                        ; implicit-def: $vgpr4_vgpr5
	s_and_saveexec_b32 s28, vcc_lo
	s_cbranch_execz .LBB4_953
; %bb.950:                              ;   in Loop: Header=BB4_931 Depth=2
	v_mad_u64_u32 v[52:53], null, v36, 24, v[12:13]
	flat_load_b32 v4, v[52:53]
	s_waitcnt vmcnt(0) lgkmcnt(0)
	v_cmp_ne_u32_e32 vcc_lo, 1, v4
	v_cmp_eq_u32_e64 s12, 1, v4
                                        ; implicit-def: $vgpr4_vgpr5
	s_delay_alu instid0(VALU_DEP_1)
	s_and_saveexec_b32 s29, s12
	s_cbranch_execz .LBB4_952
; %bb.951:                              ;   in Loop: Header=BB4_931 Depth=2
	flat_load_b32 v4, v[52:53] offset:4 glc
	s_waitcnt vmcnt(0) lgkmcnt(0)
	v_ashrrev_i32_e32 v5, 31, v4
.LBB4_952:                              ;   in Loop: Header=BB4_931 Depth=2
	s_or_b32 exec_lo, exec_lo, s29
	s_delay_alu instid0(SALU_CYCLE_1)
	s_or_not1_b32 s12, vcc_lo, exec_lo
.LBB4_953:                              ;   in Loop: Header=BB4_931 Depth=2
	s_or_b32 exec_lo, exec_lo, s28
	s_and_saveexec_b32 s28, s12
; %bb.954:                              ;   in Loop: Header=BB4_931 Depth=2
	v_mad_i64_i32 v[4:5], null, v36, v70, 0
; %bb.955:                              ;   in Loop: Header=BB4_931 Depth=2
	s_or_b32 exec_lo, exec_lo, s28
	s_delay_alu instid0(VALU_DEP_1) | instskip(SKIP_1) | instid1(VALU_DEP_3)
	v_add_co_u32 v4, vcc_lo, v26, v4
	v_and_b32_e32 v36, 0x2000, v30
	v_add_co_ci_u32_e32 v5, vcc_lo, v27, v5, vcc_lo
	s_mov_b32 s12, exec_lo
	ds_store_b64 v0, v[4:5] offset:720
	v_cmpx_ne_u32_e32 0, v36
	s_cbranch_execz .LBB4_957
; %bb.956:                              ;   in Loop: Header=BB4_931 Depth=2
	ds_load_b64 v[4:5], v0 offset:584
	s_waitcnt lgkmcnt(0)
	v_add_co_u32 v4, vcc_lo, v4, 1
	v_add_co_ci_u32_e32 v5, vcc_lo, 0, v5, vcc_lo
	ds_store_b64 v0, v[4:5] offset:584
.LBB4_957:                              ;   in Loop: Header=BB4_931 Depth=2
	s_or_b32 exec_lo, exec_lo, s12
	v_add_co_u32 v14, vcc_lo, v14, 2
	v_add_co_ci_u32_e32 v15, vcc_lo, 0, v15, vcc_lo
.LBB4_958:                              ;   in Loop: Header=BB4_931 Depth=2
	s_or_b32 exec_lo, exec_lo, s13
	s_and_saveexec_b32 s12, s2
	s_cbranch_execz .LBB4_980
; %bb.959:                              ;   in Loop: Header=BB4_931 Depth=2
	s_and_saveexec_b32 s13, s3
	s_delay_alu instid0(SALU_CYCLE_1)
	s_xor_b32 s13, exec_lo, s13
	s_cbranch_execz .LBB4_977
; %bb.960:                              ;   in Loop: Header=BB4_931 Depth=2
	s_and_saveexec_b32 s28, s1
	s_cbranch_execz .LBB4_976
; %bb.961:                              ;   in Loop: Header=BB4_931 Depth=2
	s_mov_b32 vcc_hi, exec_lo
	s_mov_b32 s29, exec_lo
	v_mbcnt_lo_u32_b32 v4, vcc_hi, 0
	s_waitcnt lgkmcnt(0)
	s_waitcnt_vscnt null, 0x0
	buffer_gl1_inv
	buffer_gl0_inv
	v_cmpx_eq_u32_e32 0, v4
	s_cbranch_execz .LBB4_963
; %bb.962:                              ;   in Loop: Header=BB4_931 Depth=2
	s_bcnt1_i32_b32 vcc_lo, vcc_hi
	s_delay_alu instid0(SALU_CYCLE_1)
	v_mov_b32_e32 v36, vcc_lo
	ds_add_u64 v0, v[36:37]
	s_cbranch_execnz .LBB4_1361
.LBB4_963:                              ;   in Loop: Header=BB4_931 Depth=2
	s_or_b32 exec_lo, exec_lo, s29
	s_cbranch_execnz .LBB4_1341
; %bb.964:                              ;   in Loop: Header=BB4_931 Depth=2
	ds_load_b64 v[4:5], v0
	v_add_co_u32 v32, vcc_lo, v32, v82
	v_add_co_ci_u32_e32 v33, vcc_lo, 0, v33, vcc_lo
	s_mov_b32 s29, exec_lo
	s_waitcnt lgkmcnt(0)
	s_delay_alu instid0(VALU_DEP_1)
	v_cmpx_lt_u64_e64 v[4:5], v[32:33]
	s_cbranch_execz .LBB4_975
; %bb.965:                              ;   in Loop: Header=BB4_931 Depth=2
	s_mov_b32 vcc_hi, 0
	s_mov_b32 s34, 0
                                        ; implicit-def: $sgpr30
                                        ; implicit-def: $sgpr31
	s_branch .LBB4_967
.LBB4_966:                              ;   in Loop: Header=BB4_967 Depth=3
	s_or_b32 exec_lo, exec_lo, s36
	s_delay_alu instid0(SALU_CYCLE_1) | instskip(NEXT) | instid1(SALU_CYCLE_1)
	s_and_b32 vcc_lo, exec_lo, vcc_lo
	s_or_b32 vcc_hi, vcc_lo, vcc_hi
	s_and_not1_b32 vcc_lo, s30, exec_lo
	s_and_b32 s30, s31, exec_lo
	s_delay_alu instid0(SALU_CYCLE_1)
	s_or_b32 s30, vcc_lo, s30
	s_and_not1_b32 exec_lo, exec_lo, vcc_hi
	s_cbranch_execz .LBB4_973
.LBB4_967:                              ;   Parent Loop BB4_93 Depth=1
                                        ;     Parent Loop BB4_931 Depth=2
                                        ; =>    This Inner Loop Header: Depth=3
	s_add_i32 s34, s34, 1
                                        ; implicit-def: $sgpr36
	s_delay_alu instid0(SALU_CYCLE_1) | instskip(SKIP_1) | instid1(SALU_CYCLE_1)
	s_cmpk_lg_i32 s34, 0x2710
	s_cselect_b32 s35, -1, 0
	s_and_b32 vcc_lo, exec_lo, s35
	s_cbranch_vccz .LBB4_971
.LBB4_968:                              ;   in Loop: Header=BB4_967 Depth=3
	s_and_not1_b32 s31, s31, exec_lo
	s_and_b32 s36, s36, exec_lo
	s_mov_b32 vcc_lo, -1
	s_or_b32 s31, s31, s36
	s_and_saveexec_b32 s36, s35
	s_cbranch_execz .LBB4_966
; %bb.969:                              ;   in Loop: Header=BB4_967 Depth=3
	s_sleep 1
	s_cbranch_execnz .LBB4_1415
; %bb.970:                              ;   in Loop: Header=BB4_967 Depth=3
	ds_load_b64 v[4:5], v0
	s_and_not1_b32 s31, s31, exec_lo
	s_waitcnt lgkmcnt(0)
	v_cmp_ge_u64_e32 vcc_lo, v[4:5], v[32:33]
	s_or_not1_b32 vcc_lo, vcc_lo, exec_lo
	s_branch .LBB4_966
.LBB4_971:                              ;   in Loop: Header=BB4_967 Depth=3
	s_cbranch_execnz .LBB4_1435
; %bb.972:                              ;   in Loop: Header=BB4_967 Depth=3
	ds_load_b64 v[4:5], v0
	s_and_not1_b32 s35, s35, exec_lo
	s_mov_b32 s34, 0
	s_mov_b32 s36, -1
	s_waitcnt lgkmcnt(0)
	flat_load_b32 v4, v[4:5] glc
	s_waitcnt vmcnt(0) lgkmcnt(0)
	buffer_gl1_inv
	buffer_gl0_inv
	v_cmp_eq_u32_e32 vcc_lo, 0, v4
	s_and_b32 vcc_lo, vcc_lo, exec_lo
	s_delay_alu instid0(SALU_CYCLE_1)
	s_or_b32 s35, s35, vcc_lo
	s_branch .LBB4_968
.LBB4_973:                              ;   in Loop: Header=BB4_931 Depth=2
	s_or_b32 exec_lo, exec_lo, vcc_hi
	s_and_saveexec_b32 vcc_lo, s30
	s_delay_alu instid0(SALU_CYCLE_1)
	s_xor_b32 vcc_lo, exec_lo, vcc_lo
	s_cbranch_execz .LBB4_975
; %bb.974:                              ;   in Loop: Header=BB4_931 Depth=2
	ds_store_b32 v0, v118
	s_cbranch_execnz .LBB4_1584
.LBB4_975:                              ;   in Loop: Header=BB4_931 Depth=2
	s_or_b32 exec_lo, exec_lo, s29
	;;#ASMSTART
	s_wakeup
	;;#ASMEND
.LBB4_976:                              ;   in Loop: Header=BB4_931 Depth=2
	s_or_b32 exec_lo, exec_lo, s28
.LBB4_977:                              ;   in Loop: Header=BB4_931 Depth=2
	s_and_not1_saveexec_b32 s13, s13
	s_cbranch_execz .LBB4_979
; %bb.978:                              ;   in Loop: Header=BB4_931 Depth=2
	s_waitcnt lgkmcnt(0)
	s_waitcnt_vscnt null, 0x0
	buffer_gl1_inv
	buffer_gl0_inv
	s_barrier
.LBB4_979:                              ;   in Loop: Header=BB4_931 Depth=2
	s_or_b32 exec_lo, exec_lo, s13
.LBB4_980:                              ;   in Loop: Header=BB4_931 Depth=2
	s_delay_alu instid0(SALU_CYCLE_1)
	s_or_b32 exec_lo, exec_lo, s12
	s_cbranch_execnz .LBB4_1246
; %bb.981:                              ;   in Loop: Header=BB4_931 Depth=2
	ds_load_b32 v4, v0
	v_and_b32_e32 v5, 0x4000, v30
	s_delay_alu instid0(VALU_DEP_1) | instskip(SKIP_1) | instid1(SALU_CYCLE_1)
	v_cmp_ne_u32_e32 vcc_lo, 0, v5
	s_and_b32 s13, s27, vcc_lo
	s_and_saveexec_b32 s12, s13
	s_cbranch_execz .LBB4_1003
; %bb.982:                              ;   in Loop: Header=BB4_931 Depth=2
	s_and_saveexec_b32 s13, s3
	s_delay_alu instid0(SALU_CYCLE_1)
	s_xor_b32 s13, exec_lo, s13
	s_cbranch_execz .LBB4_1000
; %bb.983:                              ;   in Loop: Header=BB4_931 Depth=2
	s_and_saveexec_b32 s28, s1
	s_cbranch_execz .LBB4_999
; %bb.984:                              ;   in Loop: Header=BB4_931 Depth=2
	s_mov_b32 vcc_hi, exec_lo
	s_mov_b32 s29, exec_lo
	v_mbcnt_lo_u32_b32 v5, vcc_hi, 0
	s_waitcnt lgkmcnt(0)
	s_waitcnt_vscnt null, 0x0
	buffer_gl1_inv
	buffer_gl0_inv
	v_cmpx_eq_u32_e32 0, v5
	s_cbranch_execz .LBB4_986
; %bb.985:                              ;   in Loop: Header=BB4_931 Depth=2
	s_bcnt1_i32_b32 vcc_lo, vcc_hi
	s_delay_alu instid0(SALU_CYCLE_1)
	v_mov_b32_e32 v36, vcc_lo
	ds_add_u64 v0, v[36:37]
	s_cbranch_execnz .LBB4_1407
.LBB4_986:                              ;   in Loop: Header=BB4_931 Depth=2
	s_or_b32 exec_lo, exec_lo, s29
	s_cbranch_execnz .LBB4_1383
; %bb.987:                              ;   in Loop: Header=BB4_931 Depth=2
	ds_load_b64 v[52:53], v0
	v_add_co_u32 v32, vcc_lo, v32, v82
	v_add_co_ci_u32_e32 v33, vcc_lo, 0, v33, vcc_lo
	s_mov_b32 s29, exec_lo
	s_waitcnt lgkmcnt(0)
	s_delay_alu instid0(VALU_DEP_1)
	v_cmpx_lt_u64_e64 v[52:53], v[32:33]
	s_cbranch_execz .LBB4_998
; %bb.988:                              ;   in Loop: Header=BB4_931 Depth=2
	s_mov_b32 vcc_hi, 0
	s_mov_b32 s34, 0
                                        ; implicit-def: $sgpr30
                                        ; implicit-def: $sgpr31
	s_branch .LBB4_990
.LBB4_989:                              ;   in Loop: Header=BB4_990 Depth=3
	s_or_b32 exec_lo, exec_lo, s36
	s_delay_alu instid0(SALU_CYCLE_1) | instskip(NEXT) | instid1(SALU_CYCLE_1)
	s_and_b32 vcc_lo, exec_lo, vcc_lo
	s_or_b32 vcc_hi, vcc_lo, vcc_hi
	s_and_not1_b32 vcc_lo, s30, exec_lo
	s_and_b32 s30, s31, exec_lo
	s_delay_alu instid0(SALU_CYCLE_1)
	s_or_b32 s30, vcc_lo, s30
	s_and_not1_b32 exec_lo, exec_lo, vcc_hi
	s_cbranch_execz .LBB4_996
.LBB4_990:                              ;   Parent Loop BB4_93 Depth=1
                                        ;     Parent Loop BB4_931 Depth=2
                                        ; =>    This Inner Loop Header: Depth=3
	s_add_i32 s34, s34, 1
                                        ; implicit-def: $sgpr36
	s_delay_alu instid0(SALU_CYCLE_1) | instskip(SKIP_1) | instid1(SALU_CYCLE_1)
	s_cmpk_lg_i32 s34, 0x2710
	s_cselect_b32 s35, -1, 0
	s_and_b32 vcc_lo, exec_lo, s35
	s_cbranch_vccz .LBB4_994
.LBB4_991:                              ;   in Loop: Header=BB4_990 Depth=3
	s_and_not1_b32 s31, s31, exec_lo
	s_and_b32 s36, s36, exec_lo
	s_mov_b32 vcc_lo, -1
	s_or_b32 s31, s31, s36
	s_and_saveexec_b32 s36, s35
	s_cbranch_execz .LBB4_989
; %bb.992:                              ;   in Loop: Header=BB4_990 Depth=3
	s_sleep 1
	s_cbranch_execnz .LBB4_1486
; %bb.993:                              ;   in Loop: Header=BB4_990 Depth=3
	ds_load_b64 v[52:53], v0
	s_and_not1_b32 s31, s31, exec_lo
	s_waitcnt lgkmcnt(0)
	v_cmp_ge_u64_e32 vcc_lo, v[52:53], v[32:33]
	s_or_not1_b32 vcc_lo, vcc_lo, exec_lo
	s_branch .LBB4_989
.LBB4_994:                              ;   in Loop: Header=BB4_990 Depth=3
	s_cbranch_execnz .LBB4_1498
; %bb.995:                              ;   in Loop: Header=BB4_990 Depth=3
	ds_load_b64 v[52:53], v0
	s_and_not1_b32 s35, s35, exec_lo
	s_mov_b32 s34, 0
	s_mov_b32 s36, -1
	s_waitcnt lgkmcnt(0)
	flat_load_b32 v5, v[52:53] glc
	s_waitcnt vmcnt(0) lgkmcnt(0)
	buffer_gl1_inv
	buffer_gl0_inv
	v_cmp_eq_u32_e32 vcc_lo, 0, v5
	s_and_b32 vcc_lo, vcc_lo, exec_lo
	s_delay_alu instid0(SALU_CYCLE_1)
	s_or_b32 s35, s35, vcc_lo
	s_branch .LBB4_991
.LBB4_996:                              ;   in Loop: Header=BB4_931 Depth=2
	s_or_b32 exec_lo, exec_lo, vcc_hi
	s_and_saveexec_b32 vcc_lo, s30
	s_delay_alu instid0(SALU_CYCLE_1)
	s_xor_b32 vcc_lo, exec_lo, vcc_lo
	s_cbranch_execz .LBB4_998
; %bb.997:                              ;   in Loop: Header=BB4_931 Depth=2
	ds_store_b32 v0, v118
	s_cbranch_execnz .LBB4_1596
.LBB4_998:                              ;   in Loop: Header=BB4_931 Depth=2
	s_or_b32 exec_lo, exec_lo, s29
	;;#ASMSTART
	s_wakeup
	;;#ASMEND
.LBB4_999:                              ;   in Loop: Header=BB4_931 Depth=2
	s_or_b32 exec_lo, exec_lo, s28
.LBB4_1000:                             ;   in Loop: Header=BB4_931 Depth=2
	s_and_not1_saveexec_b32 s13, s13
	s_cbranch_execz .LBB4_1002
; %bb.1001:                             ;   in Loop: Header=BB4_931 Depth=2
	s_waitcnt lgkmcnt(0)
	s_waitcnt_vscnt null, 0x0
	buffer_gl1_inv
	buffer_gl0_inv
	s_barrier
.LBB4_1002:                             ;   in Loop: Header=BB4_931 Depth=2
	s_or_b32 exec_lo, exec_lo, s13
.LBB4_1003:                             ;   in Loop: Header=BB4_931 Depth=2
	s_delay_alu instid0(SALU_CYCLE_1)
	s_or_b32 exec_lo, exec_lo, s12
	s_cbranch_execnz .LBB4_1285
; %bb.1004:                             ;   in Loop: Header=BB4_931 Depth=2
	ds_load_b64 v[52:53], v0
	v_sub_nc_u32_e32 v5, v119, v54
	v_mov_b32_e32 v55, 0
	s_delay_alu instid0(VALU_DEP_2) | instskip(SKIP_3) | instid1(SALU_CYCLE_1)
	v_min_i32_e32 v128, v128, v5
	s_waitcnt lgkmcnt(0)
	v_cmp_eq_u64_e32 vcc_lo, 0, v[52:53]
	s_or_b32 s12, vcc_lo, vcc_lo
	s_and_b32 vcc_lo, exec_lo, s12
	s_cbranch_vccnz .LBB4_1038
; %bb.1005:                             ;   in Loop: Header=BB4_931 Depth=2
	s_mov_b32 s12, -1
	s_and_saveexec_b32 s13, s11
	s_cbranch_execz .LBB4_1007
; %bb.1006:                             ;   in Loop: Header=BB4_931 Depth=2
	ds_load_b32 v5, v0 offset:720
	s_waitcnt lgkmcnt(0)
	v_and_b32_e32 v5, 15, v5
	s_delay_alu instid0(VALU_DEP_1)
	v_cmp_eq_u32_e32 vcc_lo, 0, v5
	s_or_not1_b32 s12, vcc_lo, exec_lo
.LBB4_1007:                             ;   in Loop: Header=BB4_931 Depth=2
	s_or_b32 exec_lo, exec_lo, s13
	s_and_saveexec_b32 s13, s4
	s_cbranch_execz .LBB4_1009
; %bb.1008:                             ;   in Loop: Header=BB4_931 Depth=2
	ds_load_b32 v5, v0 offset:784
	s_waitcnt lgkmcnt(0)
	v_and_b32_e32 v5, 15, v5
	s_delay_alu instid0(VALU_DEP_1) | instskip(SKIP_3) | instid1(SALU_CYCLE_1)
	v_cmp_eq_u32_e32 vcc_lo, 0, v5
	s_and_b32 s28, s12, vcc_lo
	s_and_not1_b32 s12, s12, exec_lo
	s_and_b32 s28, s28, exec_lo
	s_or_b32 s12, s12, s28
.LBB4_1009:                             ;   in Loop: Header=BB4_931 Depth=2
	s_or_b32 exec_lo, exec_lo, s13
	v_cmp_eq_u32_e32 vcc_lo, 0, v4
	s_xor_b32 s12, s12, -1
	v_mov_b32_e32 v129, v96
	v_cndmask_b32_e64 v5, 0, 1, s12
	;;#ASMSTART
	;;#ASMEND
	v_dual_cndmask_b32 v55, 0, v128 :: v_dual_mov_b32 v36, 0
	s_delay_alu instid0(VALU_DEP_2) | instskip(SKIP_1) | instid1(VALU_DEP_2)
	v_cmp_ne_u32_e32 vcc_lo, 0, v5
	s_mov_b32 s12, -1
	v_dual_mov_b32 v65, v0 :: v_dual_mov_b32 v64, v55
	s_cbranch_vccnz .LBB4_1025
; %bb.1010:                             ;   in Loop: Header=BB4_931 Depth=2
	v_ashrrev_i32_e32 v4, 31, v55
	s_mov_b32 s13, exec_lo
	s_delay_alu instid0(VALU_DEP_1) | instskip(NEXT) | instid1(VALU_DEP_1)
	v_lshrrev_b32_e32 v4, 22, v4
	v_add_nc_u32_e32 v4, v55, v4
	s_delay_alu instid0(VALU_DEP_1) | instskip(NEXT) | instid1(VALU_DEP_1)
	v_ashrrev_i32_e32 v36, 10, v4
	v_sub_nc_u32_e32 v66, v36, v96
	s_delay_alu instid0(VALU_DEP_1)
	v_cmpx_lt_i32_e32 0, v66
	s_cbranch_execz .LBB4_1015
; %bb.1011:                             ;   in Loop: Header=BB4_931 Depth=2
	s_cbranch_execnz .LBB4_1439
; %bb.1012:                             ;   in Loop: Header=BB4_931 Depth=2
	ds_load_b64 v[4:5], v0
	v_dual_mov_b32 v53, v49 :: v_dual_mov_b32 v52, v48
	s_mov_b32 s28, 0
.LBB4_1013:                             ;   Parent Loop BB4_93 Depth=1
                                        ;     Parent Loop BB4_931 Depth=2
                                        ; =>    This Inner Loop Header: Depth=3
	s_waitcnt lgkmcnt(0)
	s_delay_alu instid0(VALU_DEP_1) | instskip(NEXT) | instid1(VALU_DEP_2)
	v_add_co_u32 v64, vcc_lo, v4, v52
	v_add_co_ci_u32_e32 v65, vcc_lo, v5, v53, vcc_lo
	v_sub_nc_u32_e32 v66, v66, v82
	v_add_co_u32 v52, s12, v52, v116
	s_clause 0x1
	global_load_b128 v[129:132], v[64:65], off slc dlc
	global_load_b128 v[144:147], v[64:65], off offset:512 slc dlc
	v_add_co_ci_u32_e64 v53, s12, v53, v117, s12
	v_cmp_gt_i32_e32 vcc_lo, 1, v66
	s_waitcnt vmcnt(1)
	global_store_b128 v[64:65], v[129:132], off glc slc dlc
	s_waitcnt vmcnt(0)
	global_store_b128 v[64:65], v[144:147], off offset:512 glc slc dlc
	s_or_b32 s28, vcc_lo, s28
	s_delay_alu instid0(SALU_CYCLE_1)
	s_and_not1_b32 exec_lo, exec_lo, s28
	s_cbranch_execnz .LBB4_1013
; %bb.1014:                             ;   in Loop: Header=BB4_931 Depth=2
	s_or_b32 exec_lo, exec_lo, s28
.LBB4_1015:                             ;   in Loop: Header=BB4_931 Depth=2
	s_delay_alu instid0(SALU_CYCLE_1) | instskip(SKIP_4) | instid1(VALU_DEP_2)
	s_or_b32 exec_lo, exec_lo, s13
	v_lshlrev_b32_e32 v52, 10, v36
	v_mov_b32_e32 v36, 0
	s_mov_b32 s12, 0
	s_mov_b32 s28, exec_lo
                                        ; implicit-def: $vgpr64
                                        ; implicit-def: $vgpr65
                                        ; implicit-def: $vgpr129
	v_cmpx_ne_u32_e64 v55, v52
	s_cbranch_execz .LBB4_1024
; %bb.1016:                             ;   in Loop: Header=BB4_931 Depth=2
	v_lshlrev_b32_e32 v4, 5, v66
	v_sub_nc_u32_e32 v36, v55, v52
	s_mov_b32 s29, exec_lo
	s_delay_alu instid0(VALU_DEP_2) | instskip(NEXT) | instid1(VALU_DEP_2)
	v_sub_nc_u32_e32 v4, v97, v4
	v_ashrrev_i32_e32 v53, 31, v36
	s_delay_alu instid0(VALU_DEP_2) | instskip(NEXT) | instid1(VALU_DEP_2)
	v_ashrrev_i32_e32 v5, 31, v4
	v_lshrrev_b32_e32 v53, 23, v53
	s_delay_alu instid0(VALU_DEP_2) | instskip(NEXT) | instid1(VALU_DEP_2)
	v_lshrrev_b32_e32 v5, 27, v5
	v_add_nc_u32_e32 v65, v36, v53
	s_delay_alu instid0(VALU_DEP_2) | instskip(NEXT) | instid1(VALU_DEP_2)
	v_add_nc_u32_e32 v5, v4, v5
	v_and_b32_e32 v53, 0xfffffe00, v65
	v_ashrrev_i32_e32 v65, 9, v65
	s_delay_alu instid0(VALU_DEP_3) | instskip(NEXT) | instid1(VALU_DEP_3)
	v_and_b32_e32 v64, 0xffffffe0, v5
	v_sub_nc_u32_e32 v67, v36, v53
	s_delay_alu instid0(VALU_DEP_2) | instskip(SKIP_1) | instid1(VALU_DEP_3)
	v_sub_nc_u32_e32 v66, v4, v64
	v_ashrrev_i32_e32 v4, 5, v5
	v_cmp_lt_i32_e32 vcc_lo, 15, v67
	s_delay_alu instid0(VALU_DEP_3) | instskip(NEXT) | instid1(VALU_DEP_1)
	v_lshlrev_b32_e32 v5, 4, v66
	v_lshl_add_u32 v64, v4, 9, v5
	v_add_co_ci_u32_e64 v5, s12, 0, v65, vcc_lo
	s_delay_alu instid0(VALU_DEP_2) | instskip(NEXT) | instid1(VALU_DEP_2)
	v_sub_nc_u32_e32 v36, v36, v64
	v_sub_nc_u32_e32 v130, v5, v4
	s_delay_alu instid0(VALU_DEP_2)
	v_cmpx_lt_i32_e32 15, v36
	s_cbranch_execz .LBB4_1021
; %bb.1017:                             ;   in Loop: Header=BB4_931 Depth=2
	s_cbranch_execnz .LBB4_1512
; %bb.1018:                             ;   in Loop: Header=BB4_931 Depth=2
	ds_load_b64 v[4:5], v0
	v_add_nc_u32_e32 v64, v64, v52
	s_mov_b32 vcc_hi, 0
	s_delay_alu instid0(VALU_DEP_1)
	v_ashrrev_i32_e32 v65, 31, v64
.LBB4_1019:                             ;   Parent Loop BB4_93 Depth=1
                                        ;     Parent Loop BB4_931 Depth=2
                                        ; =>    This Inner Loop Header: Depth=3
	s_waitcnt lgkmcnt(0)
	v_add_co_u32 v144, s12, v4, v64
	s_delay_alu instid0(VALU_DEP_1)
	v_add_co_ci_u32_e64 v145, s12, v5, v65, s12
	v_sub_nc_u32_e32 v36, v36, v85
	v_add_co_u32 v64, s13, v64, v100
	global_load_b128 v[131:134], v[144:145], off slc dlc
	v_sub_nc_u32_e32 v130, v130, v82
	v_cmp_gt_i32_e64 s12, 16, v36
	v_add_co_ci_u32_e64 v65, s13, v65, v101, s13
	s_delay_alu instid0(VALU_DEP_2)
	s_or_b32 vcc_hi, s12, vcc_hi
	s_waitcnt vmcnt(0)
	global_store_b128 v[144:145], v[131:134], off glc slc dlc
	s_and_not1_b32 exec_lo, exec_lo, vcc_hi
	s_cbranch_execnz .LBB4_1019
; %bb.1020:                             ;   in Loop: Header=BB4_931 Depth=2
	s_or_b32 exec_lo, exec_lo, vcc_hi
.LBB4_1021:                             ;   in Loop: Header=BB4_931 Depth=2
	s_delay_alu instid0(SALU_CYCLE_1) | instskip(SKIP_4) | instid1(VALU_DEP_2)
	s_or_b32 exec_lo, exec_lo, s29
	v_and_b32_e32 v4, 15, v55
	v_mov_b32_e32 v36, 0
	s_mov_b32 s13, 0
	s_mov_b32 s29, exec_lo
                                        ; implicit-def: $vgpr65
                                        ; implicit-def: $vgpr129
	v_cndmask_b32_e32 v64, v67, v4, vcc_lo
	s_delay_alu instid0(VALU_DEP_1)
	v_cmpx_ne_u32_e32 0, v64
; %bb.1022:                             ;   in Loop: Header=BB4_931 Depth=2
	v_cmp_lt_i32_e64 s12, 0, v130
	v_sub_nc_u32_e32 v4, v67, v4
	s_mov_b32 s13, exec_lo
	s_delay_alu instid0(VALU_DEP_2) | instskip(NEXT) | instid1(VALU_DEP_1)
	v_cndmask_b32_e64 v5, 0, v82, s12
	v_sub_nc_u32_e32 v5, v5, v130
	s_delay_alu instid0(VALU_DEP_1) | instskip(NEXT) | instid1(VALU_DEP_1)
	v_lshl_add_u32 v65, v5, 5, v66
	v_ashrrev_i32_e32 v5, 31, v65
	s_delay_alu instid0(VALU_DEP_1) | instskip(NEXT) | instid1(VALU_DEP_1)
	v_lshrrev_b32_e32 v5, 27, v5
	v_dual_cndmask_b32 v4, 0, v4 :: v_dual_add_nc_u32 v5, v65, v5
	s_delay_alu instid0(VALU_DEP_1) | instskip(NEXT) | instid1(VALU_DEP_2)
	v_add3_u32 v36, v53, v52, v4
	v_ashrrev_i32_e32 v129, 5, v5
; %bb.1023:                             ;   in Loop: Header=BB4_931 Depth=2
	s_or_b32 exec_lo, exec_lo, s29
	s_delay_alu instid0(SALU_CYCLE_1)
	s_and_b32 s12, s13, exec_lo
.LBB4_1024:                             ;   in Loop: Header=BB4_931 Depth=2
	s_or_b32 exec_lo, exec_lo, s28
.LBB4_1025:                             ;   in Loop: Header=BB4_931 Depth=2
	s_and_saveexec_b32 s13, s12
	s_cbranch_execz .LBB4_1037
; %bb.1026:                             ;   in Loop: Header=BB4_931 Depth=2
	s_delay_alu instid0(VALU_DEP_1) | instskip(SKIP_1) | instid1(VALU_DEP_1)
	v_ashrrev_i32_e32 v4, 31, v64
	s_mov_b32 s12, exec_lo
	v_lshrrev_b32_e32 v4, 24, v4
	s_delay_alu instid0(VALU_DEP_1) | instskip(NEXT) | instid1(VALU_DEP_1)
	v_add_nc_u32_e32 v4, v64, v4
	v_ashrrev_i32_e32 v67, 8, v4
	s_delay_alu instid0(VALU_DEP_1) | instskip(NEXT) | instid1(VALU_DEP_1)
	v_sub_nc_u32_e32 v66, v67, v129
	v_cmpx_lt_i32_e32 0, v66
	s_cbranch_execz .LBB4_1031
; %bb.1027:                             ;   in Loop: Header=BB4_931 Depth=2
	s_cbranch_execnz .LBB4_1427
; %bb.1028:                             ;   in Loop: Header=BB4_931 Depth=2
	v_ashrrev_i32_e32 v4, 31, v65
	s_mov_b32 s28, 0
	s_delay_alu instid0(VALU_DEP_1) | instskip(NEXT) | instid1(VALU_DEP_1)
	v_lshrrev_b32_e32 v4, 27, v4
	v_add_nc_u32_e32 v52, v65, v4
	ds_load_b64 v[4:5], v0
	v_lshlrev_b32_e32 v53, 8, v129
	v_and_b32_e32 v52, 0xffffffe0, v52
	s_delay_alu instid0(VALU_DEP_1) | instskip(NEXT) | instid1(VALU_DEP_1)
	v_sub_nc_u32_e32 v52, v65, v52
	v_add3_u32 v129, v36, v52, v53
	s_delay_alu instid0(VALU_DEP_1)
	v_ashrrev_i32_e32 v130, 31, v129
	s_waitcnt lgkmcnt(0)
	v_dual_mov_b32 v53, v5 :: v_dual_mov_b32 v52, v4
.LBB4_1029:                             ;   Parent Loop BB4_93 Depth=1
                                        ;     Parent Loop BB4_931 Depth=2
                                        ; =>    This Inner Loop Header: Depth=3
	s_delay_alu instid0(VALU_DEP_1) | instskip(NEXT) | instid1(VALU_DEP_2)
	v_add_co_u32 v131, vcc_lo, v129, v52
	v_add_co_ci_u32_e32 v132, vcc_lo, v130, v53, vcc_lo
	v_sub_nc_u32_e32 v66, v66, v82
	s_clause 0x7
	flat_load_u8 v133, v[131:132] slc dlc
	flat_load_u8 v134, v[131:132] offset:32 slc dlc
	flat_load_u8 v135, v[131:132] offset:64 slc dlc
	flat_load_u8 v144, v[131:132] offset:96 slc dlc
	flat_load_u8 v145, v[131:132] offset:128 slc dlc
	flat_load_u8 v146, v[131:132] offset:160 slc dlc
	flat_load_u8 v147, v[131:132] offset:192 slc dlc
	flat_load_u8 v148, v[131:132] offset:224 slc dlc
	v_add_co_u32 v131, vcc_lo, v129, v4
	v_add_co_ci_u32_e32 v132, vcc_lo, v130, v5, vcc_lo
	v_add_co_u32 v52, vcc_lo, v52, v103
	v_add_co_ci_u32_e32 v53, vcc_lo, v53, v112, vcc_lo
	v_add_co_u32 v4, vcc_lo, v4, v103
	v_add_co_ci_u32_e32 v5, vcc_lo, v5, v112, vcc_lo
	v_cmp_gt_i32_e32 vcc_lo, 1, v66
	s_waitcnt vmcnt(7) lgkmcnt(7)
	flat_store_b8 v[131:132], v133 glc slc dlc
	s_waitcnt vmcnt(6) lgkmcnt(7)
	flat_store_b8 v[131:132], v134 offset:32 glc slc dlc
	s_waitcnt vmcnt(5) lgkmcnt(7)
	flat_store_b8 v[131:132], v135 offset:64 glc slc dlc
	;; [unrolled: 2-line block ×7, first 2 shown]
	s_or_b32 s28, vcc_lo, s28
	s_delay_alu instid0(SALU_CYCLE_1)
	s_and_not1_b32 exec_lo, exec_lo, s28
	s_cbranch_execnz .LBB4_1029
; %bb.1030:                             ;   in Loop: Header=BB4_931 Depth=2
	s_or_b32 exec_lo, exec_lo, s28
.LBB4_1031:                             ;   in Loop: Header=BB4_931 Depth=2
	s_delay_alu instid0(SALU_CYCLE_1) | instskip(SKIP_2) | instid1(VALU_DEP_1)
	s_or_b32 exec_lo, exec_lo, s12
	v_lshlrev_b32_e32 v4, 8, v67
	s_mov_b32 s28, exec_lo
	v_cmpx_ne_u32_e64 v64, v4
	s_cbranch_execz .LBB4_1036
; %bb.1032:                             ;   in Loop: Header=BB4_931 Depth=2
	v_ashrrev_i32_e32 v5, 31, v65
	v_lshlrev_b32_e32 v52, 5, v66
	s_delay_alu instid0(VALU_DEP_2) | instskip(NEXT) | instid1(VALU_DEP_1)
	v_lshrrev_b32_e32 v5, 27, v5
	v_add_nc_u32_e32 v5, v65, v5
	s_delay_alu instid0(VALU_DEP_1) | instskip(NEXT) | instid1(VALU_DEP_1)
	v_and_b32_e32 v5, 0xffffffe0, v5
	v_sub_nc_u32_e32 v5, v65, v5
	s_delay_alu instid0(VALU_DEP_1) | instskip(NEXT) | instid1(VALU_DEP_1)
	v_sub_nc_u32_e32 v5, v5, v52
	v_add_nc_u32_e32 v53, v4, v5
	s_delay_alu instid0(VALU_DEP_1) | instskip(NEXT) | instid1(VALU_DEP_1)
	v_sub_nc_u32_e32 v52, v64, v53
	v_cmp_lt_i32_e32 vcc_lo, 0, v52
	s_and_b32 exec_lo, exec_lo, vcc_lo
	s_cbranch_execz .LBB4_1036
; %bb.1033:                             ;   in Loop: Header=BB4_931 Depth=2
	s_cbranch_execnz .LBB4_1504
; %bb.1034:                             ;   in Loop: Header=BB4_931 Depth=2
	ds_load_b64 v[4:5], v0
	v_add_nc_u32_e32 v36, v53, v36
	s_mov_b32 s29, 0
	s_delay_alu instid0(VALU_DEP_1)
	v_ashrrev_i32_e32 v53, 31, v36
.LBB4_1035:                             ;   Parent Loop BB4_93 Depth=1
                                        ;     Parent Loop BB4_931 Depth=2
                                        ; =>    This Inner Loop Header: Depth=3
	s_waitcnt lgkmcnt(0)
	v_add_co_u32 v64, vcc_lo, v4, v36
	s_delay_alu instid0(VALU_DEP_2)
	v_add_co_ci_u32_e32 v65, vcc_lo, v5, v53, vcc_lo
	v_sub_nc_u32_e32 v52, v52, v84
	v_add_co_u32 v36, s12, v36, v114
	flat_load_u8 v66, v[64:65] slc dlc
	v_add_co_ci_u32_e64 v53, s12, v53, v115, s12
	v_cmp_gt_i32_e32 vcc_lo, 1, v52
	s_or_b32 s29, vcc_lo, s29
	s_waitcnt vmcnt(0) lgkmcnt(0)
	flat_store_b8 v[64:65], v66 glc slc dlc
	s_and_not1_b32 exec_lo, exec_lo, s29
	s_cbranch_execnz .LBB4_1035
.LBB4_1036:                             ;   in Loop: Header=BB4_931 Depth=2
	s_or_b32 exec_lo, exec_lo, s28
.LBB4_1037:                             ;   in Loop: Header=BB4_931 Depth=2
	s_delay_alu instid0(SALU_CYCLE_1)
	s_or_b32 exec_lo, exec_lo, s13
.LBB4_1038:                             ;   in Loop: Header=BB4_931 Depth=2
	s_and_saveexec_b32 s12, s2
	s_cbranch_execz .LBB4_1060
; %bb.1039:                             ;   in Loop: Header=BB4_931 Depth=2
	s_and_saveexec_b32 s13, s3
	s_delay_alu instid0(SALU_CYCLE_1)
	s_xor_b32 s13, exec_lo, s13
	s_cbranch_execz .LBB4_1057
; %bb.1040:                             ;   in Loop: Header=BB4_931 Depth=2
	s_and_saveexec_b32 s28, s1
	s_cbranch_execz .LBB4_1056
; %bb.1041:                             ;   in Loop: Header=BB4_931 Depth=2
	s_mov_b32 vcc_hi, exec_lo
	s_mov_b32 s29, exec_lo
	v_mbcnt_lo_u32_b32 v4, vcc_hi, 0
	s_waitcnt lgkmcnt(0)
	s_waitcnt_vscnt null, 0x0
	buffer_gl1_inv
	buffer_gl0_inv
	v_cmpx_eq_u32_e32 0, v4
	s_cbranch_execz .LBB4_1043
; %bb.1042:                             ;   in Loop: Header=BB4_931 Depth=2
	s_bcnt1_i32_b32 vcc_lo, vcc_hi
	s_delay_alu instid0(SALU_CYCLE_1)
	v_mov_b32_e32 v36, vcc_lo
	ds_add_u64 v0, v[36:37]
	s_cbranch_execnz .LBB4_1490
.LBB4_1043:                             ;   in Loop: Header=BB4_931 Depth=2
	s_or_b32 exec_lo, exec_lo, s29
	s_cbranch_execnz .LBB4_1466
; %bb.1044:                             ;   in Loop: Header=BB4_931 Depth=2
	ds_load_b64 v[4:5], v0
	v_add_co_u32 v32, vcc_lo, v32, v82
	v_add_co_ci_u32_e32 v33, vcc_lo, 0, v33, vcc_lo
	s_mov_b32 s29, exec_lo
	s_waitcnt lgkmcnt(0)
	s_delay_alu instid0(VALU_DEP_1)
	v_cmpx_lt_u64_e64 v[4:5], v[32:33]
	s_cbranch_execz .LBB4_1055
; %bb.1045:                             ;   in Loop: Header=BB4_931 Depth=2
	s_mov_b32 vcc_hi, 0
	s_mov_b32 s34, 0
                                        ; implicit-def: $sgpr30
                                        ; implicit-def: $sgpr31
	s_branch .LBB4_1047
.LBB4_1046:                             ;   in Loop: Header=BB4_1047 Depth=3
	s_or_b32 exec_lo, exec_lo, s36
	s_delay_alu instid0(SALU_CYCLE_1) | instskip(NEXT) | instid1(SALU_CYCLE_1)
	s_and_b32 vcc_lo, exec_lo, vcc_lo
	s_or_b32 vcc_hi, vcc_lo, vcc_hi
	s_and_not1_b32 vcc_lo, s30, exec_lo
	s_and_b32 s30, s31, exec_lo
	s_delay_alu instid0(SALU_CYCLE_1)
	s_or_b32 s30, vcc_lo, s30
	s_and_not1_b32 exec_lo, exec_lo, vcc_hi
	s_cbranch_execz .LBB4_1053
.LBB4_1047:                             ;   Parent Loop BB4_93 Depth=1
                                        ;     Parent Loop BB4_931 Depth=2
                                        ; =>    This Inner Loop Header: Depth=3
	s_add_i32 s34, s34, 1
                                        ; implicit-def: $sgpr36
	s_delay_alu instid0(SALU_CYCLE_1) | instskip(SKIP_1) | instid1(SALU_CYCLE_1)
	s_cmpk_lg_i32 s34, 0x2710
	s_cselect_b32 s35, -1, 0
	s_and_b32 vcc_lo, exec_lo, s35
	s_cbranch_vccz .LBB4_1051
.LBB4_1048:                             ;   in Loop: Header=BB4_1047 Depth=3
	s_and_not1_b32 s31, s31, exec_lo
	s_and_b32 s36, s36, exec_lo
	s_mov_b32 vcc_lo, -1
	s_or_b32 s31, s31, s36
	s_and_saveexec_b32 s36, s35
	s_cbranch_execz .LBB4_1046
; %bb.1049:                             ;   in Loop: Header=BB4_1047 Depth=3
	s_sleep 1
	s_cbranch_execnz .LBB4_1536
; %bb.1050:                             ;   in Loop: Header=BB4_1047 Depth=3
	ds_load_b64 v[4:5], v0
	s_and_not1_b32 s31, s31, exec_lo
	s_waitcnt lgkmcnt(0)
	v_cmp_ge_u64_e32 vcc_lo, v[4:5], v[32:33]
	s_or_not1_b32 vcc_lo, vcc_lo, exec_lo
	s_branch .LBB4_1046
.LBB4_1051:                             ;   in Loop: Header=BB4_1047 Depth=3
	s_cbranch_execnz .LBB4_1548
; %bb.1052:                             ;   in Loop: Header=BB4_1047 Depth=3
	ds_load_b64 v[4:5], v0
	s_and_not1_b32 s35, s35, exec_lo
	s_mov_b32 s34, 0
	s_mov_b32 s36, -1
	s_waitcnt lgkmcnt(0)
	flat_load_b32 v4, v[4:5] glc
	s_waitcnt vmcnt(0) lgkmcnt(0)
	buffer_gl1_inv
	buffer_gl0_inv
	v_cmp_eq_u32_e32 vcc_lo, 0, v4
	s_and_b32 vcc_lo, vcc_lo, exec_lo
	s_delay_alu instid0(SALU_CYCLE_1)
	s_or_b32 s35, s35, vcc_lo
	s_branch .LBB4_1048
.LBB4_1053:                             ;   in Loop: Header=BB4_931 Depth=2
	s_or_b32 exec_lo, exec_lo, vcc_hi
	s_and_saveexec_b32 vcc_lo, s30
	s_delay_alu instid0(SALU_CYCLE_1)
	s_xor_b32 vcc_lo, exec_lo, vcc_lo
	s_cbranch_execz .LBB4_1055
; %bb.1054:                             ;   in Loop: Header=BB4_931 Depth=2
	ds_store_b32 v0, v118
	s_cbranch_execnz .LBB4_1608
.LBB4_1055:                             ;   in Loop: Header=BB4_931 Depth=2
	s_or_b32 exec_lo, exec_lo, s29
	;;#ASMSTART
	s_wakeup
	;;#ASMEND
.LBB4_1056:                             ;   in Loop: Header=BB4_931 Depth=2
	s_or_b32 exec_lo, exec_lo, s28
.LBB4_1057:                             ;   in Loop: Header=BB4_931 Depth=2
	s_and_not1_saveexec_b32 s13, s13
	s_cbranch_execz .LBB4_1059
; %bb.1058:                             ;   in Loop: Header=BB4_931 Depth=2
	s_waitcnt lgkmcnt(0)
	s_waitcnt_vscnt null, 0x0
	buffer_gl1_inv
	buffer_gl0_inv
	s_barrier
.LBB4_1059:                             ;   in Loop: Header=BB4_931 Depth=2
	s_or_b32 exec_lo, exec_lo, s13
.LBB4_1060:                             ;   in Loop: Header=BB4_931 Depth=2
	s_delay_alu instid0(SALU_CYCLE_1) | instskip(SKIP_1) | instid1(SALU_CYCLE_1)
	s_or_b32 exec_lo, exec_lo, s12
	s_and_saveexec_b32 s12, s6
	s_xor_b32 s13, exec_lo, s12
	s_cbranch_execz .LBB4_1064
; %bb.1061:                             ;   in Loop: Header=BB4_931 Depth=2
	v_and_b32_e32 v4, 16, v30
	v_cmp_lt_i32_e32 vcc_lo, 0, v55
	s_delay_alu instid0(VALU_DEP_2) | instskip(NEXT) | instid1(VALU_DEP_1)
	v_cmp_ne_u32_e64 s12, 0, v4
	s_and_b32 s28, s12, vcc_lo
	s_delay_alu instid0(SALU_CYCLE_1)
	s_and_saveexec_b32 s12, s28
	s_cbranch_execz .LBB4_1063
; %bb.1062:                             ;   in Loop: Header=BB4_931 Depth=2
	s_waitcnt lgkmcnt(0)
	s_waitcnt_vscnt null, 0x0
	buffer_gl1_inv
	buffer_gl0_inv
.LBB4_1063:                             ;   in Loop: Header=BB4_931 Depth=2
	s_or_b32 exec_lo, exec_lo, s12
.LBB4_1064:                             ;   in Loop: Header=BB4_931 Depth=2
	s_and_not1_saveexec_b32 s12, s13
	s_cbranch_execz .LBB4_1086
; %bb.1065:                             ;   in Loop: Header=BB4_931 Depth=2
	s_and_saveexec_b32 s13, s3
	s_delay_alu instid0(SALU_CYCLE_1)
	s_xor_b32 s13, exec_lo, s13
	s_cbranch_execz .LBB4_1083
; %bb.1066:                             ;   in Loop: Header=BB4_931 Depth=2
	s_and_saveexec_b32 s28, s1
	s_cbranch_execz .LBB4_1082
; %bb.1067:                             ;   in Loop: Header=BB4_931 Depth=2
	s_mov_b32 vcc_hi, exec_lo
	s_mov_b32 s29, exec_lo
	v_mbcnt_lo_u32_b32 v4, vcc_hi, 0
	;;#ASMSTART
	s_waitcnt lgkmcnt(0) vmcnt(0)
	;;#ASMEND
	s_delay_alu instid0(VALU_DEP_1)
	v_cmpx_eq_u32_e32 0, v4
	s_cbranch_execz .LBB4_1069
; %bb.1068:                             ;   in Loop: Header=BB4_931 Depth=2
	s_bcnt1_i32_b32 vcc_lo, vcc_hi
	s_delay_alu instid0(SALU_CYCLE_1)
	v_mov_b32_e32 v36, vcc_lo
	ds_add_u64 v0, v[36:37]
	s_cbranch_execnz .LBB4_1494
.LBB4_1069:                             ;   in Loop: Header=BB4_931 Depth=2
	s_or_b32 exec_lo, exec_lo, s29
	s_cbranch_execnz .LBB4_1472
; %bb.1070:                             ;   in Loop: Header=BB4_931 Depth=2
	ds_load_b64 v[4:5], v0
	v_add_co_u32 v32, vcc_lo, v32, v82
	v_add_co_ci_u32_e32 v33, vcc_lo, 0, v33, vcc_lo
	s_mov_b32 s29, exec_lo
	s_waitcnt lgkmcnt(0)
	s_delay_alu instid0(VALU_DEP_1)
	v_cmpx_lt_u64_e64 v[4:5], v[32:33]
	s_cbranch_execz .LBB4_1081
; %bb.1071:                             ;   in Loop: Header=BB4_931 Depth=2
	s_mov_b32 vcc_hi, 0
	s_mov_b32 s34, 0
                                        ; implicit-def: $sgpr30
                                        ; implicit-def: $sgpr31
	s_branch .LBB4_1073
.LBB4_1072:                             ;   in Loop: Header=BB4_1073 Depth=3
	s_or_b32 exec_lo, exec_lo, s36
	s_delay_alu instid0(SALU_CYCLE_1) | instskip(NEXT) | instid1(SALU_CYCLE_1)
	s_and_b32 vcc_lo, exec_lo, vcc_lo
	s_or_b32 vcc_hi, vcc_lo, vcc_hi
	s_and_not1_b32 vcc_lo, s30, exec_lo
	s_and_b32 s30, s31, exec_lo
	s_delay_alu instid0(SALU_CYCLE_1)
	s_or_b32 s30, vcc_lo, s30
	s_and_not1_b32 exec_lo, exec_lo, vcc_hi
	s_cbranch_execz .LBB4_1079
.LBB4_1073:                             ;   Parent Loop BB4_93 Depth=1
                                        ;     Parent Loop BB4_931 Depth=2
                                        ; =>    This Inner Loop Header: Depth=3
	s_add_i32 s34, s34, 1
                                        ; implicit-def: $sgpr36
	s_delay_alu instid0(SALU_CYCLE_1) | instskip(SKIP_1) | instid1(SALU_CYCLE_1)
	s_cmpk_lg_i32 s34, 0x2710
	s_cselect_b32 s35, -1, 0
	s_and_b32 vcc_lo, exec_lo, s35
	s_cbranch_vccz .LBB4_1077
.LBB4_1074:                             ;   in Loop: Header=BB4_1073 Depth=3
	s_and_not1_b32 s31, s31, exec_lo
	s_and_b32 s36, s36, exec_lo
	s_mov_b32 vcc_lo, -1
	s_or_b32 s31, s31, s36
	s_and_saveexec_b32 s36, s35
	s_cbranch_execz .LBB4_1072
; %bb.1075:                             ;   in Loop: Header=BB4_1073 Depth=3
	s_sleep 1
	s_cbranch_execnz .LBB4_1542
; %bb.1076:                             ;   in Loop: Header=BB4_1073 Depth=3
	ds_load_b64 v[4:5], v0
	s_and_not1_b32 s31, s31, exec_lo
	s_waitcnt lgkmcnt(0)
	v_cmp_ge_u64_e32 vcc_lo, v[4:5], v[32:33]
	s_or_not1_b32 vcc_lo, vcc_lo, exec_lo
	s_branch .LBB4_1072
.LBB4_1077:                             ;   in Loop: Header=BB4_1073 Depth=3
	s_cbranch_execnz .LBB4_1552
; %bb.1078:                             ;   in Loop: Header=BB4_1073 Depth=3
	ds_load_b64 v[4:5], v0
	s_and_not1_b32 s35, s35, exec_lo
	s_mov_b32 s34, 0
	s_mov_b32 s36, -1
	s_waitcnt lgkmcnt(0)
	s_waitcnt_vscnt null, 0x0
	flat_load_b32 v4, v[4:5] glc
	s_waitcnt vmcnt(0) lgkmcnt(0)
	buffer_gl1_inv
	buffer_gl0_inv
	v_cmp_eq_u32_e32 vcc_lo, 0, v4
	s_and_b32 vcc_lo, vcc_lo, exec_lo
	s_delay_alu instid0(SALU_CYCLE_1)
	s_or_b32 s35, s35, vcc_lo
	s_branch .LBB4_1074
.LBB4_1079:                             ;   in Loop: Header=BB4_931 Depth=2
	s_or_b32 exec_lo, exec_lo, vcc_hi
	s_and_saveexec_b32 vcc_lo, s30
	s_delay_alu instid0(SALU_CYCLE_1)
	s_xor_b32 vcc_lo, exec_lo, vcc_lo
	s_cbranch_execz .LBB4_1081
; %bb.1080:                             ;   in Loop: Header=BB4_931 Depth=2
	ds_store_b32 v0, v118
	s_cbranch_execnz .LBB4_1610
.LBB4_1081:                             ;   in Loop: Header=BB4_931 Depth=2
	s_or_b32 exec_lo, exec_lo, s29
	;;#ASMSTART
	s_wakeup
	;;#ASMEND
.LBB4_1082:                             ;   in Loop: Header=BB4_931 Depth=2
	s_or_b32 exec_lo, exec_lo, s28
.LBB4_1083:                             ;   in Loop: Header=BB4_931 Depth=2
	s_and_not1_saveexec_b32 s13, s13
	s_cbranch_execz .LBB4_1085
; %bb.1084:                             ;   in Loop: Header=BB4_931 Depth=2
	;;#ASMSTART
	s_waitcnt lgkmcnt(0) vmcnt(0)
	;;#ASMEND
	s_waitcnt lgkmcnt(0)
	s_waitcnt_vscnt null, 0x0
	s_barrier
.LBB4_1085:                             ;   in Loop: Header=BB4_931 Depth=2
	s_or_b32 exec_lo, exec_lo, s13
.LBB4_1086:                             ;   in Loop: Header=BB4_931 Depth=2
	s_delay_alu instid0(SALU_CYCLE_1) | instskip(SKIP_2) | instid1(VALU_DEP_1)
	s_or_b32 exec_lo, exec_lo, s12
	v_and_b32_e32 v4, 32, v30
	s_mov_b32 s12, exec_lo
	v_cmpx_ne_u32_e32 0, v4
	s_cbranch_execz .LBB4_1088
; %bb.1087:                             ;   in Loop: Header=BB4_931 Depth=2
	v_add_co_u32 v14, vcc_lo, v14, 2
	v_add_co_ci_u32_e32 v15, vcc_lo, 0, v15, vcc_lo
	s_waitcnt lgkmcnt(0)
	s_waitcnt_vscnt null, 0x0
	flat_store_b64 v[24:25], v[14:15]
.LBB4_1088:                             ;   in Loop: Header=BB4_931 Depth=2
	s_or_b32 exec_lo, exec_lo, s12
	v_add_nc_u32_e32 v54, v128, v54
	s_xor_b32 s12, s16, -1
	v_mov_b32_e32 v4, s17
	s_mov_b32 s16, 0
	s_mov_b32 s17, 2
	v_cmp_ge_i32_e32 vcc_lo, v54, v119
	s_or_b32 s12, s12, vcc_lo
	s_delay_alu instid0(SALU_CYCLE_1) | instskip(NEXT) | instid1(SALU_CYCLE_1)
	s_and_b32 s12, exec_lo, s12
	s_or_b32 s15, s12, s15
	s_delay_alu instid0(SALU_CYCLE_1)
	s_and_not1_b32 exec_lo, exec_lo, s15
	s_cbranch_execnz .LBB4_931
; %bb.1089:                             ;   in Loop: Header=BB4_93 Depth=1
	s_or_b32 exec_lo, exec_lo, s15
.LBB4_1090:                             ;   in Loop: Header=BB4_93 Depth=1
	s_delay_alu instid0(SALU_CYCLE_1) | instskip(NEXT) | instid1(SALU_CYCLE_1)
	s_or_b32 exec_lo, exec_lo, s14
	s_mov_b32 s13, exec_lo
	v_cmpx_gt_i32_e32 2, v4
	s_cbranch_execz .LBB4_1169
; %bb.1091:                             ;   in Loop: Header=BB4_93 Depth=1
	v_cmp_eq_u32_e64 s12, 0, v4
	s_mov_b32 s14, 0
.LBB4_1092:                             ;   Parent Loop BB4_93 Depth=1
                                        ; =>  This Loop Header: Depth=2
                                        ;       Child Loop BB4_1098 Depth 3
                                        ;       Child Loop BB4_1125 Depth 3
	;; [unrolled: 1-line block ×3, first 2 shown]
	v_and_b32_e32 v2, 4, v30
	s_mov_b32 s16, -1
	s_mov_b32 s15, exec_lo
	s_delay_alu instid0(VALU_DEP_1)
	v_cmpx_ne_u32_e32 0, v2
	s_cbranch_execz .LBB4_1106
; %bb.1093:                             ;   in Loop: Header=BB4_1092 Depth=2
	v_add_co_u32 v2, vcc_lo, v14, 2
	v_add_co_ci_u32_e32 v3, vcc_lo, 0, v15, vcc_lo
	v_mov_b32_e32 v4, 1
	s_mov_b32 s16, exec_lo
	s_delay_alu instid0(VALU_DEP_2)
	v_cmpx_lt_u64_e64 v[34:35], v[2:3]
	s_cbranch_execz .LBB4_1105
; %bb.1094:                             ;   in Loop: Header=BB4_1092 Depth=2
	v_mov_b32_e32 v4, 0
	s_mov_b32 s17, 0
                                        ; implicit-def: $sgpr28
	s_branch .LBB4_1098
.LBB4_1095:                             ;   in Loop: Header=BB4_1098 Depth=3
	s_or_b32 exec_lo, exec_lo, s31
	v_mov_b32_e32 v5, 0
	s_or_not1_b32 s30, s30, exec_lo
.LBB4_1096:                             ;   in Loop: Header=BB4_1098 Depth=3
	s_or_b32 exec_lo, exec_lo, vcc_hi
	s_delay_alu instid0(VALU_DEP_1) | instskip(SKIP_2) | instid1(SALU_CYCLE_1)
	v_mov_b32_e32 v4, v5
	s_and_not1_b32 s28, s28, exec_lo
	s_and_b32 vcc_lo, s30, exec_lo
	s_or_b32 s28, s28, vcc_lo
.LBB4_1097:                             ;   in Loop: Header=BB4_1098 Depth=3
	s_or_b32 exec_lo, exec_lo, s29
	s_waitcnt vmcnt(0) lgkmcnt(0)
	v_cmp_ge_u64_e32 vcc_lo, v[34:35], v[2:3]
	s_xor_b32 s29, s28, -1
	s_delay_alu instid0(SALU_CYCLE_1) | instskip(NEXT) | instid1(SALU_CYCLE_1)
	s_or_b32 s29, s29, vcc_lo
	s_and_b32 s29, exec_lo, s29
	s_delay_alu instid0(SALU_CYCLE_1) | instskip(NEXT) | instid1(SALU_CYCLE_1)
	s_or_b32 s17, s29, s17
	s_and_not1_b32 exec_lo, exec_lo, s17
	s_cbranch_execz .LBB4_1104
.LBB4_1098:                             ;   Parent Loop BB4_93 Depth=1
                                        ;     Parent Loop BB4_1092 Depth=2
                                        ; =>    This Inner Loop Header: Depth=3
	s_sleep 1
	flat_load_b64 v[34:35], v[24:25] glc
	v_and_b32_e32 v5, 64, v30
	s_and_not1_b32 s28, s28, exec_lo
	s_mov_b32 s29, exec_lo
	s_delay_alu instid0(VALU_DEP_1)
	v_cmpx_eq_u32_e32 0, v5
	s_cbranch_execz .LBB4_1097
; %bb.1099:                             ;   in Loop: Header=BB4_1098 Depth=3
	v_add_nc_u32_e32 v5, 1, v4
	s_mov_b32 s30, -1
	s_mov_b32 vcc_hi, exec_lo
	v_cmpx_lt_i32_e32 0x270e, v4
	s_cbranch_execz .LBB4_1096
; %bb.1100:                             ;   in Loop: Header=BB4_1098 Depth=3
	s_cbranch_execnz .LBB4_1279
; %bb.1101:                             ;   in Loop: Header=BB4_1098 Depth=3
	ds_load_b64 v[4:5], v0
	s_mov_b32 s31, exec_lo
	s_waitcnt vmcnt(0) lgkmcnt(0)
	s_waitcnt_vscnt null, 0x0
	flat_load_b32 v4, v[4:5] glc
	s_waitcnt vmcnt(0) lgkmcnt(0)
	buffer_gl1_inv
	buffer_gl0_inv
	v_cmpx_ne_u32_e32 0, v4
	s_cbranch_execz .LBB4_1095
; %bb.1102:                             ;   in Loop: Header=BB4_1098 Depth=3
	ds_store_b32 v0, v4
	s_cbranch_execnz .LBB4_1323
; %bb.1103:                             ;   in Loop: Header=BB4_1098 Depth=3
	v_or_b32_e32 v30, 64, v30
	s_xor_b32 s30, exec_lo, -1
	s_branch .LBB4_1095
.LBB4_1104:                             ;   in Loop: Header=BB4_1092 Depth=2
	s_or_b32 exec_lo, exec_lo, s17
	v_and_b32_e32 v4, 4, v30
.LBB4_1105:                             ;   in Loop: Header=BB4_1092 Depth=2
	s_or_b32 exec_lo, exec_lo, s16
	s_delay_alu instid0(VALU_DEP_1)
	v_cmp_eq_u32_e32 vcc_lo, 0, v4
	;;#ASMSTART
	s_wakeup
	;;#ASMEND
	s_or_not1_b32 s16, vcc_lo, exec_lo
.LBB4_1106:                             ;   in Loop: Header=BB4_1092 Depth=2
	s_or_b32 exec_lo, exec_lo, s15
	s_xor_b32 s12, s12, -1
	s_delay_alu instid0(SALU_CYCLE_1) | instskip(NEXT) | instid1(SALU_CYCLE_1)
	s_and_b32 s12, exec_lo, s12
	s_or_b32 s14, s12, s14
	s_xor_b32 s12, s16, -1
	s_delay_alu instid0(SALU_CYCLE_1)
	s_and_saveexec_b32 s15, s12
	s_cbranch_execz .LBB4_1116
; %bb.1107:                             ;   in Loop: Header=BB4_1092 Depth=2
	v_and_b32_e32 v2, 0x100, v30
	v_and_b32_e32 v36, 7, v14
	s_mov_b32 s12, -1
	s_delay_alu instid0(VALU_DEP_2)
	v_cmp_ne_u32_e32 vcc_lo, 0, v2
                                        ; implicit-def: $vgpr2_vgpr3
	s_and_saveexec_b32 s16, vcc_lo
	s_cbranch_execz .LBB4_1111
; %bb.1108:                             ;   in Loop: Header=BB4_1092 Depth=2
	v_mad_u64_u32 v[4:5], null, v36, 24, v[12:13]
	flat_load_b32 v2, v[4:5]
	s_waitcnt vmcnt(0) lgkmcnt(0)
	v_cmp_ne_u32_e32 vcc_lo, 1, v2
	v_cmp_eq_u32_e64 s12, 1, v2
                                        ; implicit-def: $vgpr2_vgpr3
	s_delay_alu instid0(VALU_DEP_1)
	s_and_saveexec_b32 s17, s12
	s_cbranch_execz .LBB4_1110
; %bb.1109:                             ;   in Loop: Header=BB4_1092 Depth=2
	flat_load_b32 v2, v[4:5] offset:4 glc
	s_waitcnt vmcnt(0) lgkmcnt(0)
	v_ashrrev_i32_e32 v3, 31, v2
.LBB4_1110:                             ;   in Loop: Header=BB4_1092 Depth=2
	s_or_b32 exec_lo, exec_lo, s17
	s_delay_alu instid0(SALU_CYCLE_1)
	s_or_not1_b32 s12, vcc_lo, exec_lo
.LBB4_1111:                             ;   in Loop: Header=BB4_1092 Depth=2
	s_or_b32 exec_lo, exec_lo, s16
	s_and_saveexec_b32 s16, s12
; %bb.1112:                             ;   in Loop: Header=BB4_1092 Depth=2
	v_mad_i64_i32 v[2:3], null, v36, v70, 0
; %bb.1113:                             ;   in Loop: Header=BB4_1092 Depth=2
	s_or_b32 exec_lo, exec_lo, s16
	s_delay_alu instid0(VALU_DEP_1) | instskip(SKIP_1) | instid1(VALU_DEP_3)
	v_add_co_u32 v2, vcc_lo, v26, v2
	v_and_b32_e32 v4, 0x2000, v30
	v_add_co_ci_u32_e32 v3, vcc_lo, v27, v3, vcc_lo
	s_mov_b32 s12, exec_lo
	ds_store_b64 v0, v[2:3] offset:720
	v_cmpx_ne_u32_e32 0, v4
	s_cbranch_execz .LBB4_1115
; %bb.1114:                             ;   in Loop: Header=BB4_1092 Depth=2
	ds_load_b64 v[2:3], v0 offset:584
	s_waitcnt lgkmcnt(0)
	v_add_co_u32 v2, vcc_lo, v2, 1
	v_add_co_ci_u32_e32 v3, vcc_lo, 0, v3, vcc_lo
	ds_store_b64 v0, v[2:3] offset:584
.LBB4_1115:                             ;   in Loop: Header=BB4_1092 Depth=2
	s_or_b32 exec_lo, exec_lo, s12
	v_add_co_u32 v14, vcc_lo, v14, 2
	v_add_co_ci_u32_e32 v15, vcc_lo, 0, v15, vcc_lo
.LBB4_1116:                             ;   in Loop: Header=BB4_1092 Depth=2
	s_or_b32 exec_lo, exec_lo, s15
	s_and_saveexec_b32 s12, s2
	s_cbranch_execz .LBB4_1138
; %bb.1117:                             ;   in Loop: Header=BB4_1092 Depth=2
	s_and_saveexec_b32 s15, s3
	s_delay_alu instid0(SALU_CYCLE_1)
	s_xor_b32 s15, exec_lo, s15
	s_cbranch_execz .LBB4_1135
; %bb.1118:                             ;   in Loop: Header=BB4_1092 Depth=2
	s_and_saveexec_b32 s16, s1
	s_cbranch_execz .LBB4_1134
; %bb.1119:                             ;   in Loop: Header=BB4_1092 Depth=2
	s_mov_b32 s28, exec_lo
	s_mov_b32 s17, exec_lo
	v_mbcnt_lo_u32_b32 v2, s28, 0
	s_waitcnt lgkmcnt(0)
	s_waitcnt_vscnt null, 0x0
	buffer_gl1_inv
	buffer_gl0_inv
	v_cmpx_eq_u32_e32 0, v2
	s_cbranch_execz .LBB4_1121
; %bb.1120:                             ;   in Loop: Header=BB4_1092 Depth=2
	s_bcnt1_i32_b32 s28, s28
	s_delay_alu instid0(SALU_CYCLE_1)
	v_mov_b32_e32 v36, s28
	ds_add_u64 v0, v[36:37]
	s_cbranch_execnz .LBB4_1353
.LBB4_1121:                             ;   in Loop: Header=BB4_1092 Depth=2
	s_or_b32 exec_lo, exec_lo, s17
	s_cbranch_execnz .LBB4_1333
; %bb.1122:                             ;   in Loop: Header=BB4_1092 Depth=2
	ds_load_b64 v[2:3], v0
	v_add_co_u32 v32, vcc_lo, v32, v82
	v_add_co_ci_u32_e32 v33, vcc_lo, 0, v33, vcc_lo
	s_mov_b32 s17, exec_lo
	s_waitcnt lgkmcnt(0)
	s_delay_alu instid0(VALU_DEP_1)
	v_cmpx_lt_u64_e64 v[2:3], v[32:33]
	s_cbranch_execz .LBB4_1133
; %bb.1123:                             ;   in Loop: Header=BB4_1092 Depth=2
	s_mov_b32 s28, 0
	s_mov_b32 s30, 0
                                        ; implicit-def: $sgpr29
                                        ; implicit-def: $vcc_hi
	s_branch .LBB4_1125
.LBB4_1124:                             ;   in Loop: Header=BB4_1125 Depth=3
	s_or_b32 exec_lo, exec_lo, s34
	s_delay_alu instid0(SALU_CYCLE_1) | instskip(NEXT) | instid1(SALU_CYCLE_1)
	s_and_b32 vcc_lo, exec_lo, vcc_lo
	s_or_b32 s28, vcc_lo, s28
	s_and_not1_b32 s29, s29, exec_lo
	s_and_b32 vcc_lo, vcc_hi, exec_lo
	s_delay_alu instid0(SALU_CYCLE_1)
	s_or_b32 s29, s29, vcc_lo
	s_and_not1_b32 exec_lo, exec_lo, s28
	s_cbranch_execz .LBB4_1131
.LBB4_1125:                             ;   Parent Loop BB4_93 Depth=1
                                        ;     Parent Loop BB4_1092 Depth=2
                                        ; =>    This Inner Loop Header: Depth=3
	s_add_i32 s30, s30, 1
                                        ; implicit-def: $sgpr34
	s_delay_alu instid0(SALU_CYCLE_1) | instskip(SKIP_1) | instid1(SALU_CYCLE_1)
	s_cmpk_lg_i32 s30, 0x2710
	s_cselect_b32 s31, -1, 0
	s_and_b32 vcc_lo, exec_lo, s31
	s_cbranch_vccz .LBB4_1129
.LBB4_1126:                             ;   in Loop: Header=BB4_1125 Depth=3
	s_and_not1_b32 vcc_hi, vcc_hi, exec_lo
	s_and_b32 s34, s34, exec_lo
	s_mov_b32 vcc_lo, -1
	s_or_b32 vcc_hi, vcc_hi, s34
	s_and_saveexec_b32 s34, s31
	s_cbranch_execz .LBB4_1124
; %bb.1127:                             ;   in Loop: Header=BB4_1125 Depth=3
	s_sleep 1
	s_cbranch_execnz .LBB4_1405
; %bb.1128:                             ;   in Loop: Header=BB4_1125 Depth=3
	ds_load_b64 v[2:3], v0
	s_waitcnt lgkmcnt(0)
	v_cmp_ge_u64_e32 vcc_lo, v[2:3], v[32:33]
	s_and_not1_b32 vcc_hi, vcc_hi, exec_lo
	s_or_not1_b32 vcc_lo, vcc_lo, exec_lo
	s_branch .LBB4_1124
.LBB4_1129:                             ;   in Loop: Header=BB4_1125 Depth=3
	s_cbranch_execnz .LBB4_1425
; %bb.1130:                             ;   in Loop: Header=BB4_1125 Depth=3
	ds_load_b64 v[2:3], v0
	s_and_not1_b32 s31, s31, exec_lo
	s_mov_b32 s30, 0
	s_mov_b32 s34, -1
	s_waitcnt lgkmcnt(0)
	flat_load_b32 v2, v[2:3] glc
	s_waitcnt vmcnt(0) lgkmcnt(0)
	buffer_gl1_inv
	buffer_gl0_inv
	v_cmp_eq_u32_e32 vcc_lo, 0, v2
	s_and_b32 vcc_lo, vcc_lo, exec_lo
	s_delay_alu instid0(SALU_CYCLE_1)
	s_or_b32 s31, s31, vcc_lo
	s_branch .LBB4_1126
.LBB4_1131:                             ;   in Loop: Header=BB4_1092 Depth=2
	s_or_b32 exec_lo, exec_lo, s28
	s_and_saveexec_b32 s28, s29
	s_delay_alu instid0(SALU_CYCLE_1)
	s_xor_b32 s28, exec_lo, s28
	s_cbranch_execz .LBB4_1133
; %bb.1132:                             ;   in Loop: Header=BB4_1092 Depth=2
	ds_store_b32 v0, v118
	s_cbranch_execnz .LBB4_1580
.LBB4_1133:                             ;   in Loop: Header=BB4_1092 Depth=2
	s_or_b32 exec_lo, exec_lo, s17
	;;#ASMSTART
	s_wakeup
	;;#ASMEND
.LBB4_1134:                             ;   in Loop: Header=BB4_1092 Depth=2
	s_or_b32 exec_lo, exec_lo, s16
.LBB4_1135:                             ;   in Loop: Header=BB4_1092 Depth=2
	s_and_not1_saveexec_b32 s15, s15
	s_cbranch_execz .LBB4_1137
; %bb.1136:                             ;   in Loop: Header=BB4_1092 Depth=2
	s_waitcnt lgkmcnt(0)
	s_waitcnt_vscnt null, 0x0
	buffer_gl1_inv
	buffer_gl0_inv
	s_barrier
.LBB4_1137:                             ;   in Loop: Header=BB4_1092 Depth=2
	s_or_b32 exec_lo, exec_lo, s15
.LBB4_1138:                             ;   in Loop: Header=BB4_1092 Depth=2
	s_delay_alu instid0(SALU_CYCLE_1) | instskip(SKIP_1) | instid1(VALU_DEP_1)
	s_or_b32 exec_lo, exec_lo, s12
	v_sub_nc_u32_e32 v2, v119, v54
	v_min_i32_e32 v128, v128, v2
	s_and_saveexec_b32 s12, s6
	s_delay_alu instid0(SALU_CYCLE_1)
	s_xor_b32 s15, exec_lo, s12
	s_cbranch_execz .LBB4_1143
; %bb.1139:                             ;   in Loop: Header=BB4_1092 Depth=2
	s_cbranch_execnz .LBB4_1277
; %bb.1140:                             ;   in Loop: Header=BB4_1092 Depth=2
	ds_load_b32 v2, v0
	v_cmp_lt_i32_e32 vcc_lo, 0, v128
	s_waitcnt lgkmcnt(0)
	v_readfirstlane_b32 s12, v2
	v_and_b32_e32 v2, 16, v30
	s_delay_alu instid0(VALU_DEP_2) | instskip(NEXT) | instid1(VALU_DEP_1)
	s_cmp_eq_u32 s12, 0
	v_cmp_ne_u32_e64 s12, 0, v2
	s_cselect_b32 s16, -1, 0
	s_delay_alu instid0(SALU_CYCLE_1)
	s_and_b32 s16, vcc_lo, s16
	s_delay_alu instid0(VALU_DEP_1) | instid1(SALU_CYCLE_1)
	s_and_b32 s16, s12, s16
	s_delay_alu instid0(SALU_CYCLE_1)
	s_and_saveexec_b32 s12, s16
	s_cbranch_execz .LBB4_1142
; %bb.1141:                             ;   in Loop: Header=BB4_1092 Depth=2
	s_waitcnt_vscnt null, 0x0
	buffer_gl1_inv
	buffer_gl0_inv
.LBB4_1142:                             ;   in Loop: Header=BB4_1092 Depth=2
	s_or_b32 exec_lo, exec_lo, s12
.LBB4_1143:                             ;   in Loop: Header=BB4_1092 Depth=2
	s_and_not1_saveexec_b32 s12, s15
	s_cbranch_execz .LBB4_1165
; %bb.1144:                             ;   in Loop: Header=BB4_1092 Depth=2
	s_and_saveexec_b32 s15, s3
	s_delay_alu instid0(SALU_CYCLE_1)
	s_xor_b32 s15, exec_lo, s15
	s_cbranch_execz .LBB4_1162
; %bb.1145:                             ;   in Loop: Header=BB4_1092 Depth=2
	s_and_saveexec_b32 s16, s1
	s_cbranch_execz .LBB4_1161
; %bb.1146:                             ;   in Loop: Header=BB4_1092 Depth=2
	s_mov_b32 s28, exec_lo
	s_mov_b32 s17, exec_lo
	v_mbcnt_lo_u32_b32 v2, s28, 0
	;;#ASMSTART
	s_waitcnt lgkmcnt(0) vmcnt(0)
	;;#ASMEND
	s_delay_alu instid0(VALU_DEP_1)
	v_cmpx_eq_u32_e32 0, v2
	s_cbranch_execz .LBB4_1148
; %bb.1147:                             ;   in Loop: Header=BB4_1092 Depth=2
	s_bcnt1_i32_b32 s28, s28
	s_delay_alu instid0(SALU_CYCLE_1)
	v_mov_b32_e32 v36, s28
	ds_add_u64 v0, v[36:37]
	s_cbranch_execnz .LBB4_1375
.LBB4_1148:                             ;   in Loop: Header=BB4_1092 Depth=2
	s_or_b32 exec_lo, exec_lo, s17
	s_cbranch_execnz .LBB4_1351
; %bb.1149:                             ;   in Loop: Header=BB4_1092 Depth=2
	ds_load_b64 v[2:3], v0
	v_add_co_u32 v32, vcc_lo, v32, v82
	v_add_co_ci_u32_e32 v33, vcc_lo, 0, v33, vcc_lo
	s_mov_b32 s17, exec_lo
	s_waitcnt lgkmcnt(0)
	s_delay_alu instid0(VALU_DEP_1)
	v_cmpx_lt_u64_e64 v[2:3], v[32:33]
	s_cbranch_execz .LBB4_1160
; %bb.1150:                             ;   in Loop: Header=BB4_1092 Depth=2
	s_mov_b32 s28, 0
	s_mov_b32 s30, 0
                                        ; implicit-def: $sgpr29
                                        ; implicit-def: $vcc_hi
	s_branch .LBB4_1152
.LBB4_1151:                             ;   in Loop: Header=BB4_1152 Depth=3
	s_or_b32 exec_lo, exec_lo, s34
	s_delay_alu instid0(SALU_CYCLE_1) | instskip(NEXT) | instid1(SALU_CYCLE_1)
	s_and_b32 vcc_lo, exec_lo, vcc_lo
	s_or_b32 s28, vcc_lo, s28
	s_and_not1_b32 s29, s29, exec_lo
	s_and_b32 vcc_lo, vcc_hi, exec_lo
	s_delay_alu instid0(SALU_CYCLE_1)
	s_or_b32 s29, s29, vcc_lo
	s_and_not1_b32 exec_lo, exec_lo, s28
	s_cbranch_execz .LBB4_1158
.LBB4_1152:                             ;   Parent Loop BB4_93 Depth=1
                                        ;     Parent Loop BB4_1092 Depth=2
                                        ; =>    This Inner Loop Header: Depth=3
	s_add_i32 s30, s30, 1
                                        ; implicit-def: $sgpr34
	s_delay_alu instid0(SALU_CYCLE_1) | instskip(SKIP_1) | instid1(SALU_CYCLE_1)
	s_cmpk_lg_i32 s30, 0x2710
	s_cselect_b32 s31, -1, 0
	s_and_b32 vcc_lo, exec_lo, s31
	s_cbranch_vccz .LBB4_1156
.LBB4_1153:                             ;   in Loop: Header=BB4_1152 Depth=3
	s_and_not1_b32 vcc_hi, vcc_hi, exec_lo
	s_and_b32 s34, s34, exec_lo
	s_mov_b32 vcc_lo, -1
	s_or_b32 vcc_hi, vcc_hi, s34
	s_and_saveexec_b32 s34, s31
	s_cbranch_execz .LBB4_1151
; %bb.1154:                             ;   in Loop: Header=BB4_1152 Depth=3
	s_sleep 1
	s_cbranch_execnz .LBB4_1437
; %bb.1155:                             ;   in Loop: Header=BB4_1152 Depth=3
	ds_load_b64 v[2:3], v0
	s_waitcnt lgkmcnt(0)
	v_cmp_ge_u64_e32 vcc_lo, v[2:3], v[32:33]
	s_and_not1_b32 vcc_hi, vcc_hi, exec_lo
	s_or_not1_b32 vcc_lo, vcc_lo, exec_lo
	s_branch .LBB4_1151
.LBB4_1156:                             ;   in Loop: Header=BB4_1152 Depth=3
	s_cbranch_execnz .LBB4_1470
; %bb.1157:                             ;   in Loop: Header=BB4_1152 Depth=3
	ds_load_b64 v[2:3], v0
	s_and_not1_b32 s31, s31, exec_lo
	s_mov_b32 s30, 0
	s_mov_b32 s34, -1
	s_waitcnt lgkmcnt(0)
	s_waitcnt_vscnt null, 0x0
	flat_load_b32 v2, v[2:3] glc
	s_waitcnt vmcnt(0) lgkmcnt(0)
	buffer_gl1_inv
	buffer_gl0_inv
	v_cmp_eq_u32_e32 vcc_lo, 0, v2
	s_and_b32 vcc_lo, vcc_lo, exec_lo
	s_delay_alu instid0(SALU_CYCLE_1)
	s_or_b32 s31, s31, vcc_lo
	s_branch .LBB4_1153
.LBB4_1158:                             ;   in Loop: Header=BB4_1092 Depth=2
	s_or_b32 exec_lo, exec_lo, s28
	s_and_saveexec_b32 s28, s29
	s_delay_alu instid0(SALU_CYCLE_1)
	s_xor_b32 s28, exec_lo, s28
	s_cbranch_execz .LBB4_1160
; %bb.1159:                             ;   in Loop: Header=BB4_1092 Depth=2
	ds_store_b32 v0, v118
	s_cbranch_execnz .LBB4_1592
.LBB4_1160:                             ;   in Loop: Header=BB4_1092 Depth=2
	s_or_b32 exec_lo, exec_lo, s17
	;;#ASMSTART
	s_wakeup
	;;#ASMEND
.LBB4_1161:                             ;   in Loop: Header=BB4_1092 Depth=2
	s_or_b32 exec_lo, exec_lo, s16
.LBB4_1162:                             ;   in Loop: Header=BB4_1092 Depth=2
	s_and_not1_saveexec_b32 s15, s15
	s_cbranch_execz .LBB4_1164
; %bb.1163:                             ;   in Loop: Header=BB4_1092 Depth=2
	;;#ASMSTART
	s_waitcnt lgkmcnt(0) vmcnt(0)
	;;#ASMEND
	s_waitcnt lgkmcnt(0)
	s_waitcnt_vscnt null, 0x0
	s_barrier
.LBB4_1164:                             ;   in Loop: Header=BB4_1092 Depth=2
	s_or_b32 exec_lo, exec_lo, s15
.LBB4_1165:                             ;   in Loop: Header=BB4_1092 Depth=2
	s_delay_alu instid0(SALU_CYCLE_1) | instskip(SKIP_2) | instid1(VALU_DEP_1)
	s_or_b32 exec_lo, exec_lo, s12
	v_and_b32_e32 v2, 32, v30
	s_mov_b32 s12, exec_lo
	v_cmpx_ne_u32_e32 0, v2
	s_cbranch_execz .LBB4_1167
; %bb.1166:                             ;   in Loop: Header=BB4_1092 Depth=2
	v_add_co_u32 v14, vcc_lo, v14, 2
	v_add_co_ci_u32_e32 v15, vcc_lo, 0, v15, vcc_lo
	s_waitcnt lgkmcnt(0)
	s_waitcnt_vscnt null, 0x0
	flat_store_b64 v[24:25], v[14:15]
.LBB4_1167:                             ;   in Loop: Header=BB4_1092 Depth=2
	s_or_b32 exec_lo, exec_lo, s12
	v_add_nc_u32_e32 v54, v128, v54
	s_mov_b32 s12, 0
	s_and_not1_b32 exec_lo, exec_lo, s14
	s_cbranch_execnz .LBB4_1092
; %bb.1168:                             ;   in Loop: Header=BB4_93 Depth=1
	s_or_b32 exec_lo, exec_lo, s14
.LBB4_1169:                             ;   in Loop: Header=BB4_93 Depth=1
	s_delay_alu instid0(SALU_CYCLE_1) | instskip(SKIP_2) | instid1(VALU_DEP_1)
	s_or_b32 exec_lo, exec_lo, s13
	v_add_co_u32 v50, vcc_lo, v50, v80
	v_add_co_ci_u32_e32 v51, vcc_lo, 0, v51, vcc_lo
	v_cmp_ge_u64_e32 vcc_lo, v[50:51], v[6:7]
	s_or_b32 s22, vcc_lo, s22
	s_delay_alu instid0(SALU_CYCLE_1)
	s_and_not1_b32 exec_lo, exec_lo, s22
	s_cbranch_execnz .LBB4_93
; %bb.1170:
	s_or_b32 exec_lo, exec_lo, s22
.LBB4_1171:
	s_delay_alu instid0(SALU_CYCLE_1)
	s_or_b32 exec_lo, exec_lo, s20
; %bb.1172:
	v_and_b32_e32 v0, 0x800, v30
	s_mov_b32 s0, exec_lo
	s_delay_alu instid0(VALU_DEP_1)
	v_cmpx_eq_u32_e32 0, v0
	s_cbranch_execz .LBB4_1461
; %bb.1173:
	v_and_b32_e32 v0, 48, v30
	s_mov_b32 s1, exec_lo
	s_delay_alu instid0(VALU_DEP_1)
	v_cmpx_ne_u32_e32 0, v0
	s_cbranch_execz .LBB4_1175
; %bb.1174:
	flat_store_b64 v[22:23], v[14:15] offset:104
.LBB4_1175:
	s_or_b32 exec_lo, exec_lo, s1
	v_and_b32_e32 v0, 0x88, v30
	s_mov_b32 s1, exec_lo
	s_delay_alu instid0(VALU_DEP_1)
	v_cmpx_eq_u32_e32 0x88, v0
	s_cbranch_execz .LBB4_1213
; %bb.1176:
	v_add_nc_u32_e32 v0, 6, v14
	s_mov_b32 s2, 0
                                        ; implicit-def: $sgpr3
	s_delay_alu instid0(VALU_DEP_1) | instskip(NEXT) | instid1(VALU_DEP_1)
	v_and_b32_e32 v0, 7, v0
	v_mad_u64_u32 v[2:3], null, v0, 24, v[12:13]
	v_mov_b32_e32 v0, 0
	s_delay_alu instid0(VALU_DEP_2) | instskip(NEXT) | instid1(VALU_DEP_3)
	v_add_co_u32 v2, vcc_lo, v2, 8
	v_add_co_ci_u32_e32 v3, vcc_lo, 0, v3, vcc_lo
	s_branch .LBB4_1203
.LBB4_1177:
	s_trap 2
	s_sendmsg_rtn_b32 s0, sendmsg(MSG_RTN_GET_DOORBELL)
	s_mov_b32 ttmp2, m0
	s_waitcnt lgkmcnt(0)
	s_and_b32 s0, s0, 0x3ff
	s_delay_alu instid0(SALU_CYCLE_1) | instskip(NEXT) | instid1(SALU_CYCLE_1)
	s_bitset1_b32 s0, 10
	s_mov_b32 m0, s0
	s_sendmsg sendmsg(MSG_INTERRUPT)
	s_mov_b32 m0, ttmp2
.LBB4_1178:                             ; =>This Inner Loop Header: Depth=1
	s_sethalt 5
	s_branch .LBB4_1178
.LBB4_1179:
	s_trap 2
	s_sendmsg_rtn_b32 s0, sendmsg(MSG_RTN_GET_DOORBELL)
	s_mov_b32 ttmp2, m0
	s_waitcnt lgkmcnt(0)
	s_and_b32 s0, s0, 0x3ff
	s_delay_alu instid0(SALU_CYCLE_1) | instskip(NEXT) | instid1(SALU_CYCLE_1)
	s_bitset1_b32 s0, 10
	s_mov_b32 m0, s0
	s_sendmsg sendmsg(MSG_INTERRUPT)
	s_mov_b32 m0, ttmp2
.LBB4_1180:                             ; =>This Inner Loop Header: Depth=1
	s_sethalt 5
	s_branch .LBB4_1180
.LBB4_1181:
	s_trap 2
	s_sendmsg_rtn_b32 s0, sendmsg(MSG_RTN_GET_DOORBELL)
	s_mov_b32 ttmp2, m0
	s_waitcnt lgkmcnt(0)
	s_and_b32 s0, s0, 0x3ff
	s_delay_alu instid0(SALU_CYCLE_1) | instskip(NEXT) | instid1(SALU_CYCLE_1)
	s_bitset1_b32 s0, 10
	s_mov_b32 m0, s0
	s_sendmsg sendmsg(MSG_INTERRUPT)
	s_mov_b32 m0, ttmp2
.LBB4_1182:                             ; =>This Inner Loop Header: Depth=1
	s_sethalt 5
	s_branch .LBB4_1182
.LBB4_1183:
	s_trap 2
	s_sendmsg_rtn_b32 s0, sendmsg(MSG_RTN_GET_DOORBELL)
	s_mov_b32 ttmp2, m0
	s_waitcnt lgkmcnt(0)
	s_and_b32 s0, s0, 0x3ff
	s_delay_alu instid0(SALU_CYCLE_1) | instskip(NEXT) | instid1(SALU_CYCLE_1)
	s_bitset1_b32 s0, 10
	s_mov_b32 m0, s0
	s_sendmsg sendmsg(MSG_INTERRUPT)
	s_mov_b32 m0, ttmp2
.LBB4_1184:                             ; =>This Inner Loop Header: Depth=1
	s_sethalt 5
	s_branch .LBB4_1184
.LBB4_1185:
	s_trap 2
	s_sendmsg_rtn_b32 s0, sendmsg(MSG_RTN_GET_DOORBELL)
	s_mov_b32 ttmp2, m0
	s_waitcnt lgkmcnt(0)
	s_and_b32 s0, s0, 0x3ff
	s_delay_alu instid0(SALU_CYCLE_1) | instskip(NEXT) | instid1(SALU_CYCLE_1)
	s_bitset1_b32 s0, 10
	s_mov_b32 m0, s0
	s_sendmsg sendmsg(MSG_INTERRUPT)
	s_mov_b32 m0, ttmp2
.LBB4_1186:                             ; =>This Inner Loop Header: Depth=1
	s_sethalt 5
	s_branch .LBB4_1186
.LBB4_1187:
	s_trap 2
	s_sendmsg_rtn_b32 s0, sendmsg(MSG_RTN_GET_DOORBELL)
	s_mov_b32 ttmp2, m0
	s_waitcnt lgkmcnt(0)
	s_and_b32 s0, s0, 0x3ff
	s_delay_alu instid0(SALU_CYCLE_1) | instskip(NEXT) | instid1(SALU_CYCLE_1)
	s_bitset1_b32 s0, 10
	s_mov_b32 m0, s0
	s_sendmsg sendmsg(MSG_INTERRUPT)
	s_mov_b32 m0, ttmp2
.LBB4_1188:                             ; =>This Inner Loop Header: Depth=1
	s_sethalt 5
	s_branch .LBB4_1188
.LBB4_1189:
	s_trap 2
	s_sendmsg_rtn_b32 s0, sendmsg(MSG_RTN_GET_DOORBELL)
	s_mov_b32 ttmp2, m0
	s_waitcnt lgkmcnt(0)
	s_and_b32 s0, s0, 0x3ff
	s_delay_alu instid0(SALU_CYCLE_1) | instskip(NEXT) | instid1(SALU_CYCLE_1)
	s_bitset1_b32 s0, 10
	s_mov_b32 m0, s0
	s_sendmsg sendmsg(MSG_INTERRUPT)
	s_mov_b32 m0, ttmp2
.LBB4_1190:                             ; =>This Inner Loop Header: Depth=1
	s_sethalt 5
	s_branch .LBB4_1190
.LBB4_1191:
	s_trap 2
	s_sendmsg_rtn_b32 s0, sendmsg(MSG_RTN_GET_DOORBELL)
	s_mov_b32 ttmp2, m0
	s_waitcnt lgkmcnt(0)
	s_and_b32 s0, s0, 0x3ff
	s_delay_alu instid0(SALU_CYCLE_1) | instskip(NEXT) | instid1(SALU_CYCLE_1)
	s_bitset1_b32 s0, 10
	s_mov_b32 m0, s0
	s_sendmsg sendmsg(MSG_INTERRUPT)
	s_mov_b32 m0, ttmp2
.LBB4_1192:                             ; =>This Inner Loop Header: Depth=1
	s_sethalt 5
	s_branch .LBB4_1192
.LBB4_1193:
	s_trap 2
	s_sendmsg_rtn_b32 s0, sendmsg(MSG_RTN_GET_DOORBELL)
	s_mov_b32 ttmp2, m0
	s_waitcnt lgkmcnt(0)
	s_and_b32 s0, s0, 0x3ff
	s_delay_alu instid0(SALU_CYCLE_1) | instskip(NEXT) | instid1(SALU_CYCLE_1)
	s_bitset1_b32 s0, 10
	s_mov_b32 m0, s0
	s_sendmsg sendmsg(MSG_INTERRUPT)
	s_mov_b32 m0, ttmp2
.LBB4_1194:                             ; =>This Inner Loop Header: Depth=1
	s_sethalt 5
	s_branch .LBB4_1194
.LBB4_1195:
	s_trap 2
	s_sendmsg_rtn_b32 s0, sendmsg(MSG_RTN_GET_DOORBELL)
	s_mov_b32 ttmp2, m0
	s_waitcnt lgkmcnt(0)
	s_and_b32 s0, s0, 0x3ff
	s_delay_alu instid0(SALU_CYCLE_1) | instskip(NEXT) | instid1(SALU_CYCLE_1)
	s_bitset1_b32 s0, 10
	s_mov_b32 m0, s0
	s_sendmsg sendmsg(MSG_INTERRUPT)
	s_mov_b32 m0, ttmp2
.LBB4_1196:                             ; =>This Inner Loop Header: Depth=1
	s_sethalt 5
	s_branch .LBB4_1196
.LBB4_1197:
	s_trap 2
	s_sendmsg_rtn_b32 s0, sendmsg(MSG_RTN_GET_DOORBELL)
	s_mov_b32 ttmp2, m0
	s_waitcnt lgkmcnt(0)
	s_and_b32 s0, s0, 0x3ff
	s_delay_alu instid0(SALU_CYCLE_1) | instskip(NEXT) | instid1(SALU_CYCLE_1)
	s_bitset1_b32 s0, 10
	s_mov_b32 m0, s0
	s_sendmsg sendmsg(MSG_INTERRUPT)
	s_mov_b32 m0, ttmp2
.LBB4_1198:                             ; =>This Inner Loop Header: Depth=1
	s_sethalt 5
	s_branch .LBB4_1198
.LBB4_1199:                             ;   in Loop: Header=BB4_1203 Depth=1
	s_or_b32 exec_lo, exec_lo, s10
	v_mov_b32_e32 v4, 0
	s_or_not1_b32 s7, s7, exec_lo
.LBB4_1200:                             ;   in Loop: Header=BB4_1203 Depth=1
	s_or_b32 exec_lo, exec_lo, s6
	s_delay_alu instid0(VALU_DEP_1)
	v_mov_b32_e32 v0, v4
	s_and_b32 s6, s7, exec_lo
.LBB4_1201:                             ;   in Loop: Header=BB4_1203 Depth=1
	s_or_b32 exec_lo, exec_lo, s5
	s_xor_b32 s5, s6, -1
	s_and_not1_b32 s3, s3, exec_lo
	s_and_b32 s5, s5, exec_lo
	s_delay_alu instid0(SALU_CYCLE_1)
	s_or_b32 s3, s3, s5
.LBB4_1202:                             ;   in Loop: Header=BB4_1203 Depth=1
	s_or_b32 exec_lo, exec_lo, s4
	s_delay_alu instid0(SALU_CYCLE_1) | instskip(NEXT) | instid1(SALU_CYCLE_1)
	s_and_b32 s4, exec_lo, s3
	s_or_b32 s2, s4, s2
	s_delay_alu instid0(SALU_CYCLE_1)
	s_and_not1_b32 exec_lo, exec_lo, s2
	s_cbranch_execz .LBB4_1212
.LBB4_1203:                             ; =>This Inner Loop Header: Depth=1
	flat_load_b64 v[4:5], v[2:3] glc dlc
	s_waitcnt vmcnt(0)
	s_or_b32 s3, s3, exec_lo
	s_mov_b32 s4, exec_lo
	s_waitcnt lgkmcnt(0)
	v_cmpx_ne_u64_e32 -1, v[4:5]
	s_cbranch_execz .LBB4_1202
; %bb.1204:                             ;   in Loop: Header=BB4_1203 Depth=1
	v_and_b32_e32 v4, 64, v30
	s_mov_b32 s6, 0
	s_mov_b32 s5, exec_lo
	s_delay_alu instid0(VALU_DEP_1)
	v_cmpx_eq_u32_e32 0, v4
	s_cbranch_execz .LBB4_1201
; %bb.1205:                             ;   in Loop: Header=BB4_1203 Depth=1
	v_add_nc_u32_e32 v4, 1, v0
	s_mov_b32 s7, -1
	s_mov_b32 s6, exec_lo
	v_cmpx_lt_i32_e32 0x270e, v0
	s_cbranch_execz .LBB4_1200
; %bb.1206:                             ;   in Loop: Header=BB4_1203 Depth=1
	s_cbranch_execnz .LBB4_1210
; %bb.1207:                             ;   in Loop: Header=BB4_1203 Depth=1
	ds_load_b64 v[4:5], v0
	s_mov_b32 s10, exec_lo
	s_waitcnt lgkmcnt(0)
	s_waitcnt_vscnt null, 0x0
	flat_load_b32 v0, v[4:5] glc
	s_waitcnt vmcnt(0) lgkmcnt(0)
	buffer_gl1_inv
	buffer_gl0_inv
	v_cmpx_ne_u32_e32 0, v0
	s_cbranch_execz .LBB4_1199
; %bb.1208:                             ;   in Loop: Header=BB4_1203 Depth=1
	ds_store_b32 v0, v0
	s_cbranch_execnz .LBB4_1228
; %bb.1209:                             ;   in Loop: Header=BB4_1203 Depth=1
	v_or_b32_e32 v30, 64, v30
	s_xor_b32 s7, exec_lo, -1
	s_branch .LBB4_1199
.LBB4_1210:
	s_trap 2
	s_sendmsg_rtn_b32 s0, sendmsg(MSG_RTN_GET_DOORBELL)
	s_mov_b32 ttmp2, m0
	s_waitcnt lgkmcnt(0)
	s_and_b32 s0, s0, 0x3ff
	s_delay_alu instid0(SALU_CYCLE_1) | instskip(NEXT) | instid1(SALU_CYCLE_1)
	s_bitset1_b32 s0, 10
	s_mov_b32 m0, s0
	s_sendmsg sendmsg(MSG_INTERRUPT)
	s_mov_b32 m0, ttmp2
.LBB4_1211:                             ; =>This Inner Loop Header: Depth=1
	s_sethalt 5
	s_branch .LBB4_1211
.LBB4_1212:
	s_or_b32 exec_lo, exec_lo, s2
.LBB4_1213:
	s_delay_alu instid0(SALU_CYCLE_1) | instskip(SKIP_2) | instid1(VALU_DEP_1)
	s_or_b32 exec_lo, exec_lo, s1
	v_and_b32_e32 v0, 0x2000, v30
	s_mov_b32 s1, exec_lo
	v_cmpx_ne_u32_e32 0, v0
	s_cbranch_execz .LBB4_1216
; %bb.1214:
	s_cbranch_execnz .LBB4_1224
; %bb.1215:
	ds_load_b64 v[2:3], v0
	s_waitcnt lgkmcnt(0)
	flat_store_b64 v[20:21], v[2:3] offset:16
.LBB4_1216:
	s_or_b32 exec_lo, exec_lo, s1
	v_cmp_ne_u32_e32 vcc_lo, 32, v1
	s_and_b32 exec_lo, exec_lo, vcc_lo
	s_cbranch_execz .LBB4_1461
; %bb.1217:
	s_mov_b32 s1, exec_lo
	v_cmpx_ne_u32_e64 v71, v1
	s_xor_b32 s1, exec_lo, s1
	s_cbranch_execz .LBB4_1459
; %bb.1218:
	v_and_b32_e32 v0, 31, v31
	s_mov_b32 s2, exec_lo
	s_delay_alu instid0(VALU_DEP_1)
	v_cmpx_eq_u32_e32 0, v0
	s_cbranch_execz .LBB4_1458
; %bb.1219:
	s_mov_b32 s4, exec_lo
	s_mov_b32 s3, exec_lo
	v_mbcnt_lo_u32_b32 v0, s4, 0
	s_waitcnt lgkmcnt(0)
	s_waitcnt_vscnt null, 0x0
	buffer_gl1_inv
	buffer_gl0_inv
	v_cmpx_eq_u32_e32 0, v0
	s_cbranch_execz .LBB4_1221
; %bb.1220:
	s_bcnt1_i32_b32 s4, s4
	s_delay_alu instid0(SALU_CYCLE_1)
	v_dual_mov_b32 v3, 0 :: v_dual_mov_b32 v2, s4
	ds_add_u64 v0, v[2:3]
	s_cbranch_execnz .LBB4_1281
.LBB4_1221:
	s_or_b32 exec_lo, exec_lo, s3
	s_cbranch_execnz .LBB4_1258
; %bb.1222:
	v_ashrrev_i32_e32 v0, 31, v1
	s_mov_b32 s3, exec_lo
	s_delay_alu instid0(VALU_DEP_1) | instskip(NEXT) | instid1(VALU_DEP_1)
	v_lshrrev_b32_e32 v0, 27, v0
	v_add_nc_u32_e32 v0, v1, v0
	ds_load_b64 v[2:3], v0
	v_ashrrev_i32_e32 v0, 5, v0
	s_delay_alu instid0(VALU_DEP_1) | instskip(SKIP_1) | instid1(VALU_DEP_2)
	v_ashrrev_i32_e32 v1, 31, v0
	v_add_co_u32 v0, vcc_lo, v32, v0
	v_add_co_ci_u32_e32 v1, vcc_lo, v33, v1, vcc_lo
	s_waitcnt lgkmcnt(0)
	s_delay_alu instid0(VALU_DEP_1)
	v_cmpx_lt_u64_e64 v[2:3], v[0:1]
	s_cbranch_execz .LBB4_1457
; %bb.1223:
	s_mov_b32 s4, 0
	s_mov_b32 s7, 0
                                        ; implicit-def: $sgpr5
                                        ; implicit-def: $sgpr6
	s_branch .LBB4_1271
.LBB4_1224:
	s_trap 2
	s_sendmsg_rtn_b32 s0, sendmsg(MSG_RTN_GET_DOORBELL)
	s_mov_b32 ttmp2, m0
	s_waitcnt lgkmcnt(0)
	s_and_b32 s0, s0, 0x3ff
	s_delay_alu instid0(SALU_CYCLE_1) | instskip(NEXT) | instid1(SALU_CYCLE_1)
	s_bitset1_b32 s0, 10
	s_mov_b32 m0, s0
	s_sendmsg sendmsg(MSG_INTERRUPT)
	s_mov_b32 m0, ttmp2
.LBB4_1225:                             ; =>This Inner Loop Header: Depth=1
	s_sethalt 5
	s_branch .LBB4_1225
.LBB4_1226:
	s_trap 2
	s_sendmsg_rtn_b32 s0, sendmsg(MSG_RTN_GET_DOORBELL)
	s_mov_b32 ttmp2, m0
	s_waitcnt lgkmcnt(0)
	s_and_b32 s0, s0, 0x3ff
	s_delay_alu instid0(SALU_CYCLE_1) | instskip(NEXT) | instid1(SALU_CYCLE_1)
	s_bitset1_b32 s0, 10
	s_mov_b32 m0, s0
	s_sendmsg sendmsg(MSG_INTERRUPT)
	s_mov_b32 m0, ttmp2
.LBB4_1227:                             ; =>This Inner Loop Header: Depth=1
	s_sethalt 5
	s_branch .LBB4_1227
.LBB4_1228:
	s_trap 2
	s_sendmsg_rtn_b32 s0, sendmsg(MSG_RTN_GET_DOORBELL)
	s_mov_b32 ttmp2, m0
	s_waitcnt lgkmcnt(0)
	s_and_b32 s0, s0, 0x3ff
	s_delay_alu instid0(SALU_CYCLE_1) | instskip(NEXT) | instid1(SALU_CYCLE_1)
	s_bitset1_b32 s0, 10
	s_mov_b32 m0, s0
	s_sendmsg sendmsg(MSG_INTERRUPT)
	s_mov_b32 m0, ttmp2
.LBB4_1229:                             ; =>This Inner Loop Header: Depth=1
	s_sethalt 5
	s_branch .LBB4_1229
.LBB4_1230:
	s_trap 2
	s_sendmsg_rtn_b32 s0, sendmsg(MSG_RTN_GET_DOORBELL)
	s_mov_b32 ttmp2, m0
	s_waitcnt lgkmcnt(0)
	s_and_b32 s0, s0, 0x3ff
	s_delay_alu instid0(SALU_CYCLE_1) | instskip(NEXT) | instid1(SALU_CYCLE_1)
	s_bitset1_b32 s0, 10
	s_mov_b32 m0, s0
	s_sendmsg sendmsg(MSG_INTERRUPT)
	s_mov_b32 m0, ttmp2
.LBB4_1231:                             ; =>This Inner Loop Header: Depth=1
	s_sethalt 5
	s_branch .LBB4_1231
.LBB4_1232:
	s_trap 2
	s_sendmsg_rtn_b32 s0, sendmsg(MSG_RTN_GET_DOORBELL)
	s_mov_b32 ttmp2, m0
	s_waitcnt lgkmcnt(0)
	s_and_b32 s0, s0, 0x3ff
	s_delay_alu instid0(SALU_CYCLE_1) | instskip(NEXT) | instid1(SALU_CYCLE_1)
	s_bitset1_b32 s0, 10
	s_mov_b32 m0, s0
	s_sendmsg sendmsg(MSG_INTERRUPT)
	s_mov_b32 m0, ttmp2
.LBB4_1233:                             ; =>This Inner Loop Header: Depth=1
	s_sethalt 5
	s_branch .LBB4_1233
.LBB4_1234:
	s_trap 2
	s_sendmsg_rtn_b32 s0, sendmsg(MSG_RTN_GET_DOORBELL)
	s_mov_b32 ttmp2, m0
	s_waitcnt lgkmcnt(0)
	s_and_b32 s0, s0, 0x3ff
	s_delay_alu instid0(SALU_CYCLE_1) | instskip(NEXT) | instid1(SALU_CYCLE_1)
	s_bitset1_b32 s0, 10
	s_mov_b32 m0, s0
	s_sendmsg sendmsg(MSG_INTERRUPT)
	s_mov_b32 m0, ttmp2
.LBB4_1235:                             ; =>This Inner Loop Header: Depth=1
	s_sethalt 5
	s_branch .LBB4_1235
.LBB4_1236:
	s_trap 2
	s_sendmsg_rtn_b32 s0, sendmsg(MSG_RTN_GET_DOORBELL)
	s_mov_b32 ttmp2, m0
	s_waitcnt lgkmcnt(0)
	s_and_b32 s0, s0, 0x3ff
	s_delay_alu instid0(SALU_CYCLE_1) | instskip(NEXT) | instid1(SALU_CYCLE_1)
	s_bitset1_b32 s0, 10
	s_mov_b32 m0, s0
	s_sendmsg sendmsg(MSG_INTERRUPT)
	s_mov_b32 m0, ttmp2
.LBB4_1237:                             ; =>This Inner Loop Header: Depth=1
	s_sethalt 5
	s_branch .LBB4_1237
.LBB4_1238:
	s_trap 2
	s_sendmsg_rtn_b32 s0, sendmsg(MSG_RTN_GET_DOORBELL)
	s_mov_b32 ttmp2, m0
	s_waitcnt lgkmcnt(0)
	s_and_b32 s0, s0, 0x3ff
	s_delay_alu instid0(SALU_CYCLE_1) | instskip(NEXT) | instid1(SALU_CYCLE_1)
	s_bitset1_b32 s0, 10
	s_mov_b32 m0, s0
	s_sendmsg sendmsg(MSG_INTERRUPT)
	s_mov_b32 m0, ttmp2
.LBB4_1239:                             ; =>This Inner Loop Header: Depth=1
	s_sethalt 5
	s_branch .LBB4_1239
.LBB4_1240:
	s_trap 2
	s_sendmsg_rtn_b32 s0, sendmsg(MSG_RTN_GET_DOORBELL)
	s_mov_b32 ttmp2, m0
	s_waitcnt lgkmcnt(0)
	s_and_b32 s0, s0, 0x3ff
	s_delay_alu instid0(SALU_CYCLE_1) | instskip(NEXT) | instid1(SALU_CYCLE_1)
	s_bitset1_b32 s0, 10
	s_mov_b32 m0, s0
	s_sendmsg sendmsg(MSG_INTERRUPT)
	s_mov_b32 m0, ttmp2
.LBB4_1241:                             ; =>This Inner Loop Header: Depth=1
	s_sethalt 5
	s_branch .LBB4_1241
.LBB4_1242:
	s_trap 2
	s_sendmsg_rtn_b32 s0, sendmsg(MSG_RTN_GET_DOORBELL)
	s_mov_b32 ttmp2, m0
	s_waitcnt lgkmcnt(0)
	s_and_b32 s0, s0, 0x3ff
	s_delay_alu instid0(SALU_CYCLE_1) | instskip(NEXT) | instid1(SALU_CYCLE_1)
	s_bitset1_b32 s0, 10
	s_mov_b32 m0, s0
	s_sendmsg sendmsg(MSG_INTERRUPT)
	s_mov_b32 m0, ttmp2
.LBB4_1243:                             ; =>This Inner Loop Header: Depth=1
	s_sethalt 5
	s_branch .LBB4_1243
.LBB4_1244:
	s_trap 2
	s_sendmsg_rtn_b32 s0, sendmsg(MSG_RTN_GET_DOORBELL)
	s_mov_b32 ttmp2, m0
	s_waitcnt lgkmcnt(0)
	s_and_b32 s0, s0, 0x3ff
	s_delay_alu instid0(SALU_CYCLE_1) | instskip(NEXT) | instid1(SALU_CYCLE_1)
	s_bitset1_b32 s0, 10
	s_mov_b32 m0, s0
	s_sendmsg sendmsg(MSG_INTERRUPT)
	s_mov_b32 m0, ttmp2
.LBB4_1245:                             ; =>This Inner Loop Header: Depth=1
	s_sethalt 5
	s_branch .LBB4_1245
.LBB4_1246:
	s_trap 2
	s_sendmsg_rtn_b32 s0, sendmsg(MSG_RTN_GET_DOORBELL)
	s_mov_b32 ttmp2, m0
	s_waitcnt lgkmcnt(0)
	s_and_b32 s0, s0, 0x3ff
	s_delay_alu instid0(SALU_CYCLE_1) | instskip(NEXT) | instid1(SALU_CYCLE_1)
	s_bitset1_b32 s0, 10
	s_mov_b32 m0, s0
	s_sendmsg sendmsg(MSG_INTERRUPT)
	s_mov_b32 m0, ttmp2
.LBB4_1247:                             ; =>This Inner Loop Header: Depth=1
	s_sethalt 5
	s_branch .LBB4_1247
.LBB4_1248:
	s_trap 2
	s_sendmsg_rtn_b32 s0, sendmsg(MSG_RTN_GET_DOORBELL)
	s_mov_b32 ttmp2, m0
	s_waitcnt lgkmcnt(0)
	s_and_b32 s0, s0, 0x3ff
	s_delay_alu instid0(SALU_CYCLE_1) | instskip(NEXT) | instid1(SALU_CYCLE_1)
	s_bitset1_b32 s0, 10
	s_mov_b32 m0, s0
	s_sendmsg sendmsg(MSG_INTERRUPT)
	s_mov_b32 m0, ttmp2
.LBB4_1249:                             ; =>This Inner Loop Header: Depth=1
	s_sethalt 5
	s_branch .LBB4_1249
.LBB4_1250:
	s_trap 2
	s_sendmsg_rtn_b32 s0, sendmsg(MSG_RTN_GET_DOORBELL)
	s_mov_b32 ttmp2, m0
	s_waitcnt lgkmcnt(0)
	s_and_b32 s0, s0, 0x3ff
	s_delay_alu instid0(SALU_CYCLE_1) | instskip(NEXT) | instid1(SALU_CYCLE_1)
	s_bitset1_b32 s0, 10
	s_mov_b32 m0, s0
	s_sendmsg sendmsg(MSG_INTERRUPT)
	s_mov_b32 m0, ttmp2
.LBB4_1251:                             ; =>This Inner Loop Header: Depth=1
	s_sethalt 5
	s_branch .LBB4_1251
.LBB4_1252:
	s_trap 2
	s_sendmsg_rtn_b32 s0, sendmsg(MSG_RTN_GET_DOORBELL)
	s_mov_b32 ttmp2, m0
	s_waitcnt lgkmcnt(0)
	s_and_b32 s0, s0, 0x3ff
	s_delay_alu instid0(SALU_CYCLE_1) | instskip(NEXT) | instid1(SALU_CYCLE_1)
	s_bitset1_b32 s0, 10
	s_mov_b32 m0, s0
	s_sendmsg sendmsg(MSG_INTERRUPT)
	s_mov_b32 m0, ttmp2
.LBB4_1253:                             ; =>This Inner Loop Header: Depth=1
	s_sethalt 5
	s_branch .LBB4_1253
.LBB4_1254:
	s_trap 2
	s_sendmsg_rtn_b32 s0, sendmsg(MSG_RTN_GET_DOORBELL)
	s_mov_b32 ttmp2, m0
	s_waitcnt lgkmcnt(0)
	s_and_b32 s0, s0, 0x3ff
	s_delay_alu instid0(SALU_CYCLE_1) | instskip(NEXT) | instid1(SALU_CYCLE_1)
	s_bitset1_b32 s0, 10
	s_mov_b32 m0, s0
	s_sendmsg sendmsg(MSG_INTERRUPT)
	s_mov_b32 m0, ttmp2
.LBB4_1255:                             ; =>This Inner Loop Header: Depth=1
	s_sethalt 5
	s_branch .LBB4_1255
.LBB4_1256:
	s_trap 2
	s_sendmsg_rtn_b32 s0, sendmsg(MSG_RTN_GET_DOORBELL)
	s_mov_b32 ttmp2, m0
	s_waitcnt lgkmcnt(0)
	s_and_b32 s0, s0, 0x3ff
	s_delay_alu instid0(SALU_CYCLE_1) | instskip(NEXT) | instid1(SALU_CYCLE_1)
	s_bitset1_b32 s0, 10
	s_mov_b32 m0, s0
	s_sendmsg sendmsg(MSG_INTERRUPT)
	s_mov_b32 m0, ttmp2
.LBB4_1257:                             ; =>This Inner Loop Header: Depth=1
	s_sethalt 5
	s_branch .LBB4_1257
.LBB4_1258:
	s_trap 2
	s_sendmsg_rtn_b32 s0, sendmsg(MSG_RTN_GET_DOORBELL)
	s_mov_b32 ttmp2, m0
	s_waitcnt lgkmcnt(0)
	s_and_b32 s0, s0, 0x3ff
	s_delay_alu instid0(SALU_CYCLE_1) | instskip(NEXT) | instid1(SALU_CYCLE_1)
	s_bitset1_b32 s0, 10
	s_mov_b32 m0, s0
	s_sendmsg sendmsg(MSG_INTERRUPT)
	s_mov_b32 m0, ttmp2
.LBB4_1259:                             ; =>This Inner Loop Header: Depth=1
	s_sethalt 5
	s_branch .LBB4_1259
.LBB4_1260:
	s_trap 2
	s_sendmsg_rtn_b32 s0, sendmsg(MSG_RTN_GET_DOORBELL)
	s_mov_b32 ttmp2, m0
	s_waitcnt lgkmcnt(0)
	s_and_b32 s0, s0, 0x3ff
	s_delay_alu instid0(SALU_CYCLE_1) | instskip(NEXT) | instid1(SALU_CYCLE_1)
	s_bitset1_b32 s0, 10
	s_mov_b32 m0, s0
	s_sendmsg sendmsg(MSG_INTERRUPT)
	s_mov_b32 m0, ttmp2
.LBB4_1261:                             ; =>This Inner Loop Header: Depth=1
	s_sethalt 5
	s_branch .LBB4_1261
.LBB4_1262:
	s_trap 2
	s_sendmsg_rtn_b32 s0, sendmsg(MSG_RTN_GET_DOORBELL)
	s_mov_b32 ttmp2, m0
	s_waitcnt lgkmcnt(0)
	s_and_b32 s0, s0, 0x3ff
	s_delay_alu instid0(SALU_CYCLE_1) | instskip(NEXT) | instid1(SALU_CYCLE_1)
	s_bitset1_b32 s0, 10
	s_mov_b32 m0, s0
	s_sendmsg sendmsg(MSG_INTERRUPT)
	s_mov_b32 m0, ttmp2
.LBB4_1263:                             ; =>This Inner Loop Header: Depth=1
	s_sethalt 5
	s_branch .LBB4_1263
.LBB4_1264:
	s_trap 2
	s_sendmsg_rtn_b32 s0, sendmsg(MSG_RTN_GET_DOORBELL)
	s_mov_b32 ttmp2, m0
	s_waitcnt lgkmcnt(0)
	s_and_b32 s0, s0, 0x3ff
	s_delay_alu instid0(SALU_CYCLE_1) | instskip(NEXT) | instid1(SALU_CYCLE_1)
	s_bitset1_b32 s0, 10
	s_mov_b32 m0, s0
	s_sendmsg sendmsg(MSG_INTERRUPT)
	s_mov_b32 m0, ttmp2
.LBB4_1265:                             ; =>This Inner Loop Header: Depth=1
	s_sethalt 5
	s_branch .LBB4_1265
.LBB4_1266:
	s_trap 2
	s_sendmsg_rtn_b32 s0, sendmsg(MSG_RTN_GET_DOORBELL)
	s_mov_b32 ttmp2, m0
	s_waitcnt lgkmcnt(0)
	s_and_b32 s0, s0, 0x3ff
	s_delay_alu instid0(SALU_CYCLE_1) | instskip(NEXT) | instid1(SALU_CYCLE_1)
	s_bitset1_b32 s0, 10
	s_mov_b32 m0, s0
	s_sendmsg sendmsg(MSG_INTERRUPT)
	s_mov_b32 m0, ttmp2
.LBB4_1267:                             ; =>This Inner Loop Header: Depth=1
	s_sethalt 5
	s_branch .LBB4_1267
.LBB4_1268:
	s_trap 2
	s_sendmsg_rtn_b32 s0, sendmsg(MSG_RTN_GET_DOORBELL)
	s_mov_b32 ttmp2, m0
	s_waitcnt lgkmcnt(0)
	s_and_b32 s0, s0, 0x3ff
	s_delay_alu instid0(SALU_CYCLE_1) | instskip(NEXT) | instid1(SALU_CYCLE_1)
	s_bitset1_b32 s0, 10
	s_mov_b32 m0, s0
	s_sendmsg sendmsg(MSG_INTERRUPT)
	s_mov_b32 m0, ttmp2
.LBB4_1269:                             ; =>This Inner Loop Header: Depth=1
	s_sethalt 5
	s_branch .LBB4_1269
.LBB4_1270:                             ;   in Loop: Header=BB4_1271 Depth=1
	s_or_b32 exec_lo, exec_lo, s12
	s_delay_alu instid0(SALU_CYCLE_1) | instskip(NEXT) | instid1(SALU_CYCLE_1)
	s_and_b32 s10, exec_lo, s11
	s_or_b32 s4, s10, s4
	s_and_not1_b32 s5, s5, exec_lo
	s_and_b32 s10, s6, exec_lo
	s_delay_alu instid0(SALU_CYCLE_1)
	s_or_b32 s5, s5, s10
	s_and_not1_b32 exec_lo, exec_lo, s4
	s_cbranch_execz .LBB4_1455
.LBB4_1271:                             ; =>This Inner Loop Header: Depth=1
	s_add_i32 s7, s7, 1
                                        ; implicit-def: $sgpr11
	s_delay_alu instid0(SALU_CYCLE_1) | instskip(SKIP_1) | instid1(SALU_CYCLE_1)
	s_cmpk_lg_i32 s7, 0x2710
	s_cselect_b32 s10, -1, 0
	s_and_b32 vcc_lo, exec_lo, s10
	s_cbranch_vccz .LBB4_1275
.LBB4_1272:                             ;   in Loop: Header=BB4_1271 Depth=1
	s_and_not1_b32 s6, s6, exec_lo
	s_and_b32 s12, s11, exec_lo
	s_mov_b32 s11, -1
	s_or_b32 s6, s6, s12
	s_and_saveexec_b32 s12, s10
	s_cbranch_execz .LBB4_1270
; %bb.1273:                             ;   in Loop: Header=BB4_1271 Depth=1
	s_sleep 1
	s_cbranch_execnz .LBB4_1307
; %bb.1274:                             ;   in Loop: Header=BB4_1271 Depth=1
	ds_load_b64 v[2:3], v0
	s_and_not1_b32 s6, s6, exec_lo
	s_waitcnt lgkmcnt(0)
	v_cmp_ge_u64_e32 vcc_lo, v[2:3], v[0:1]
	s_or_not1_b32 s11, vcc_lo, exec_lo
	s_branch .LBB4_1270
.LBB4_1275:                             ;   in Loop: Header=BB4_1271 Depth=1
	s_cbranch_execnz .LBB4_1317
; %bb.1276:                             ;   in Loop: Header=BB4_1271 Depth=1
	ds_load_b64 v[2:3], v0
	s_and_not1_b32 s10, s10, exec_lo
	s_mov_b32 s7, 0
	s_mov_b32 s11, -1
	s_waitcnt lgkmcnt(0)
	flat_load_b32 v2, v[2:3] glc
	s_waitcnt vmcnt(0) lgkmcnt(0)
	buffer_gl1_inv
	buffer_gl0_inv
	v_cmp_eq_u32_e32 vcc_lo, 0, v2
	s_and_b32 s12, vcc_lo, exec_lo
	s_delay_alu instid0(SALU_CYCLE_1)
	s_or_b32 s10, s10, s12
	s_branch .LBB4_1272
.LBB4_1277:
	s_trap 2
	s_sendmsg_rtn_b32 s0, sendmsg(MSG_RTN_GET_DOORBELL)
	s_mov_b32 ttmp2, m0
	s_waitcnt lgkmcnt(0)
	s_and_b32 s0, s0, 0x3ff
	s_delay_alu instid0(SALU_CYCLE_1) | instskip(NEXT) | instid1(SALU_CYCLE_1)
	s_bitset1_b32 s0, 10
	s_mov_b32 m0, s0
	s_sendmsg sendmsg(MSG_INTERRUPT)
	s_mov_b32 m0, ttmp2
.LBB4_1278:                             ; =>This Inner Loop Header: Depth=1
	s_sethalt 5
	s_branch .LBB4_1278
.LBB4_1279:
	s_trap 2
	s_sendmsg_rtn_b32 s0, sendmsg(MSG_RTN_GET_DOORBELL)
	s_mov_b32 ttmp2, m0
	s_waitcnt lgkmcnt(0)
	s_and_b32 s0, s0, 0x3ff
	s_delay_alu instid0(SALU_CYCLE_1) | instskip(NEXT) | instid1(SALU_CYCLE_1)
	s_bitset1_b32 s0, 10
	s_mov_b32 m0, s0
	s_sendmsg sendmsg(MSG_INTERRUPT)
	s_mov_b32 m0, ttmp2
.LBB4_1280:                             ; =>This Inner Loop Header: Depth=1
	s_sethalt 5
	s_branch .LBB4_1280
.LBB4_1281:
	s_trap 2
	s_sendmsg_rtn_b32 s0, sendmsg(MSG_RTN_GET_DOORBELL)
	s_mov_b32 ttmp2, m0
	s_waitcnt lgkmcnt(0)
	s_and_b32 s0, s0, 0x3ff
	s_delay_alu instid0(SALU_CYCLE_1) | instskip(NEXT) | instid1(SALU_CYCLE_1)
	s_bitset1_b32 s0, 10
	s_mov_b32 m0, s0
	s_sendmsg sendmsg(MSG_INTERRUPT)
	s_mov_b32 m0, ttmp2
.LBB4_1282:                             ; =>This Inner Loop Header: Depth=1
	s_sethalt 5
	s_branch .LBB4_1282
.LBB4_1283:
	s_trap 2
	s_sendmsg_rtn_b32 s0, sendmsg(MSG_RTN_GET_DOORBELL)
	s_mov_b32 ttmp2, m0
	s_waitcnt lgkmcnt(0)
	s_and_b32 s0, s0, 0x3ff
	s_delay_alu instid0(SALU_CYCLE_1) | instskip(NEXT) | instid1(SALU_CYCLE_1)
	s_bitset1_b32 s0, 10
	s_mov_b32 m0, s0
	s_sendmsg sendmsg(MSG_INTERRUPT)
	s_mov_b32 m0, ttmp2
.LBB4_1284:                             ; =>This Inner Loop Header: Depth=1
	s_sethalt 5
	s_branch .LBB4_1284
.LBB4_1285:
	s_trap 2
	s_sendmsg_rtn_b32 s0, sendmsg(MSG_RTN_GET_DOORBELL)
	s_mov_b32 ttmp2, m0
	s_waitcnt lgkmcnt(0)
	s_and_b32 s0, s0, 0x3ff
	s_delay_alu instid0(SALU_CYCLE_1) | instskip(NEXT) | instid1(SALU_CYCLE_1)
	s_bitset1_b32 s0, 10
	s_mov_b32 m0, s0
	s_sendmsg sendmsg(MSG_INTERRUPT)
	s_mov_b32 m0, ttmp2
.LBB4_1286:                             ; =>This Inner Loop Header: Depth=1
	s_sethalt 5
	s_branch .LBB4_1286
.LBB4_1287:
	s_trap 2
	s_sendmsg_rtn_b32 s0, sendmsg(MSG_RTN_GET_DOORBELL)
	s_mov_b32 ttmp2, m0
	s_waitcnt lgkmcnt(0)
	s_and_b32 s0, s0, 0x3ff
	s_delay_alu instid0(SALU_CYCLE_1) | instskip(NEXT) | instid1(SALU_CYCLE_1)
	s_bitset1_b32 s0, 10
	s_mov_b32 m0, s0
	s_sendmsg sendmsg(MSG_INTERRUPT)
	s_mov_b32 m0, ttmp2
.LBB4_1288:                             ; =>This Inner Loop Header: Depth=1
	s_sethalt 5
	s_branch .LBB4_1288
.LBB4_1289:
	s_trap 2
	s_sendmsg_rtn_b32 s0, sendmsg(MSG_RTN_GET_DOORBELL)
	s_mov_b32 ttmp2, m0
	s_waitcnt lgkmcnt(0)
	s_and_b32 s0, s0, 0x3ff
	s_delay_alu instid0(SALU_CYCLE_1) | instskip(NEXT) | instid1(SALU_CYCLE_1)
	s_bitset1_b32 s0, 10
	s_mov_b32 m0, s0
	s_sendmsg sendmsg(MSG_INTERRUPT)
	s_mov_b32 m0, ttmp2
.LBB4_1290:                             ; =>This Inner Loop Header: Depth=1
	s_sethalt 5
	s_branch .LBB4_1290
.LBB4_1291:
	s_trap 2
	s_sendmsg_rtn_b32 s0, sendmsg(MSG_RTN_GET_DOORBELL)
	s_mov_b32 ttmp2, m0
	s_waitcnt lgkmcnt(0)
	s_and_b32 s0, s0, 0x3ff
	s_delay_alu instid0(SALU_CYCLE_1) | instskip(NEXT) | instid1(SALU_CYCLE_1)
	s_bitset1_b32 s0, 10
	s_mov_b32 m0, s0
	s_sendmsg sendmsg(MSG_INTERRUPT)
	s_mov_b32 m0, ttmp2
.LBB4_1292:                             ; =>This Inner Loop Header: Depth=1
	s_sethalt 5
	s_branch .LBB4_1292
.LBB4_1293:
	s_trap 2
	s_sendmsg_rtn_b32 s0, sendmsg(MSG_RTN_GET_DOORBELL)
	s_mov_b32 ttmp2, m0
	s_waitcnt lgkmcnt(0)
	s_and_b32 s0, s0, 0x3ff
	s_delay_alu instid0(SALU_CYCLE_1) | instskip(NEXT) | instid1(SALU_CYCLE_1)
	s_bitset1_b32 s0, 10
	s_mov_b32 m0, s0
	s_sendmsg sendmsg(MSG_INTERRUPT)
	s_mov_b32 m0, ttmp2
.LBB4_1294:                             ; =>This Inner Loop Header: Depth=1
	s_sethalt 5
	s_branch .LBB4_1294
.LBB4_1295:
	s_trap 2
	s_sendmsg_rtn_b32 s0, sendmsg(MSG_RTN_GET_DOORBELL)
	s_mov_b32 ttmp2, m0
	s_waitcnt lgkmcnt(0)
	s_and_b32 s0, s0, 0x3ff
	s_delay_alu instid0(SALU_CYCLE_1) | instskip(NEXT) | instid1(SALU_CYCLE_1)
	s_bitset1_b32 s0, 10
	s_mov_b32 m0, s0
	s_sendmsg sendmsg(MSG_INTERRUPT)
	s_mov_b32 m0, ttmp2
.LBB4_1296:                             ; =>This Inner Loop Header: Depth=1
	s_sethalt 5
	s_branch .LBB4_1296
.LBB4_1297:
	s_trap 2
	s_sendmsg_rtn_b32 s0, sendmsg(MSG_RTN_GET_DOORBELL)
	s_mov_b32 ttmp2, m0
	s_waitcnt lgkmcnt(0)
	s_and_b32 s0, s0, 0x3ff
	s_delay_alu instid0(SALU_CYCLE_1) | instskip(NEXT) | instid1(SALU_CYCLE_1)
	s_bitset1_b32 s0, 10
	s_mov_b32 m0, s0
	s_sendmsg sendmsg(MSG_INTERRUPT)
	s_mov_b32 m0, ttmp2
.LBB4_1298:                             ; =>This Inner Loop Header: Depth=1
	s_sethalt 5
	s_branch .LBB4_1298
.LBB4_1299:
	s_trap 2
	s_sendmsg_rtn_b32 s0, sendmsg(MSG_RTN_GET_DOORBELL)
	s_mov_b32 ttmp2, m0
	s_waitcnt lgkmcnt(0)
	s_and_b32 s0, s0, 0x3ff
	s_delay_alu instid0(SALU_CYCLE_1) | instskip(NEXT) | instid1(SALU_CYCLE_1)
	s_bitset1_b32 s0, 10
	s_mov_b32 m0, s0
	s_sendmsg sendmsg(MSG_INTERRUPT)
	s_mov_b32 m0, ttmp2
.LBB4_1300:                             ; =>This Inner Loop Header: Depth=1
	s_sethalt 5
	s_branch .LBB4_1300
.LBB4_1301:
	s_trap 2
	s_sendmsg_rtn_b32 s0, sendmsg(MSG_RTN_GET_DOORBELL)
	s_mov_b32 ttmp2, m0
	s_waitcnt lgkmcnt(0)
	s_and_b32 s0, s0, 0x3ff
	s_delay_alu instid0(SALU_CYCLE_1) | instskip(NEXT) | instid1(SALU_CYCLE_1)
	s_bitset1_b32 s0, 10
	s_mov_b32 m0, s0
	s_sendmsg sendmsg(MSG_INTERRUPT)
	s_mov_b32 m0, ttmp2
.LBB4_1302:                             ; =>This Inner Loop Header: Depth=1
	s_sethalt 5
	s_branch .LBB4_1302
.LBB4_1303:
	s_trap 2
	s_sendmsg_rtn_b32 s0, sendmsg(MSG_RTN_GET_DOORBELL)
	s_mov_b32 ttmp2, m0
	s_waitcnt lgkmcnt(0)
	s_and_b32 s0, s0, 0x3ff
	s_delay_alu instid0(SALU_CYCLE_1) | instskip(NEXT) | instid1(SALU_CYCLE_1)
	s_bitset1_b32 s0, 10
	s_mov_b32 m0, s0
	s_sendmsg sendmsg(MSG_INTERRUPT)
	s_mov_b32 m0, ttmp2
.LBB4_1304:                             ; =>This Inner Loop Header: Depth=1
	s_sethalt 5
	s_branch .LBB4_1304
.LBB4_1305:
	s_trap 2
	s_sendmsg_rtn_b32 s0, sendmsg(MSG_RTN_GET_DOORBELL)
	s_mov_b32 ttmp2, m0
	s_waitcnt lgkmcnt(0)
	s_and_b32 s0, s0, 0x3ff
	s_delay_alu instid0(SALU_CYCLE_1) | instskip(NEXT) | instid1(SALU_CYCLE_1)
	s_bitset1_b32 s0, 10
	s_mov_b32 m0, s0
	s_sendmsg sendmsg(MSG_INTERRUPT)
	s_mov_b32 m0, ttmp2
.LBB4_1306:                             ; =>This Inner Loop Header: Depth=1
	s_sethalt 5
	s_branch .LBB4_1306
.LBB4_1307:
	s_trap 2
	s_sendmsg_rtn_b32 s0, sendmsg(MSG_RTN_GET_DOORBELL)
	s_mov_b32 ttmp2, m0
	s_waitcnt lgkmcnt(0)
	s_and_b32 s0, s0, 0x3ff
	s_delay_alu instid0(SALU_CYCLE_1) | instskip(NEXT) | instid1(SALU_CYCLE_1)
	s_bitset1_b32 s0, 10
	s_mov_b32 m0, s0
	s_sendmsg sendmsg(MSG_INTERRUPT)
	s_mov_b32 m0, ttmp2
.LBB4_1308:                             ; =>This Inner Loop Header: Depth=1
	s_sethalt 5
	s_branch .LBB4_1308
.LBB4_1309:
	s_trap 2
	s_sendmsg_rtn_b32 s0, sendmsg(MSG_RTN_GET_DOORBELL)
	s_mov_b32 ttmp2, m0
	s_waitcnt lgkmcnt(0)
	s_and_b32 s0, s0, 0x3ff
	s_delay_alu instid0(SALU_CYCLE_1) | instskip(NEXT) | instid1(SALU_CYCLE_1)
	s_bitset1_b32 s0, 10
	s_mov_b32 m0, s0
	s_sendmsg sendmsg(MSG_INTERRUPT)
	s_mov_b32 m0, ttmp2
.LBB4_1310:                             ; =>This Inner Loop Header: Depth=1
	s_sethalt 5
	s_branch .LBB4_1310
.LBB4_1311:
	s_trap 2
	s_sendmsg_rtn_b32 s0, sendmsg(MSG_RTN_GET_DOORBELL)
	s_mov_b32 ttmp2, m0
	s_waitcnt lgkmcnt(0)
	s_and_b32 s0, s0, 0x3ff
	s_delay_alu instid0(SALU_CYCLE_1) | instskip(NEXT) | instid1(SALU_CYCLE_1)
	s_bitset1_b32 s0, 10
	s_mov_b32 m0, s0
	s_sendmsg sendmsg(MSG_INTERRUPT)
	s_mov_b32 m0, ttmp2
.LBB4_1312:                             ; =>This Inner Loop Header: Depth=1
	s_sethalt 5
	s_branch .LBB4_1312
.LBB4_1313:
	s_trap 2
	s_sendmsg_rtn_b32 s0, sendmsg(MSG_RTN_GET_DOORBELL)
	s_mov_b32 ttmp2, m0
	s_waitcnt lgkmcnt(0)
	s_and_b32 s0, s0, 0x3ff
	s_delay_alu instid0(SALU_CYCLE_1) | instskip(NEXT) | instid1(SALU_CYCLE_1)
	s_bitset1_b32 s0, 10
	s_mov_b32 m0, s0
	s_sendmsg sendmsg(MSG_INTERRUPT)
	s_mov_b32 m0, ttmp2
.LBB4_1314:                             ; =>This Inner Loop Header: Depth=1
	s_sethalt 5
	s_branch .LBB4_1314
.LBB4_1315:
	s_trap 2
	s_sendmsg_rtn_b32 s0, sendmsg(MSG_RTN_GET_DOORBELL)
	s_mov_b32 ttmp2, m0
	s_waitcnt lgkmcnt(0)
	s_and_b32 s0, s0, 0x3ff
	s_delay_alu instid0(SALU_CYCLE_1) | instskip(NEXT) | instid1(SALU_CYCLE_1)
	s_bitset1_b32 s0, 10
	s_mov_b32 m0, s0
	s_sendmsg sendmsg(MSG_INTERRUPT)
	s_mov_b32 m0, ttmp2
.LBB4_1316:                             ; =>This Inner Loop Header: Depth=1
	s_sethalt 5
	s_branch .LBB4_1316
.LBB4_1317:
	s_trap 2
	s_sendmsg_rtn_b32 s0, sendmsg(MSG_RTN_GET_DOORBELL)
	s_mov_b32 ttmp2, m0
	s_waitcnt lgkmcnt(0)
	s_and_b32 s0, s0, 0x3ff
	s_delay_alu instid0(SALU_CYCLE_1) | instskip(NEXT) | instid1(SALU_CYCLE_1)
	s_bitset1_b32 s0, 10
	s_mov_b32 m0, s0
	s_sendmsg sendmsg(MSG_INTERRUPT)
	s_mov_b32 m0, ttmp2
.LBB4_1318:                             ; =>This Inner Loop Header: Depth=1
	s_sethalt 5
	s_branch .LBB4_1318
.LBB4_1319:
	s_trap 2
	s_sendmsg_rtn_b32 s0, sendmsg(MSG_RTN_GET_DOORBELL)
	s_mov_b32 ttmp2, m0
	s_waitcnt lgkmcnt(0)
	s_and_b32 s0, s0, 0x3ff
	s_delay_alu instid0(SALU_CYCLE_1) | instskip(NEXT) | instid1(SALU_CYCLE_1)
	s_bitset1_b32 s0, 10
	s_mov_b32 m0, s0
	s_sendmsg sendmsg(MSG_INTERRUPT)
	s_mov_b32 m0, ttmp2
.LBB4_1320:                             ; =>This Inner Loop Header: Depth=1
	s_sethalt 5
	s_branch .LBB4_1320
.LBB4_1321:
	s_trap 2
	s_sendmsg_rtn_b32 s0, sendmsg(MSG_RTN_GET_DOORBELL)
	s_mov_b32 ttmp2, m0
	s_waitcnt lgkmcnt(0)
	s_and_b32 s0, s0, 0x3ff
	s_delay_alu instid0(SALU_CYCLE_1) | instskip(NEXT) | instid1(SALU_CYCLE_1)
	s_bitset1_b32 s0, 10
	s_mov_b32 m0, s0
	s_sendmsg sendmsg(MSG_INTERRUPT)
	s_mov_b32 m0, ttmp2
.LBB4_1322:                             ; =>This Inner Loop Header: Depth=1
	s_sethalt 5
	s_branch .LBB4_1322
.LBB4_1323:
	s_trap 2
	s_sendmsg_rtn_b32 s0, sendmsg(MSG_RTN_GET_DOORBELL)
	s_mov_b32 ttmp2, m0
	s_waitcnt lgkmcnt(0)
	s_and_b32 s0, s0, 0x3ff
	s_delay_alu instid0(SALU_CYCLE_1) | instskip(NEXT) | instid1(SALU_CYCLE_1)
	s_bitset1_b32 s0, 10
	s_mov_b32 m0, s0
	s_sendmsg sendmsg(MSG_INTERRUPT)
	s_mov_b32 m0, ttmp2
.LBB4_1324:                             ; =>This Inner Loop Header: Depth=1
	s_sethalt 5
	s_branch .LBB4_1324
.LBB4_1325:
	s_trap 2
	s_sendmsg_rtn_b32 s0, sendmsg(MSG_RTN_GET_DOORBELL)
	s_mov_b32 ttmp2, m0
	s_waitcnt lgkmcnt(0)
	s_and_b32 s0, s0, 0x3ff
	s_delay_alu instid0(SALU_CYCLE_1) | instskip(NEXT) | instid1(SALU_CYCLE_1)
	s_bitset1_b32 s0, 10
	s_mov_b32 m0, s0
	s_sendmsg sendmsg(MSG_INTERRUPT)
	s_mov_b32 m0, ttmp2
.LBB4_1326:                             ; =>This Inner Loop Header: Depth=1
	s_sethalt 5
	s_branch .LBB4_1326
.LBB4_1327:
	s_trap 2
	s_sendmsg_rtn_b32 s0, sendmsg(MSG_RTN_GET_DOORBELL)
	s_mov_b32 ttmp2, m0
	s_waitcnt lgkmcnt(0)
	s_and_b32 s0, s0, 0x3ff
	s_delay_alu instid0(SALU_CYCLE_1) | instskip(NEXT) | instid1(SALU_CYCLE_1)
	s_bitset1_b32 s0, 10
	s_mov_b32 m0, s0
	s_sendmsg sendmsg(MSG_INTERRUPT)
	s_mov_b32 m0, ttmp2
.LBB4_1328:                             ; =>This Inner Loop Header: Depth=1
	s_sethalt 5
	s_branch .LBB4_1328
.LBB4_1329:
	s_trap 2
	s_sendmsg_rtn_b32 s0, sendmsg(MSG_RTN_GET_DOORBELL)
	s_mov_b32 ttmp2, m0
	s_waitcnt lgkmcnt(0)
	s_and_b32 s0, s0, 0x3ff
	s_delay_alu instid0(SALU_CYCLE_1) | instskip(NEXT) | instid1(SALU_CYCLE_1)
	s_bitset1_b32 s0, 10
	s_mov_b32 m0, s0
	s_sendmsg sendmsg(MSG_INTERRUPT)
	s_mov_b32 m0, ttmp2
.LBB4_1330:                             ; =>This Inner Loop Header: Depth=1
	s_sethalt 5
	s_branch .LBB4_1330
.LBB4_1331:
	s_trap 2
	s_sendmsg_rtn_b32 s0, sendmsg(MSG_RTN_GET_DOORBELL)
	s_mov_b32 ttmp2, m0
	s_waitcnt lgkmcnt(0)
	s_and_b32 s0, s0, 0x3ff
	s_delay_alu instid0(SALU_CYCLE_1) | instskip(NEXT) | instid1(SALU_CYCLE_1)
	s_bitset1_b32 s0, 10
	s_mov_b32 m0, s0
	s_sendmsg sendmsg(MSG_INTERRUPT)
	s_mov_b32 m0, ttmp2
.LBB4_1332:                             ; =>This Inner Loop Header: Depth=1
	s_sethalt 5
	s_branch .LBB4_1332
.LBB4_1333:
	s_trap 2
	s_sendmsg_rtn_b32 s0, sendmsg(MSG_RTN_GET_DOORBELL)
	s_mov_b32 ttmp2, m0
	s_waitcnt lgkmcnt(0)
	s_and_b32 s0, s0, 0x3ff
	s_delay_alu instid0(SALU_CYCLE_1) | instskip(NEXT) | instid1(SALU_CYCLE_1)
	s_bitset1_b32 s0, 10
	s_mov_b32 m0, s0
	s_sendmsg sendmsg(MSG_INTERRUPT)
	s_mov_b32 m0, ttmp2
.LBB4_1334:                             ; =>This Inner Loop Header: Depth=1
	s_sethalt 5
	s_branch .LBB4_1334
.LBB4_1335:
	s_trap 2
	s_sendmsg_rtn_b32 s0, sendmsg(MSG_RTN_GET_DOORBELL)
	s_mov_b32 ttmp2, m0
	s_waitcnt lgkmcnt(0)
	s_and_b32 s0, s0, 0x3ff
	s_delay_alu instid0(SALU_CYCLE_1) | instskip(NEXT) | instid1(SALU_CYCLE_1)
	s_bitset1_b32 s0, 10
	s_mov_b32 m0, s0
	s_sendmsg sendmsg(MSG_INTERRUPT)
	s_mov_b32 m0, ttmp2
.LBB4_1336:                             ; =>This Inner Loop Header: Depth=1
	s_sethalt 5
	s_branch .LBB4_1336
.LBB4_1337:
	s_trap 2
	s_sendmsg_rtn_b32 s0, sendmsg(MSG_RTN_GET_DOORBELL)
	s_mov_b32 ttmp2, m0
	s_waitcnt lgkmcnt(0)
	s_and_b32 s0, s0, 0x3ff
	s_delay_alu instid0(SALU_CYCLE_1) | instskip(NEXT) | instid1(SALU_CYCLE_1)
	s_bitset1_b32 s0, 10
	s_mov_b32 m0, s0
	s_sendmsg sendmsg(MSG_INTERRUPT)
	s_mov_b32 m0, ttmp2
.LBB4_1338:                             ; =>This Inner Loop Header: Depth=1
	s_sethalt 5
	s_branch .LBB4_1338
.LBB4_1339:
	s_trap 2
	s_sendmsg_rtn_b32 s0, sendmsg(MSG_RTN_GET_DOORBELL)
	s_mov_b32 ttmp2, m0
	s_waitcnt lgkmcnt(0)
	s_and_b32 s0, s0, 0x3ff
	s_delay_alu instid0(SALU_CYCLE_1) | instskip(NEXT) | instid1(SALU_CYCLE_1)
	s_bitset1_b32 s0, 10
	s_mov_b32 m0, s0
	s_sendmsg sendmsg(MSG_INTERRUPT)
	s_mov_b32 m0, ttmp2
.LBB4_1340:                             ; =>This Inner Loop Header: Depth=1
	s_sethalt 5
	s_branch .LBB4_1340
.LBB4_1341:
	s_trap 2
	s_sendmsg_rtn_b32 s0, sendmsg(MSG_RTN_GET_DOORBELL)
	s_mov_b32 ttmp2, m0
	s_waitcnt lgkmcnt(0)
	s_and_b32 s0, s0, 0x3ff
	s_delay_alu instid0(SALU_CYCLE_1) | instskip(NEXT) | instid1(SALU_CYCLE_1)
	s_bitset1_b32 s0, 10
	s_mov_b32 m0, s0
	s_sendmsg sendmsg(MSG_INTERRUPT)
	s_mov_b32 m0, ttmp2
.LBB4_1342:                             ; =>This Inner Loop Header: Depth=1
	s_sethalt 5
	s_branch .LBB4_1342
.LBB4_1343:
	s_trap 2
	s_sendmsg_rtn_b32 s0, sendmsg(MSG_RTN_GET_DOORBELL)
	s_mov_b32 ttmp2, m0
	s_waitcnt lgkmcnt(0)
	s_and_b32 s0, s0, 0x3ff
	s_delay_alu instid0(SALU_CYCLE_1) | instskip(NEXT) | instid1(SALU_CYCLE_1)
	s_bitset1_b32 s0, 10
	s_mov_b32 m0, s0
	s_sendmsg sendmsg(MSG_INTERRUPT)
	s_mov_b32 m0, ttmp2
.LBB4_1344:                             ; =>This Inner Loop Header: Depth=1
	s_sethalt 5
	s_branch .LBB4_1344
.LBB4_1345:
	s_trap 2
	s_sendmsg_rtn_b32 s0, sendmsg(MSG_RTN_GET_DOORBELL)
	s_mov_b32 ttmp2, m0
	s_waitcnt lgkmcnt(0)
	s_and_b32 s0, s0, 0x3ff
	s_delay_alu instid0(SALU_CYCLE_1) | instskip(NEXT) | instid1(SALU_CYCLE_1)
	s_bitset1_b32 s0, 10
	s_mov_b32 m0, s0
	s_sendmsg sendmsg(MSG_INTERRUPT)
	s_mov_b32 m0, ttmp2
.LBB4_1346:                             ; =>This Inner Loop Header: Depth=1
	s_sethalt 5
	s_branch .LBB4_1346
.LBB4_1347:
	s_trap 2
	s_sendmsg_rtn_b32 s0, sendmsg(MSG_RTN_GET_DOORBELL)
	s_mov_b32 ttmp2, m0
	s_waitcnt lgkmcnt(0)
	s_and_b32 s0, s0, 0x3ff
	s_delay_alu instid0(SALU_CYCLE_1) | instskip(NEXT) | instid1(SALU_CYCLE_1)
	s_bitset1_b32 s0, 10
	s_mov_b32 m0, s0
	s_sendmsg sendmsg(MSG_INTERRUPT)
	s_mov_b32 m0, ttmp2
.LBB4_1348:                             ; =>This Inner Loop Header: Depth=1
	s_sethalt 5
	s_branch .LBB4_1348
.LBB4_1349:
	s_trap 2
	s_sendmsg_rtn_b32 s0, sendmsg(MSG_RTN_GET_DOORBELL)
	s_mov_b32 ttmp2, m0
	s_waitcnt lgkmcnt(0)
	s_and_b32 s0, s0, 0x3ff
	s_delay_alu instid0(SALU_CYCLE_1) | instskip(NEXT) | instid1(SALU_CYCLE_1)
	s_bitset1_b32 s0, 10
	s_mov_b32 m0, s0
	s_sendmsg sendmsg(MSG_INTERRUPT)
	s_mov_b32 m0, ttmp2
.LBB4_1350:                             ; =>This Inner Loop Header: Depth=1
	s_sethalt 5
	s_branch .LBB4_1350
.LBB4_1351:
	s_trap 2
	s_sendmsg_rtn_b32 s0, sendmsg(MSG_RTN_GET_DOORBELL)
	s_mov_b32 ttmp2, m0
	s_waitcnt lgkmcnt(0)
	s_and_b32 s0, s0, 0x3ff
	s_delay_alu instid0(SALU_CYCLE_1) | instskip(NEXT) | instid1(SALU_CYCLE_1)
	s_bitset1_b32 s0, 10
	s_mov_b32 m0, s0
	s_sendmsg sendmsg(MSG_INTERRUPT)
	s_mov_b32 m0, ttmp2
.LBB4_1352:                             ; =>This Inner Loop Header: Depth=1
	s_sethalt 5
	s_branch .LBB4_1352
.LBB4_1353:
	s_trap 2
	s_sendmsg_rtn_b32 s0, sendmsg(MSG_RTN_GET_DOORBELL)
	s_mov_b32 ttmp2, m0
	s_waitcnt lgkmcnt(0)
	s_and_b32 s0, s0, 0x3ff
	s_delay_alu instid0(SALU_CYCLE_1) | instskip(NEXT) | instid1(SALU_CYCLE_1)
	s_bitset1_b32 s0, 10
	s_mov_b32 m0, s0
	s_sendmsg sendmsg(MSG_INTERRUPT)
	s_mov_b32 m0, ttmp2
.LBB4_1354:                             ; =>This Inner Loop Header: Depth=1
	s_sethalt 5
	s_branch .LBB4_1354
.LBB4_1355:
	s_trap 2
	s_sendmsg_rtn_b32 s0, sendmsg(MSG_RTN_GET_DOORBELL)
	s_mov_b32 ttmp2, m0
	s_waitcnt lgkmcnt(0)
	s_and_b32 s0, s0, 0x3ff
	s_delay_alu instid0(SALU_CYCLE_1) | instskip(NEXT) | instid1(SALU_CYCLE_1)
	s_bitset1_b32 s0, 10
	s_mov_b32 m0, s0
	s_sendmsg sendmsg(MSG_INTERRUPT)
	s_mov_b32 m0, ttmp2
.LBB4_1356:                             ; =>This Inner Loop Header: Depth=1
	s_sethalt 5
	s_branch .LBB4_1356
.LBB4_1357:
	s_trap 2
	s_sendmsg_rtn_b32 s0, sendmsg(MSG_RTN_GET_DOORBELL)
	s_mov_b32 ttmp2, m0
	s_waitcnt lgkmcnt(0)
	s_and_b32 s0, s0, 0x3ff
	s_delay_alu instid0(SALU_CYCLE_1) | instskip(NEXT) | instid1(SALU_CYCLE_1)
	s_bitset1_b32 s0, 10
	s_mov_b32 m0, s0
	s_sendmsg sendmsg(MSG_INTERRUPT)
	s_mov_b32 m0, ttmp2
.LBB4_1358:                             ; =>This Inner Loop Header: Depth=1
	s_sethalt 5
	s_branch .LBB4_1358
.LBB4_1359:
	s_trap 2
	s_sendmsg_rtn_b32 s0, sendmsg(MSG_RTN_GET_DOORBELL)
	s_mov_b32 ttmp2, m0
	s_waitcnt lgkmcnt(0)
	s_and_b32 s0, s0, 0x3ff
	s_delay_alu instid0(SALU_CYCLE_1) | instskip(NEXT) | instid1(SALU_CYCLE_1)
	s_bitset1_b32 s0, 10
	s_mov_b32 m0, s0
	s_sendmsg sendmsg(MSG_INTERRUPT)
	s_mov_b32 m0, ttmp2
.LBB4_1360:                             ; =>This Inner Loop Header: Depth=1
	s_sethalt 5
	s_branch .LBB4_1360
.LBB4_1361:
	s_trap 2
	s_sendmsg_rtn_b32 s0, sendmsg(MSG_RTN_GET_DOORBELL)
	s_mov_b32 ttmp2, m0
	s_waitcnt lgkmcnt(0)
	s_and_b32 s0, s0, 0x3ff
	s_delay_alu instid0(SALU_CYCLE_1) | instskip(NEXT) | instid1(SALU_CYCLE_1)
	s_bitset1_b32 s0, 10
	s_mov_b32 m0, s0
	s_sendmsg sendmsg(MSG_INTERRUPT)
	s_mov_b32 m0, ttmp2
.LBB4_1362:                             ; =>This Inner Loop Header: Depth=1
	s_sethalt 5
	s_branch .LBB4_1362
.LBB4_1363:
	s_trap 2
	s_sendmsg_rtn_b32 s0, sendmsg(MSG_RTN_GET_DOORBELL)
	s_mov_b32 ttmp2, m0
	s_waitcnt lgkmcnt(0)
	s_and_b32 s0, s0, 0x3ff
	s_delay_alu instid0(SALU_CYCLE_1) | instskip(NEXT) | instid1(SALU_CYCLE_1)
	s_bitset1_b32 s0, 10
	s_mov_b32 m0, s0
	s_sendmsg sendmsg(MSG_INTERRUPT)
	s_mov_b32 m0, ttmp2
.LBB4_1364:                             ; =>This Inner Loop Header: Depth=1
	s_sethalt 5
	s_branch .LBB4_1364
.LBB4_1365:
	s_trap 2
	s_sendmsg_rtn_b32 s0, sendmsg(MSG_RTN_GET_DOORBELL)
	s_mov_b32 ttmp2, m0
	s_waitcnt lgkmcnt(0)
	s_and_b32 s0, s0, 0x3ff
	s_delay_alu instid0(SALU_CYCLE_1) | instskip(NEXT) | instid1(SALU_CYCLE_1)
	s_bitset1_b32 s0, 10
	s_mov_b32 m0, s0
	s_sendmsg sendmsg(MSG_INTERRUPT)
	s_mov_b32 m0, ttmp2
.LBB4_1366:                             ; =>This Inner Loop Header: Depth=1
	s_sethalt 5
	s_branch .LBB4_1366
.LBB4_1367:
	s_trap 2
	s_sendmsg_rtn_b32 s0, sendmsg(MSG_RTN_GET_DOORBELL)
	s_mov_b32 ttmp2, m0
	s_waitcnt lgkmcnt(0)
	s_and_b32 s0, s0, 0x3ff
	s_delay_alu instid0(SALU_CYCLE_1) | instskip(NEXT) | instid1(SALU_CYCLE_1)
	s_bitset1_b32 s0, 10
	s_mov_b32 m0, s0
	s_sendmsg sendmsg(MSG_INTERRUPT)
	s_mov_b32 m0, ttmp2
.LBB4_1368:                             ; =>This Inner Loop Header: Depth=1
	s_sethalt 5
	s_branch .LBB4_1368
.LBB4_1369:
	s_trap 2
	s_sendmsg_rtn_b32 s0, sendmsg(MSG_RTN_GET_DOORBELL)
	s_mov_b32 ttmp2, m0
	s_waitcnt lgkmcnt(0)
	s_and_b32 s0, s0, 0x3ff
	s_delay_alu instid0(SALU_CYCLE_1) | instskip(NEXT) | instid1(SALU_CYCLE_1)
	s_bitset1_b32 s0, 10
	s_mov_b32 m0, s0
	s_sendmsg sendmsg(MSG_INTERRUPT)
	s_mov_b32 m0, ttmp2
.LBB4_1370:                             ; =>This Inner Loop Header: Depth=1
	s_sethalt 5
	s_branch .LBB4_1370
.LBB4_1371:
	s_trap 2
	s_sendmsg_rtn_b32 s0, sendmsg(MSG_RTN_GET_DOORBELL)
	s_mov_b32 ttmp2, m0
	s_waitcnt lgkmcnt(0)
	s_and_b32 s0, s0, 0x3ff
	s_delay_alu instid0(SALU_CYCLE_1) | instskip(NEXT) | instid1(SALU_CYCLE_1)
	s_bitset1_b32 s0, 10
	s_mov_b32 m0, s0
	s_sendmsg sendmsg(MSG_INTERRUPT)
	s_mov_b32 m0, ttmp2
.LBB4_1372:                             ; =>This Inner Loop Header: Depth=1
	s_sethalt 5
	s_branch .LBB4_1372
.LBB4_1373:
	s_trap 2
	s_sendmsg_rtn_b32 s0, sendmsg(MSG_RTN_GET_DOORBELL)
	s_mov_b32 ttmp2, m0
	s_waitcnt lgkmcnt(0)
	s_and_b32 s0, s0, 0x3ff
	s_delay_alu instid0(SALU_CYCLE_1) | instskip(NEXT) | instid1(SALU_CYCLE_1)
	s_bitset1_b32 s0, 10
	s_mov_b32 m0, s0
	s_sendmsg sendmsg(MSG_INTERRUPT)
	s_mov_b32 m0, ttmp2
.LBB4_1374:                             ; =>This Inner Loop Header: Depth=1
	s_sethalt 5
	s_branch .LBB4_1374
.LBB4_1375:
	s_trap 2
	s_sendmsg_rtn_b32 s0, sendmsg(MSG_RTN_GET_DOORBELL)
	s_mov_b32 ttmp2, m0
	s_waitcnt lgkmcnt(0)
	s_and_b32 s0, s0, 0x3ff
	s_delay_alu instid0(SALU_CYCLE_1) | instskip(NEXT) | instid1(SALU_CYCLE_1)
	s_bitset1_b32 s0, 10
	s_mov_b32 m0, s0
	s_sendmsg sendmsg(MSG_INTERRUPT)
	s_mov_b32 m0, ttmp2
.LBB4_1376:                             ; =>This Inner Loop Header: Depth=1
	s_sethalt 5
	s_branch .LBB4_1376
.LBB4_1377:
	s_trap 2
	s_sendmsg_rtn_b32 s0, sendmsg(MSG_RTN_GET_DOORBELL)
	s_mov_b32 ttmp2, m0
	s_waitcnt lgkmcnt(0)
	s_and_b32 s0, s0, 0x3ff
	s_delay_alu instid0(SALU_CYCLE_1) | instskip(NEXT) | instid1(SALU_CYCLE_1)
	s_bitset1_b32 s0, 10
	s_mov_b32 m0, s0
	s_sendmsg sendmsg(MSG_INTERRUPT)
	s_mov_b32 m0, ttmp2
.LBB4_1378:                             ; =>This Inner Loop Header: Depth=1
	s_sethalt 5
	s_branch .LBB4_1378
.LBB4_1379:
	s_trap 2
	s_sendmsg_rtn_b32 s0, sendmsg(MSG_RTN_GET_DOORBELL)
	s_mov_b32 ttmp2, m0
	s_waitcnt lgkmcnt(0)
	s_and_b32 s0, s0, 0x3ff
	s_delay_alu instid0(SALU_CYCLE_1) | instskip(NEXT) | instid1(SALU_CYCLE_1)
	s_bitset1_b32 s0, 10
	s_mov_b32 m0, s0
	s_sendmsg sendmsg(MSG_INTERRUPT)
	s_mov_b32 m0, ttmp2
.LBB4_1380:                             ; =>This Inner Loop Header: Depth=1
	s_sethalt 5
	s_branch .LBB4_1380
.LBB4_1381:
	s_trap 2
	s_sendmsg_rtn_b32 s0, sendmsg(MSG_RTN_GET_DOORBELL)
	s_mov_b32 ttmp2, m0
	s_waitcnt lgkmcnt(0)
	s_and_b32 s0, s0, 0x3ff
	s_delay_alu instid0(SALU_CYCLE_1) | instskip(NEXT) | instid1(SALU_CYCLE_1)
	s_bitset1_b32 s0, 10
	s_mov_b32 m0, s0
	s_sendmsg sendmsg(MSG_INTERRUPT)
	s_mov_b32 m0, ttmp2
.LBB4_1382:                             ; =>This Inner Loop Header: Depth=1
	s_sethalt 5
	s_branch .LBB4_1382
.LBB4_1383:
	s_trap 2
	s_sendmsg_rtn_b32 s0, sendmsg(MSG_RTN_GET_DOORBELL)
	s_mov_b32 ttmp2, m0
	s_waitcnt lgkmcnt(0)
	s_and_b32 s0, s0, 0x3ff
	s_delay_alu instid0(SALU_CYCLE_1) | instskip(NEXT) | instid1(SALU_CYCLE_1)
	s_bitset1_b32 s0, 10
	s_mov_b32 m0, s0
	s_sendmsg sendmsg(MSG_INTERRUPT)
	s_mov_b32 m0, ttmp2
.LBB4_1384:                             ; =>This Inner Loop Header: Depth=1
	s_sethalt 5
	s_branch .LBB4_1384
.LBB4_1385:
	s_trap 2
	s_sendmsg_rtn_b32 s0, sendmsg(MSG_RTN_GET_DOORBELL)
	s_mov_b32 ttmp2, m0
	s_waitcnt lgkmcnt(0)
	s_and_b32 s0, s0, 0x3ff
	s_delay_alu instid0(SALU_CYCLE_1) | instskip(NEXT) | instid1(SALU_CYCLE_1)
	s_bitset1_b32 s0, 10
	s_mov_b32 m0, s0
	s_sendmsg sendmsg(MSG_INTERRUPT)
	s_mov_b32 m0, ttmp2
.LBB4_1386:                             ; =>This Inner Loop Header: Depth=1
	s_sethalt 5
	s_branch .LBB4_1386
.LBB4_1387:
	s_trap 2
	s_sendmsg_rtn_b32 s0, sendmsg(MSG_RTN_GET_DOORBELL)
	s_mov_b32 ttmp2, m0
	s_waitcnt lgkmcnt(0)
	s_and_b32 s0, s0, 0x3ff
	s_delay_alu instid0(SALU_CYCLE_1) | instskip(NEXT) | instid1(SALU_CYCLE_1)
	s_bitset1_b32 s0, 10
	s_mov_b32 m0, s0
	s_sendmsg sendmsg(MSG_INTERRUPT)
	s_mov_b32 m0, ttmp2
.LBB4_1388:                             ; =>This Inner Loop Header: Depth=1
	s_sethalt 5
	s_branch .LBB4_1388
.LBB4_1389:
	s_trap 2
	s_sendmsg_rtn_b32 s0, sendmsg(MSG_RTN_GET_DOORBELL)
	s_mov_b32 ttmp2, m0
	s_waitcnt lgkmcnt(0)
	s_and_b32 s0, s0, 0x3ff
	s_delay_alu instid0(SALU_CYCLE_1) | instskip(NEXT) | instid1(SALU_CYCLE_1)
	s_bitset1_b32 s0, 10
	s_mov_b32 m0, s0
	s_sendmsg sendmsg(MSG_INTERRUPT)
	s_mov_b32 m0, ttmp2
.LBB4_1390:                             ; =>This Inner Loop Header: Depth=1
	s_sethalt 5
	s_branch .LBB4_1390
.LBB4_1391:
	s_trap 2
	s_sendmsg_rtn_b32 s0, sendmsg(MSG_RTN_GET_DOORBELL)
	s_mov_b32 ttmp2, m0
	s_waitcnt lgkmcnt(0)
	s_and_b32 s0, s0, 0x3ff
	s_delay_alu instid0(SALU_CYCLE_1) | instskip(NEXT) | instid1(SALU_CYCLE_1)
	s_bitset1_b32 s0, 10
	s_mov_b32 m0, s0
	s_sendmsg sendmsg(MSG_INTERRUPT)
	s_mov_b32 m0, ttmp2
.LBB4_1392:                             ; =>This Inner Loop Header: Depth=1
	s_sethalt 5
	s_branch .LBB4_1392
.LBB4_1393:
	s_trap 2
	s_sendmsg_rtn_b32 s0, sendmsg(MSG_RTN_GET_DOORBELL)
	s_mov_b32 ttmp2, m0
	s_waitcnt lgkmcnt(0)
	s_and_b32 s0, s0, 0x3ff
	s_delay_alu instid0(SALU_CYCLE_1) | instskip(NEXT) | instid1(SALU_CYCLE_1)
	s_bitset1_b32 s0, 10
	s_mov_b32 m0, s0
	s_sendmsg sendmsg(MSG_INTERRUPT)
	s_mov_b32 m0, ttmp2
.LBB4_1394:                             ; =>This Inner Loop Header: Depth=1
	s_sethalt 5
	s_branch .LBB4_1394
.LBB4_1395:
	s_trap 2
	s_sendmsg_rtn_b32 s0, sendmsg(MSG_RTN_GET_DOORBELL)
	s_mov_b32 ttmp2, m0
	s_waitcnt lgkmcnt(0)
	s_and_b32 s0, s0, 0x3ff
	s_delay_alu instid0(SALU_CYCLE_1) | instskip(NEXT) | instid1(SALU_CYCLE_1)
	s_bitset1_b32 s0, 10
	s_mov_b32 m0, s0
	s_sendmsg sendmsg(MSG_INTERRUPT)
	s_mov_b32 m0, ttmp2
.LBB4_1396:                             ; =>This Inner Loop Header: Depth=1
	s_sethalt 5
	s_branch .LBB4_1396
.LBB4_1397:
	s_trap 2
	s_sendmsg_rtn_b32 s0, sendmsg(MSG_RTN_GET_DOORBELL)
	s_mov_b32 ttmp2, m0
	s_waitcnt lgkmcnt(0)
	s_and_b32 s0, s0, 0x3ff
	s_delay_alu instid0(SALU_CYCLE_1) | instskip(NEXT) | instid1(SALU_CYCLE_1)
	s_bitset1_b32 s0, 10
	s_mov_b32 m0, s0
	s_sendmsg sendmsg(MSG_INTERRUPT)
	s_mov_b32 m0, ttmp2
.LBB4_1398:                             ; =>This Inner Loop Header: Depth=1
	s_sethalt 5
	s_branch .LBB4_1398
.LBB4_1399:
	s_trap 2
	s_sendmsg_rtn_b32 s0, sendmsg(MSG_RTN_GET_DOORBELL)
	s_mov_b32 ttmp2, m0
	s_waitcnt lgkmcnt(0)
	s_and_b32 s0, s0, 0x3ff
	s_delay_alu instid0(SALU_CYCLE_1) | instskip(NEXT) | instid1(SALU_CYCLE_1)
	s_bitset1_b32 s0, 10
	s_mov_b32 m0, s0
	s_sendmsg sendmsg(MSG_INTERRUPT)
	s_mov_b32 m0, ttmp2
.LBB4_1400:                             ; =>This Inner Loop Header: Depth=1
	s_sethalt 5
	s_branch .LBB4_1400
.LBB4_1401:
	s_trap 2
	s_sendmsg_rtn_b32 s0, sendmsg(MSG_RTN_GET_DOORBELL)
	s_mov_b32 ttmp2, m0
	s_waitcnt lgkmcnt(0)
	s_and_b32 s0, s0, 0x3ff
	s_delay_alu instid0(SALU_CYCLE_1) | instskip(NEXT) | instid1(SALU_CYCLE_1)
	s_bitset1_b32 s0, 10
	s_mov_b32 m0, s0
	s_sendmsg sendmsg(MSG_INTERRUPT)
	s_mov_b32 m0, ttmp2
.LBB4_1402:                             ; =>This Inner Loop Header: Depth=1
	s_sethalt 5
	s_branch .LBB4_1402
.LBB4_1403:
	s_trap 2
	s_sendmsg_rtn_b32 s0, sendmsg(MSG_RTN_GET_DOORBELL)
	s_mov_b32 ttmp2, m0
	s_waitcnt lgkmcnt(0)
	s_and_b32 s0, s0, 0x3ff
	s_delay_alu instid0(SALU_CYCLE_1) | instskip(NEXT) | instid1(SALU_CYCLE_1)
	s_bitset1_b32 s0, 10
	s_mov_b32 m0, s0
	s_sendmsg sendmsg(MSG_INTERRUPT)
	s_mov_b32 m0, ttmp2
.LBB4_1404:                             ; =>This Inner Loop Header: Depth=1
	s_sethalt 5
	s_branch .LBB4_1404
.LBB4_1405:
	s_trap 2
	s_sendmsg_rtn_b32 s0, sendmsg(MSG_RTN_GET_DOORBELL)
	s_mov_b32 ttmp2, m0
	s_waitcnt lgkmcnt(0)
	s_and_b32 s0, s0, 0x3ff
	s_delay_alu instid0(SALU_CYCLE_1) | instskip(NEXT) | instid1(SALU_CYCLE_1)
	s_bitset1_b32 s0, 10
	s_mov_b32 m0, s0
	s_sendmsg sendmsg(MSG_INTERRUPT)
	s_mov_b32 m0, ttmp2
.LBB4_1406:                             ; =>This Inner Loop Header: Depth=1
	s_sethalt 5
	s_branch .LBB4_1406
.LBB4_1407:
	s_trap 2
	s_sendmsg_rtn_b32 s0, sendmsg(MSG_RTN_GET_DOORBELL)
	s_mov_b32 ttmp2, m0
	s_waitcnt lgkmcnt(0)
	s_and_b32 s0, s0, 0x3ff
	s_delay_alu instid0(SALU_CYCLE_1) | instskip(NEXT) | instid1(SALU_CYCLE_1)
	s_bitset1_b32 s0, 10
	s_mov_b32 m0, s0
	s_sendmsg sendmsg(MSG_INTERRUPT)
	s_mov_b32 m0, ttmp2
.LBB4_1408:                             ; =>This Inner Loop Header: Depth=1
	s_sethalt 5
	s_branch .LBB4_1408
.LBB4_1409:
	s_trap 2
	s_sendmsg_rtn_b32 s0, sendmsg(MSG_RTN_GET_DOORBELL)
	s_mov_b32 ttmp2, m0
	s_waitcnt lgkmcnt(0)
	s_and_b32 s0, s0, 0x3ff
	s_delay_alu instid0(SALU_CYCLE_1) | instskip(NEXT) | instid1(SALU_CYCLE_1)
	s_bitset1_b32 s0, 10
	s_mov_b32 m0, s0
	s_sendmsg sendmsg(MSG_INTERRUPT)
	s_mov_b32 m0, ttmp2
.LBB4_1410:                             ; =>This Inner Loop Header: Depth=1
	s_sethalt 5
	s_branch .LBB4_1410
.LBB4_1411:
	s_trap 2
	s_sendmsg_rtn_b32 s0, sendmsg(MSG_RTN_GET_DOORBELL)
	s_mov_b32 ttmp2, m0
	s_waitcnt lgkmcnt(0)
	s_and_b32 s0, s0, 0x3ff
	s_delay_alu instid0(SALU_CYCLE_1) | instskip(NEXT) | instid1(SALU_CYCLE_1)
	s_bitset1_b32 s0, 10
	s_mov_b32 m0, s0
	s_sendmsg sendmsg(MSG_INTERRUPT)
	s_mov_b32 m0, ttmp2
.LBB4_1412:                             ; =>This Inner Loop Header: Depth=1
	s_sethalt 5
	s_branch .LBB4_1412
.LBB4_1413:
	s_trap 2
	s_sendmsg_rtn_b32 s0, sendmsg(MSG_RTN_GET_DOORBELL)
	s_mov_b32 ttmp2, m0
	s_waitcnt lgkmcnt(0)
	s_and_b32 s0, s0, 0x3ff
	s_delay_alu instid0(SALU_CYCLE_1) | instskip(NEXT) | instid1(SALU_CYCLE_1)
	s_bitset1_b32 s0, 10
	s_mov_b32 m0, s0
	s_sendmsg sendmsg(MSG_INTERRUPT)
	s_mov_b32 m0, ttmp2
.LBB4_1414:                             ; =>This Inner Loop Header: Depth=1
	s_sethalt 5
	s_branch .LBB4_1414
.LBB4_1415:
	s_trap 2
	s_sendmsg_rtn_b32 s0, sendmsg(MSG_RTN_GET_DOORBELL)
	s_mov_b32 ttmp2, m0
	s_waitcnt lgkmcnt(0)
	s_and_b32 s0, s0, 0x3ff
	s_delay_alu instid0(SALU_CYCLE_1) | instskip(NEXT) | instid1(SALU_CYCLE_1)
	s_bitset1_b32 s0, 10
	s_mov_b32 m0, s0
	s_sendmsg sendmsg(MSG_INTERRUPT)
	s_mov_b32 m0, ttmp2
.LBB4_1416:                             ; =>This Inner Loop Header: Depth=1
	s_sethalt 5
	s_branch .LBB4_1416
.LBB4_1417:
	s_trap 2
	s_sendmsg_rtn_b32 s0, sendmsg(MSG_RTN_GET_DOORBELL)
	s_mov_b32 ttmp2, m0
	s_waitcnt lgkmcnt(0)
	s_and_b32 s0, s0, 0x3ff
	s_delay_alu instid0(SALU_CYCLE_1) | instskip(NEXT) | instid1(SALU_CYCLE_1)
	s_bitset1_b32 s0, 10
	s_mov_b32 m0, s0
	s_sendmsg sendmsg(MSG_INTERRUPT)
	s_mov_b32 m0, ttmp2
.LBB4_1418:                             ; =>This Inner Loop Header: Depth=1
	s_sethalt 5
	s_branch .LBB4_1418
.LBB4_1419:
	s_trap 2
	s_sendmsg_rtn_b32 s0, sendmsg(MSG_RTN_GET_DOORBELL)
	s_mov_b32 ttmp2, m0
	s_waitcnt lgkmcnt(0)
	s_and_b32 s0, s0, 0x3ff
	s_delay_alu instid0(SALU_CYCLE_1) | instskip(NEXT) | instid1(SALU_CYCLE_1)
	s_bitset1_b32 s0, 10
	s_mov_b32 m0, s0
	s_sendmsg sendmsg(MSG_INTERRUPT)
	s_mov_b32 m0, ttmp2
.LBB4_1420:                             ; =>This Inner Loop Header: Depth=1
	s_sethalt 5
	s_branch .LBB4_1420
.LBB4_1421:
	s_trap 2
	s_sendmsg_rtn_b32 s0, sendmsg(MSG_RTN_GET_DOORBELL)
	s_mov_b32 ttmp2, m0
	s_waitcnt lgkmcnt(0)
	s_and_b32 s0, s0, 0x3ff
	s_delay_alu instid0(SALU_CYCLE_1) | instskip(NEXT) | instid1(SALU_CYCLE_1)
	s_bitset1_b32 s0, 10
	s_mov_b32 m0, s0
	s_sendmsg sendmsg(MSG_INTERRUPT)
	s_mov_b32 m0, ttmp2
.LBB4_1422:                             ; =>This Inner Loop Header: Depth=1
	s_sethalt 5
	s_branch .LBB4_1422
.LBB4_1423:
	s_trap 2
	s_sendmsg_rtn_b32 s0, sendmsg(MSG_RTN_GET_DOORBELL)
	s_mov_b32 ttmp2, m0
	s_waitcnt lgkmcnt(0)
	s_and_b32 s0, s0, 0x3ff
	s_delay_alu instid0(SALU_CYCLE_1) | instskip(NEXT) | instid1(SALU_CYCLE_1)
	s_bitset1_b32 s0, 10
	s_mov_b32 m0, s0
	s_sendmsg sendmsg(MSG_INTERRUPT)
	s_mov_b32 m0, ttmp2
.LBB4_1424:                             ; =>This Inner Loop Header: Depth=1
	s_sethalt 5
	s_branch .LBB4_1424
.LBB4_1425:
	s_trap 2
	s_sendmsg_rtn_b32 s0, sendmsg(MSG_RTN_GET_DOORBELL)
	s_mov_b32 ttmp2, m0
	s_waitcnt lgkmcnt(0)
	s_and_b32 s0, s0, 0x3ff
	s_delay_alu instid0(SALU_CYCLE_1) | instskip(NEXT) | instid1(SALU_CYCLE_1)
	s_bitset1_b32 s0, 10
	s_mov_b32 m0, s0
	s_sendmsg sendmsg(MSG_INTERRUPT)
	s_mov_b32 m0, ttmp2
.LBB4_1426:                             ; =>This Inner Loop Header: Depth=1
	s_sethalt 5
	s_branch .LBB4_1426
.LBB4_1427:
	s_trap 2
	s_sendmsg_rtn_b32 s0, sendmsg(MSG_RTN_GET_DOORBELL)
	s_mov_b32 ttmp2, m0
	s_waitcnt lgkmcnt(0)
	s_and_b32 s0, s0, 0x3ff
	s_delay_alu instid0(SALU_CYCLE_1) | instskip(NEXT) | instid1(SALU_CYCLE_1)
	s_bitset1_b32 s0, 10
	s_mov_b32 m0, s0
	s_sendmsg sendmsg(MSG_INTERRUPT)
	s_mov_b32 m0, ttmp2
.LBB4_1428:                             ; =>This Inner Loop Header: Depth=1
	s_sethalt 5
	s_branch .LBB4_1428
.LBB4_1429:
	s_trap 2
	s_sendmsg_rtn_b32 s0, sendmsg(MSG_RTN_GET_DOORBELL)
	s_mov_b32 ttmp2, m0
	s_waitcnt lgkmcnt(0)
	s_and_b32 s0, s0, 0x3ff
	s_delay_alu instid0(SALU_CYCLE_1) | instskip(NEXT) | instid1(SALU_CYCLE_1)
	s_bitset1_b32 s0, 10
	s_mov_b32 m0, s0
	s_sendmsg sendmsg(MSG_INTERRUPT)
	s_mov_b32 m0, ttmp2
.LBB4_1430:                             ; =>This Inner Loop Header: Depth=1
	s_sethalt 5
	s_branch .LBB4_1430
.LBB4_1431:
	s_trap 2
	s_sendmsg_rtn_b32 s0, sendmsg(MSG_RTN_GET_DOORBELL)
	s_mov_b32 ttmp2, m0
	s_waitcnt lgkmcnt(0)
	s_and_b32 s0, s0, 0x3ff
	s_delay_alu instid0(SALU_CYCLE_1) | instskip(NEXT) | instid1(SALU_CYCLE_1)
	s_bitset1_b32 s0, 10
	s_mov_b32 m0, s0
	s_sendmsg sendmsg(MSG_INTERRUPT)
	s_mov_b32 m0, ttmp2
.LBB4_1432:                             ; =>This Inner Loop Header: Depth=1
	s_sethalt 5
	s_branch .LBB4_1432
.LBB4_1433:
	s_trap 2
	s_sendmsg_rtn_b32 s0, sendmsg(MSG_RTN_GET_DOORBELL)
	s_mov_b32 ttmp2, m0
	s_waitcnt lgkmcnt(0)
	s_and_b32 s0, s0, 0x3ff
	s_delay_alu instid0(SALU_CYCLE_1) | instskip(NEXT) | instid1(SALU_CYCLE_1)
	s_bitset1_b32 s0, 10
	s_mov_b32 m0, s0
	s_sendmsg sendmsg(MSG_INTERRUPT)
	s_mov_b32 m0, ttmp2
.LBB4_1434:                             ; =>This Inner Loop Header: Depth=1
	s_sethalt 5
	s_branch .LBB4_1434
.LBB4_1435:
	s_trap 2
	s_sendmsg_rtn_b32 s0, sendmsg(MSG_RTN_GET_DOORBELL)
	s_mov_b32 ttmp2, m0
	s_waitcnt lgkmcnt(0)
	s_and_b32 s0, s0, 0x3ff
	s_delay_alu instid0(SALU_CYCLE_1) | instskip(NEXT) | instid1(SALU_CYCLE_1)
	s_bitset1_b32 s0, 10
	s_mov_b32 m0, s0
	s_sendmsg sendmsg(MSG_INTERRUPT)
	s_mov_b32 m0, ttmp2
.LBB4_1436:                             ; =>This Inner Loop Header: Depth=1
	s_sethalt 5
	s_branch .LBB4_1436
.LBB4_1437:
	s_trap 2
	s_sendmsg_rtn_b32 s0, sendmsg(MSG_RTN_GET_DOORBELL)
	s_mov_b32 ttmp2, m0
	s_waitcnt lgkmcnt(0)
	s_and_b32 s0, s0, 0x3ff
	s_delay_alu instid0(SALU_CYCLE_1) | instskip(NEXT) | instid1(SALU_CYCLE_1)
	s_bitset1_b32 s0, 10
	s_mov_b32 m0, s0
	s_sendmsg sendmsg(MSG_INTERRUPT)
	s_mov_b32 m0, ttmp2
.LBB4_1438:                             ; =>This Inner Loop Header: Depth=1
	s_sethalt 5
	s_branch .LBB4_1438
.LBB4_1439:
	s_trap 2
	s_sendmsg_rtn_b32 s0, sendmsg(MSG_RTN_GET_DOORBELL)
	s_mov_b32 ttmp2, m0
	s_waitcnt lgkmcnt(0)
	s_and_b32 s0, s0, 0x3ff
	s_delay_alu instid0(SALU_CYCLE_1) | instskip(NEXT) | instid1(SALU_CYCLE_1)
	s_bitset1_b32 s0, 10
	s_mov_b32 m0, s0
	s_sendmsg sendmsg(MSG_INTERRUPT)
	s_mov_b32 m0, ttmp2
.LBB4_1440:                             ; =>This Inner Loop Header: Depth=1
	s_sethalt 5
	s_branch .LBB4_1440
.LBB4_1441:
	s_trap 2
	s_sendmsg_rtn_b32 s0, sendmsg(MSG_RTN_GET_DOORBELL)
	s_mov_b32 ttmp2, m0
	s_waitcnt lgkmcnt(0)
	s_and_b32 s0, s0, 0x3ff
	s_delay_alu instid0(SALU_CYCLE_1) | instskip(NEXT) | instid1(SALU_CYCLE_1)
	s_bitset1_b32 s0, 10
	s_mov_b32 m0, s0
	s_sendmsg sendmsg(MSG_INTERRUPT)
	s_mov_b32 m0, ttmp2
.LBB4_1442:                             ; =>This Inner Loop Header: Depth=1
	s_sethalt 5
	s_branch .LBB4_1442
.LBB4_1443:
	s_trap 2
	s_sendmsg_rtn_b32 s0, sendmsg(MSG_RTN_GET_DOORBELL)
	s_mov_b32 ttmp2, m0
	s_waitcnt lgkmcnt(0)
	s_and_b32 s0, s0, 0x3ff
	s_delay_alu instid0(SALU_CYCLE_1) | instskip(NEXT) | instid1(SALU_CYCLE_1)
	s_bitset1_b32 s0, 10
	s_mov_b32 m0, s0
	s_sendmsg sendmsg(MSG_INTERRUPT)
	s_mov_b32 m0, ttmp2
.LBB4_1444:                             ; =>This Inner Loop Header: Depth=1
	s_sethalt 5
	s_branch .LBB4_1444
.LBB4_1445:
	s_trap 2
	s_sendmsg_rtn_b32 s0, sendmsg(MSG_RTN_GET_DOORBELL)
	s_mov_b32 ttmp2, m0
	s_waitcnt lgkmcnt(0)
	s_and_b32 s0, s0, 0x3ff
	s_delay_alu instid0(SALU_CYCLE_1) | instskip(NEXT) | instid1(SALU_CYCLE_1)
	s_bitset1_b32 s0, 10
	s_mov_b32 m0, s0
	s_sendmsg sendmsg(MSG_INTERRUPT)
	s_mov_b32 m0, ttmp2
.LBB4_1446:                             ; =>This Inner Loop Header: Depth=1
	s_sethalt 5
	s_branch .LBB4_1446
.LBB4_1447:
	s_trap 2
	s_sendmsg_rtn_b32 s0, sendmsg(MSG_RTN_GET_DOORBELL)
	s_mov_b32 ttmp2, m0
	s_waitcnt lgkmcnt(0)
	s_and_b32 s0, s0, 0x3ff
	s_delay_alu instid0(SALU_CYCLE_1) | instskip(NEXT) | instid1(SALU_CYCLE_1)
	s_bitset1_b32 s0, 10
	s_mov_b32 m0, s0
	s_sendmsg sendmsg(MSG_INTERRUPT)
	s_mov_b32 m0, ttmp2
.LBB4_1448:                             ; =>This Inner Loop Header: Depth=1
	s_sethalt 5
	s_branch .LBB4_1448
.LBB4_1449:
	s_trap 2
	s_sendmsg_rtn_b32 s0, sendmsg(MSG_RTN_GET_DOORBELL)
	s_mov_b32 ttmp2, m0
	s_waitcnt lgkmcnt(0)
	s_and_b32 s0, s0, 0x3ff
	s_delay_alu instid0(SALU_CYCLE_1) | instskip(NEXT) | instid1(SALU_CYCLE_1)
	s_bitset1_b32 s0, 10
	s_mov_b32 m0, s0
	s_sendmsg sendmsg(MSG_INTERRUPT)
	s_mov_b32 m0, ttmp2
.LBB4_1450:                             ; =>This Inner Loop Header: Depth=1
	s_sethalt 5
	s_branch .LBB4_1450
.LBB4_1451:
	s_trap 2
	s_sendmsg_rtn_b32 s0, sendmsg(MSG_RTN_GET_DOORBELL)
	s_mov_b32 ttmp2, m0
	s_waitcnt lgkmcnt(0)
	s_and_b32 s0, s0, 0x3ff
	s_delay_alu instid0(SALU_CYCLE_1) | instskip(NEXT) | instid1(SALU_CYCLE_1)
	s_bitset1_b32 s0, 10
	s_mov_b32 m0, s0
	s_sendmsg sendmsg(MSG_INTERRUPT)
	s_mov_b32 m0, ttmp2
.LBB4_1452:                             ; =>This Inner Loop Header: Depth=1
	s_sethalt 5
	s_branch .LBB4_1452
.LBB4_1453:
	s_trap 2
	s_sendmsg_rtn_b32 s0, sendmsg(MSG_RTN_GET_DOORBELL)
	s_mov_b32 ttmp2, m0
	s_waitcnt lgkmcnt(0)
	s_and_b32 s0, s0, 0x3ff
	s_delay_alu instid0(SALU_CYCLE_1) | instskip(NEXT) | instid1(SALU_CYCLE_1)
	s_bitset1_b32 s0, 10
	s_mov_b32 m0, s0
	s_sendmsg sendmsg(MSG_INTERRUPT)
	s_mov_b32 m0, ttmp2
.LBB4_1454:                             ; =>This Inner Loop Header: Depth=1
	s_sethalt 5
	s_branch .LBB4_1454
.LBB4_1455:
	s_or_b32 exec_lo, exec_lo, s4
	s_and_saveexec_b32 s4, s5
	s_delay_alu instid0(SALU_CYCLE_1)
	s_xor_b32 s4, exec_lo, s4
	s_cbranch_execz .LBB4_1457
; %bb.1456:
	v_mov_b32_e32 v0, 1
	ds_store_b32 v0, v0
	s_cbranch_execnz .LBB4_1540
.LBB4_1457:
	s_or_b32 exec_lo, exec_lo, s3
	;;#ASMSTART
	s_wakeup
	;;#ASMEND
.LBB4_1458:
	s_or_b32 exec_lo, exec_lo, s2
.LBB4_1459:
	s_and_not1_saveexec_b32 s1, s1
	s_cbranch_execz .LBB4_1461
; %bb.1460:
	s_waitcnt lgkmcnt(0)
	s_waitcnt_vscnt null, 0x0
	buffer_gl1_inv
	buffer_gl0_inv
	s_barrier
.LBB4_1461:
	s_or_b32 exec_lo, exec_lo, s0
.LBB4_1462:
	s_and_not1_saveexec_b32 s22, s19
	s_cbranch_execz .LBB4_1464
; %bb.1463:
	s_getpc_b64 s[0:1]
	s_add_u32 s0, s0, __PRETTY_FUNCTION__._ZN10PrimitivesIa7FuncSumIaE12FanSymmetricILi1EELi0E11ProtoSimpleILi2ELi2ELi0ELi1ELi0ELi0EELi0ELb0ELi0ELi0ELi0EEC2EiiPKiS8_PKvPvmhhhP15ncclDevWorkCollP14ncclDevWorkP2pii@rel32@lo+4
	s_addc_u32 s1, s1, __PRETTY_FUNCTION__._ZN10PrimitivesIa7FuncSumIaE12FanSymmetricILi1EELi0E11ProtoSimpleILi2ELi2ELi0ELi1ELi0ELi0EELi0ELb0ELi0ELi0ELi0EEC2EiiPKiS8_PKvPvmhhhP15ncclDevWorkCollP14ncclDevWorkP2pii@rel32@hi+12
	s_delay_alu instid0(SALU_CYCLE_1) | instskip(SKIP_3) | instid1(SALU_CYCLE_1)
	v_dual_mov_b32 v0, s0 :: v_dual_mov_b32 v1, s1
	s_getpc_b64 s[2:3]
	s_add_u32 s2, s2, __assert_fail@rel32@lo+4
	s_addc_u32 s3, s3, __assert_fail@rel32@hi+12
	s_swappc_b64 s[30:31], s[2:3]
	; divergent unreachable
.LBB4_1464:
	s_or_b32 exec_lo, exec_lo, s22
.LBB4_1465:
	s_delay_alu instid0(SALU_CYCLE_1)
	s_or_b32 exec_lo, exec_lo, s21
	scratch_load_b32 v40, off, s33          ; 4-byte Folded Reload
	v_readlane_b32 s30, v41, 5
	v_readlane_b32 s31, v41, 6
	;; [unrolled: 1-line block ×8, first 2 shown]
	s_or_saveexec_b32 s1, -1
	s_clause 0x1
	scratch_load_b32 v41, off, s33 offset:4
	scratch_load_b32 v42, off, s33 offset:8
	s_mov_b32 exec_lo, s1
	s_add_i32 s32, s32, -16
	s_mov_b32 s33, s0
	s_waitcnt vmcnt(0) lgkmcnt(0)
	s_setpc_b64 s[30:31]
.LBB4_1466:
	s_trap 2
	s_sendmsg_rtn_b32 s0, sendmsg(MSG_RTN_GET_DOORBELL)
	s_mov_b32 ttmp2, m0
	s_waitcnt lgkmcnt(0)
	s_and_b32 s0, s0, 0x3ff
	s_delay_alu instid0(SALU_CYCLE_1) | instskip(NEXT) | instid1(SALU_CYCLE_1)
	s_bitset1_b32 s0, 10
	s_mov_b32 m0, s0
	s_sendmsg sendmsg(MSG_INTERRUPT)
	s_mov_b32 m0, ttmp2
.LBB4_1467:                             ; =>This Inner Loop Header: Depth=1
	s_sethalt 5
	s_branch .LBB4_1467
.LBB4_1468:
	s_trap 2
	s_sendmsg_rtn_b32 s0, sendmsg(MSG_RTN_GET_DOORBELL)
	s_mov_b32 ttmp2, m0
	s_waitcnt lgkmcnt(0)
	s_and_b32 s0, s0, 0x3ff
	s_delay_alu instid0(SALU_CYCLE_1) | instskip(NEXT) | instid1(SALU_CYCLE_1)
	s_bitset1_b32 s0, 10
	s_mov_b32 m0, s0
	s_sendmsg sendmsg(MSG_INTERRUPT)
	s_mov_b32 m0, ttmp2
.LBB4_1469:                             ; =>This Inner Loop Header: Depth=1
	s_sethalt 5
	s_branch .LBB4_1469
.LBB4_1470:
	s_trap 2
	s_sendmsg_rtn_b32 s0, sendmsg(MSG_RTN_GET_DOORBELL)
	s_mov_b32 ttmp2, m0
	s_waitcnt lgkmcnt(0)
	s_and_b32 s0, s0, 0x3ff
	s_delay_alu instid0(SALU_CYCLE_1) | instskip(NEXT) | instid1(SALU_CYCLE_1)
	s_bitset1_b32 s0, 10
	s_mov_b32 m0, s0
	s_sendmsg sendmsg(MSG_INTERRUPT)
	s_mov_b32 m0, ttmp2
.LBB4_1471:                             ; =>This Inner Loop Header: Depth=1
	s_sethalt 5
	s_branch .LBB4_1471
.LBB4_1472:
	s_trap 2
	s_sendmsg_rtn_b32 s0, sendmsg(MSG_RTN_GET_DOORBELL)
	s_mov_b32 ttmp2, m0
	s_waitcnt lgkmcnt(0)
	s_and_b32 s0, s0, 0x3ff
	s_delay_alu instid0(SALU_CYCLE_1) | instskip(NEXT) | instid1(SALU_CYCLE_1)
	s_bitset1_b32 s0, 10
	s_mov_b32 m0, s0
	s_sendmsg sendmsg(MSG_INTERRUPT)
	s_mov_b32 m0, ttmp2
.LBB4_1473:                             ; =>This Inner Loop Header: Depth=1
	s_sethalt 5
	s_branch .LBB4_1473
.LBB4_1474:
	s_trap 2
	s_sendmsg_rtn_b32 s0, sendmsg(MSG_RTN_GET_DOORBELL)
	s_mov_b32 ttmp2, m0
	s_waitcnt lgkmcnt(0)
	s_and_b32 s0, s0, 0x3ff
	s_delay_alu instid0(SALU_CYCLE_1) | instskip(NEXT) | instid1(SALU_CYCLE_1)
	s_bitset1_b32 s0, 10
	s_mov_b32 m0, s0
	s_sendmsg sendmsg(MSG_INTERRUPT)
	s_mov_b32 m0, ttmp2
.LBB4_1475:                             ; =>This Inner Loop Header: Depth=1
	s_sethalt 5
	s_branch .LBB4_1475
.LBB4_1476:
	s_trap 2
	s_sendmsg_rtn_b32 s0, sendmsg(MSG_RTN_GET_DOORBELL)
	s_mov_b32 ttmp2, m0
	s_waitcnt lgkmcnt(0)
	s_and_b32 s0, s0, 0x3ff
	s_delay_alu instid0(SALU_CYCLE_1) | instskip(NEXT) | instid1(SALU_CYCLE_1)
	s_bitset1_b32 s0, 10
	s_mov_b32 m0, s0
	s_sendmsg sendmsg(MSG_INTERRUPT)
	s_mov_b32 m0, ttmp2
.LBB4_1477:                             ; =>This Inner Loop Header: Depth=1
	s_sethalt 5
	s_branch .LBB4_1477
.LBB4_1478:
	s_trap 2
	s_sendmsg_rtn_b32 s0, sendmsg(MSG_RTN_GET_DOORBELL)
	s_mov_b32 ttmp2, m0
	s_waitcnt lgkmcnt(0)
	s_and_b32 s0, s0, 0x3ff
	s_delay_alu instid0(SALU_CYCLE_1) | instskip(NEXT) | instid1(SALU_CYCLE_1)
	s_bitset1_b32 s0, 10
	s_mov_b32 m0, s0
	s_sendmsg sendmsg(MSG_INTERRUPT)
	s_mov_b32 m0, ttmp2
.LBB4_1479:                             ; =>This Inner Loop Header: Depth=1
	s_sethalt 5
	s_branch .LBB4_1479
.LBB4_1480:
	s_trap 2
	s_sendmsg_rtn_b32 s0, sendmsg(MSG_RTN_GET_DOORBELL)
	s_mov_b32 ttmp2, m0
	s_waitcnt lgkmcnt(0)
	s_and_b32 s0, s0, 0x3ff
	s_delay_alu instid0(SALU_CYCLE_1) | instskip(NEXT) | instid1(SALU_CYCLE_1)
	s_bitset1_b32 s0, 10
	s_mov_b32 m0, s0
	s_sendmsg sendmsg(MSG_INTERRUPT)
	s_mov_b32 m0, ttmp2
.LBB4_1481:                             ; =>This Inner Loop Header: Depth=1
	s_sethalt 5
	s_branch .LBB4_1481
.LBB4_1482:
	s_trap 2
	s_sendmsg_rtn_b32 s0, sendmsg(MSG_RTN_GET_DOORBELL)
	s_mov_b32 ttmp2, m0
	s_waitcnt lgkmcnt(0)
	s_and_b32 s0, s0, 0x3ff
	s_delay_alu instid0(SALU_CYCLE_1) | instskip(NEXT) | instid1(SALU_CYCLE_1)
	s_bitset1_b32 s0, 10
	s_mov_b32 m0, s0
	s_sendmsg sendmsg(MSG_INTERRUPT)
	s_mov_b32 m0, ttmp2
.LBB4_1483:                             ; =>This Inner Loop Header: Depth=1
	s_sethalt 5
	s_branch .LBB4_1483
.LBB4_1484:
	s_trap 2
	s_sendmsg_rtn_b32 s0, sendmsg(MSG_RTN_GET_DOORBELL)
	s_mov_b32 ttmp2, m0
	s_waitcnt lgkmcnt(0)
	s_and_b32 s0, s0, 0x3ff
	s_delay_alu instid0(SALU_CYCLE_1) | instskip(NEXT) | instid1(SALU_CYCLE_1)
	s_bitset1_b32 s0, 10
	s_mov_b32 m0, s0
	s_sendmsg sendmsg(MSG_INTERRUPT)
	s_mov_b32 m0, ttmp2
.LBB4_1485:                             ; =>This Inner Loop Header: Depth=1
	s_sethalt 5
	s_branch .LBB4_1485
.LBB4_1486:
	s_trap 2
	s_sendmsg_rtn_b32 s0, sendmsg(MSG_RTN_GET_DOORBELL)
	s_mov_b32 ttmp2, m0
	s_waitcnt lgkmcnt(0)
	s_and_b32 s0, s0, 0x3ff
	s_delay_alu instid0(SALU_CYCLE_1) | instskip(NEXT) | instid1(SALU_CYCLE_1)
	s_bitset1_b32 s0, 10
	s_mov_b32 m0, s0
	s_sendmsg sendmsg(MSG_INTERRUPT)
	s_mov_b32 m0, ttmp2
.LBB4_1487:                             ; =>This Inner Loop Header: Depth=1
	s_sethalt 5
	s_branch .LBB4_1487
.LBB4_1488:
	s_trap 2
	s_sendmsg_rtn_b32 s0, sendmsg(MSG_RTN_GET_DOORBELL)
	s_mov_b32 ttmp2, m0
	s_waitcnt lgkmcnt(0)
	s_and_b32 s0, s0, 0x3ff
	s_delay_alu instid0(SALU_CYCLE_1) | instskip(NEXT) | instid1(SALU_CYCLE_1)
	s_bitset1_b32 s0, 10
	s_mov_b32 m0, s0
	s_sendmsg sendmsg(MSG_INTERRUPT)
	s_mov_b32 m0, ttmp2
.LBB4_1489:                             ; =>This Inner Loop Header: Depth=1
	s_sethalt 5
	s_branch .LBB4_1489
.LBB4_1490:
	s_trap 2
	s_sendmsg_rtn_b32 s0, sendmsg(MSG_RTN_GET_DOORBELL)
	s_mov_b32 ttmp2, m0
	s_waitcnt lgkmcnt(0)
	s_and_b32 s0, s0, 0x3ff
	s_delay_alu instid0(SALU_CYCLE_1) | instskip(NEXT) | instid1(SALU_CYCLE_1)
	s_bitset1_b32 s0, 10
	s_mov_b32 m0, s0
	s_sendmsg sendmsg(MSG_INTERRUPT)
	s_mov_b32 m0, ttmp2
.LBB4_1491:                             ; =>This Inner Loop Header: Depth=1
	s_sethalt 5
	s_branch .LBB4_1491
.LBB4_1492:
	s_trap 2
	s_sendmsg_rtn_b32 s0, sendmsg(MSG_RTN_GET_DOORBELL)
	s_mov_b32 ttmp2, m0
	s_waitcnt lgkmcnt(0)
	s_and_b32 s0, s0, 0x3ff
	s_delay_alu instid0(SALU_CYCLE_1) | instskip(NEXT) | instid1(SALU_CYCLE_1)
	s_bitset1_b32 s0, 10
	s_mov_b32 m0, s0
	s_sendmsg sendmsg(MSG_INTERRUPT)
	s_mov_b32 m0, ttmp2
.LBB4_1493:                             ; =>This Inner Loop Header: Depth=1
	s_sethalt 5
	s_branch .LBB4_1493
.LBB4_1494:
	s_trap 2
	s_sendmsg_rtn_b32 s0, sendmsg(MSG_RTN_GET_DOORBELL)
	s_mov_b32 ttmp2, m0
	s_waitcnt lgkmcnt(0)
	s_and_b32 s0, s0, 0x3ff
	s_delay_alu instid0(SALU_CYCLE_1) | instskip(NEXT) | instid1(SALU_CYCLE_1)
	s_bitset1_b32 s0, 10
	s_mov_b32 m0, s0
	s_sendmsg sendmsg(MSG_INTERRUPT)
	s_mov_b32 m0, ttmp2
.LBB4_1495:                             ; =>This Inner Loop Header: Depth=1
	s_sethalt 5
	s_branch .LBB4_1495
.LBB4_1496:
	s_trap 2
	s_sendmsg_rtn_b32 s0, sendmsg(MSG_RTN_GET_DOORBELL)
	s_mov_b32 ttmp2, m0
	s_waitcnt lgkmcnt(0)
	s_and_b32 s0, s0, 0x3ff
	s_delay_alu instid0(SALU_CYCLE_1) | instskip(NEXT) | instid1(SALU_CYCLE_1)
	s_bitset1_b32 s0, 10
	s_mov_b32 m0, s0
	s_sendmsg sendmsg(MSG_INTERRUPT)
	s_mov_b32 m0, ttmp2
.LBB4_1497:                             ; =>This Inner Loop Header: Depth=1
	s_sethalt 5
	s_branch .LBB4_1497
.LBB4_1498:
	s_trap 2
	s_sendmsg_rtn_b32 s0, sendmsg(MSG_RTN_GET_DOORBELL)
	s_mov_b32 ttmp2, m0
	s_waitcnt lgkmcnt(0)
	s_and_b32 s0, s0, 0x3ff
	s_delay_alu instid0(SALU_CYCLE_1) | instskip(NEXT) | instid1(SALU_CYCLE_1)
	s_bitset1_b32 s0, 10
	s_mov_b32 m0, s0
	s_sendmsg sendmsg(MSG_INTERRUPT)
	s_mov_b32 m0, ttmp2
.LBB4_1499:                             ; =>This Inner Loop Header: Depth=1
	s_sethalt 5
	s_branch .LBB4_1499
.LBB4_1500:
	s_trap 2
	s_sendmsg_rtn_b32 s0, sendmsg(MSG_RTN_GET_DOORBELL)
	s_mov_b32 ttmp2, m0
	s_waitcnt lgkmcnt(0)
	s_and_b32 s0, s0, 0x3ff
	s_delay_alu instid0(SALU_CYCLE_1) | instskip(NEXT) | instid1(SALU_CYCLE_1)
	s_bitset1_b32 s0, 10
	s_mov_b32 m0, s0
	s_sendmsg sendmsg(MSG_INTERRUPT)
	s_mov_b32 m0, ttmp2
.LBB4_1501:                             ; =>This Inner Loop Header: Depth=1
	s_sethalt 5
	s_branch .LBB4_1501
.LBB4_1502:
	s_trap 2
	s_sendmsg_rtn_b32 s0, sendmsg(MSG_RTN_GET_DOORBELL)
	s_mov_b32 ttmp2, m0
	s_waitcnt lgkmcnt(0)
	s_and_b32 s0, s0, 0x3ff
	s_delay_alu instid0(SALU_CYCLE_1) | instskip(NEXT) | instid1(SALU_CYCLE_1)
	s_bitset1_b32 s0, 10
	s_mov_b32 m0, s0
	s_sendmsg sendmsg(MSG_INTERRUPT)
	s_mov_b32 m0, ttmp2
.LBB4_1503:                             ; =>This Inner Loop Header: Depth=1
	s_sethalt 5
	s_branch .LBB4_1503
.LBB4_1504:
	s_trap 2
	s_sendmsg_rtn_b32 s0, sendmsg(MSG_RTN_GET_DOORBELL)
	s_mov_b32 ttmp2, m0
	s_waitcnt lgkmcnt(0)
	s_and_b32 s0, s0, 0x3ff
	s_delay_alu instid0(SALU_CYCLE_1) | instskip(NEXT) | instid1(SALU_CYCLE_1)
	s_bitset1_b32 s0, 10
	s_mov_b32 m0, s0
	s_sendmsg sendmsg(MSG_INTERRUPT)
	s_mov_b32 m0, ttmp2
.LBB4_1505:                             ; =>This Inner Loop Header: Depth=1
	s_sethalt 5
	s_branch .LBB4_1505
.LBB4_1506:
	s_trap 2
	s_sendmsg_rtn_b32 s0, sendmsg(MSG_RTN_GET_DOORBELL)
	s_mov_b32 ttmp2, m0
	s_waitcnt lgkmcnt(0)
	s_and_b32 s0, s0, 0x3ff
	s_delay_alu instid0(SALU_CYCLE_1) | instskip(NEXT) | instid1(SALU_CYCLE_1)
	s_bitset1_b32 s0, 10
	s_mov_b32 m0, s0
	s_sendmsg sendmsg(MSG_INTERRUPT)
	s_mov_b32 m0, ttmp2
.LBB4_1507:                             ; =>This Inner Loop Header: Depth=1
	s_sethalt 5
	s_branch .LBB4_1507
.LBB4_1508:
	s_trap 2
	s_sendmsg_rtn_b32 s0, sendmsg(MSG_RTN_GET_DOORBELL)
	s_mov_b32 ttmp2, m0
	s_waitcnt lgkmcnt(0)
	s_and_b32 s0, s0, 0x3ff
	s_delay_alu instid0(SALU_CYCLE_1) | instskip(NEXT) | instid1(SALU_CYCLE_1)
	s_bitset1_b32 s0, 10
	s_mov_b32 m0, s0
	s_sendmsg sendmsg(MSG_INTERRUPT)
	s_mov_b32 m0, ttmp2
.LBB4_1509:                             ; =>This Inner Loop Header: Depth=1
	s_sethalt 5
	s_branch .LBB4_1509
.LBB4_1510:
	s_trap 2
	s_sendmsg_rtn_b32 s0, sendmsg(MSG_RTN_GET_DOORBELL)
	s_mov_b32 ttmp2, m0
	s_waitcnt lgkmcnt(0)
	s_and_b32 s0, s0, 0x3ff
	s_delay_alu instid0(SALU_CYCLE_1) | instskip(NEXT) | instid1(SALU_CYCLE_1)
	s_bitset1_b32 s0, 10
	s_mov_b32 m0, s0
	s_sendmsg sendmsg(MSG_INTERRUPT)
	s_mov_b32 m0, ttmp2
.LBB4_1511:                             ; =>This Inner Loop Header: Depth=1
	s_sethalt 5
	s_branch .LBB4_1511
.LBB4_1512:
	s_trap 2
	s_sendmsg_rtn_b32 s0, sendmsg(MSG_RTN_GET_DOORBELL)
	s_mov_b32 ttmp2, m0
	s_waitcnt lgkmcnt(0)
	s_and_b32 s0, s0, 0x3ff
	s_delay_alu instid0(SALU_CYCLE_1) | instskip(NEXT) | instid1(SALU_CYCLE_1)
	s_bitset1_b32 s0, 10
	s_mov_b32 m0, s0
	s_sendmsg sendmsg(MSG_INTERRUPT)
	s_mov_b32 m0, ttmp2
.LBB4_1513:                             ; =>This Inner Loop Header: Depth=1
	s_sethalt 5
	s_branch .LBB4_1513
.LBB4_1514:
	s_trap 2
	s_sendmsg_rtn_b32 s0, sendmsg(MSG_RTN_GET_DOORBELL)
	s_mov_b32 ttmp2, m0
	s_waitcnt lgkmcnt(0)
	s_and_b32 s0, s0, 0x3ff
	s_delay_alu instid0(SALU_CYCLE_1) | instskip(NEXT) | instid1(SALU_CYCLE_1)
	s_bitset1_b32 s0, 10
	s_mov_b32 m0, s0
	s_sendmsg sendmsg(MSG_INTERRUPT)
	s_mov_b32 m0, ttmp2
.LBB4_1515:                             ; =>This Inner Loop Header: Depth=1
	s_sethalt 5
	s_branch .LBB4_1515
.LBB4_1516:
	s_trap 2
	s_sendmsg_rtn_b32 s0, sendmsg(MSG_RTN_GET_DOORBELL)
	s_mov_b32 ttmp2, m0
	s_waitcnt lgkmcnt(0)
	s_and_b32 s0, s0, 0x3ff
	s_delay_alu instid0(SALU_CYCLE_1) | instskip(NEXT) | instid1(SALU_CYCLE_1)
	s_bitset1_b32 s0, 10
	s_mov_b32 m0, s0
	s_sendmsg sendmsg(MSG_INTERRUPT)
	s_mov_b32 m0, ttmp2
.LBB4_1517:                             ; =>This Inner Loop Header: Depth=1
	s_sethalt 5
	s_branch .LBB4_1517
.LBB4_1518:
	s_trap 2
	s_sendmsg_rtn_b32 s0, sendmsg(MSG_RTN_GET_DOORBELL)
	s_mov_b32 ttmp2, m0
	s_waitcnt lgkmcnt(0)
	s_and_b32 s0, s0, 0x3ff
	s_delay_alu instid0(SALU_CYCLE_1) | instskip(NEXT) | instid1(SALU_CYCLE_1)
	s_bitset1_b32 s0, 10
	s_mov_b32 m0, s0
	s_sendmsg sendmsg(MSG_INTERRUPT)
	s_mov_b32 m0, ttmp2
.LBB4_1519:                             ; =>This Inner Loop Header: Depth=1
	s_sethalt 5
	s_branch .LBB4_1519
.LBB4_1520:
	s_trap 2
	s_sendmsg_rtn_b32 s0, sendmsg(MSG_RTN_GET_DOORBELL)
	s_mov_b32 ttmp2, m0
	s_waitcnt lgkmcnt(0)
	s_and_b32 s0, s0, 0x3ff
	s_delay_alu instid0(SALU_CYCLE_1) | instskip(NEXT) | instid1(SALU_CYCLE_1)
	s_bitset1_b32 s0, 10
	s_mov_b32 m0, s0
	s_sendmsg sendmsg(MSG_INTERRUPT)
	s_mov_b32 m0, ttmp2
.LBB4_1521:                             ; =>This Inner Loop Header: Depth=1
	s_sethalt 5
	s_branch .LBB4_1521
.LBB4_1522:
	s_trap 2
	s_sendmsg_rtn_b32 s0, sendmsg(MSG_RTN_GET_DOORBELL)
	s_mov_b32 ttmp2, m0
	s_waitcnt lgkmcnt(0)
	s_and_b32 s0, s0, 0x3ff
	s_delay_alu instid0(SALU_CYCLE_1) | instskip(NEXT) | instid1(SALU_CYCLE_1)
	s_bitset1_b32 s0, 10
	s_mov_b32 m0, s0
	s_sendmsg sendmsg(MSG_INTERRUPT)
	s_mov_b32 m0, ttmp2
.LBB4_1523:                             ; =>This Inner Loop Header: Depth=1
	s_sethalt 5
	s_branch .LBB4_1523
.LBB4_1524:
	s_trap 2
	s_sendmsg_rtn_b32 s0, sendmsg(MSG_RTN_GET_DOORBELL)
	s_mov_b32 ttmp2, m0
	s_waitcnt lgkmcnt(0)
	s_and_b32 s0, s0, 0x3ff
	s_delay_alu instid0(SALU_CYCLE_1) | instskip(NEXT) | instid1(SALU_CYCLE_1)
	s_bitset1_b32 s0, 10
	s_mov_b32 m0, s0
	s_sendmsg sendmsg(MSG_INTERRUPT)
	s_mov_b32 m0, ttmp2
.LBB4_1525:                             ; =>This Inner Loop Header: Depth=1
	s_sethalt 5
	s_branch .LBB4_1525
.LBB4_1526:
	s_trap 2
	s_sendmsg_rtn_b32 s0, sendmsg(MSG_RTN_GET_DOORBELL)
	s_mov_b32 ttmp2, m0
	s_waitcnt lgkmcnt(0)
	s_and_b32 s0, s0, 0x3ff
	s_delay_alu instid0(SALU_CYCLE_1) | instskip(NEXT) | instid1(SALU_CYCLE_1)
	s_bitset1_b32 s0, 10
	s_mov_b32 m0, s0
	s_sendmsg sendmsg(MSG_INTERRUPT)
	s_mov_b32 m0, ttmp2
.LBB4_1527:                             ; =>This Inner Loop Header: Depth=1
	s_sethalt 5
	s_branch .LBB4_1527
.LBB4_1528:
	s_trap 2
	s_sendmsg_rtn_b32 s0, sendmsg(MSG_RTN_GET_DOORBELL)
	s_mov_b32 ttmp2, m0
	s_waitcnt lgkmcnt(0)
	s_and_b32 s0, s0, 0x3ff
	s_delay_alu instid0(SALU_CYCLE_1) | instskip(NEXT) | instid1(SALU_CYCLE_1)
	s_bitset1_b32 s0, 10
	s_mov_b32 m0, s0
	s_sendmsg sendmsg(MSG_INTERRUPT)
	s_mov_b32 m0, ttmp2
.LBB4_1529:                             ; =>This Inner Loop Header: Depth=1
	s_sethalt 5
	s_branch .LBB4_1529
.LBB4_1530:
	s_trap 2
	s_sendmsg_rtn_b32 s0, sendmsg(MSG_RTN_GET_DOORBELL)
	s_mov_b32 ttmp2, m0
	s_waitcnt lgkmcnt(0)
	s_and_b32 s0, s0, 0x3ff
	s_delay_alu instid0(SALU_CYCLE_1) | instskip(NEXT) | instid1(SALU_CYCLE_1)
	s_bitset1_b32 s0, 10
	s_mov_b32 m0, s0
	s_sendmsg sendmsg(MSG_INTERRUPT)
	s_mov_b32 m0, ttmp2
.LBB4_1531:                             ; =>This Inner Loop Header: Depth=1
	s_sethalt 5
	s_branch .LBB4_1531
.LBB4_1532:
	s_trap 2
	s_sendmsg_rtn_b32 s0, sendmsg(MSG_RTN_GET_DOORBELL)
	s_mov_b32 ttmp2, m0
	s_waitcnt lgkmcnt(0)
	s_and_b32 s0, s0, 0x3ff
	s_delay_alu instid0(SALU_CYCLE_1) | instskip(NEXT) | instid1(SALU_CYCLE_1)
	s_bitset1_b32 s0, 10
	s_mov_b32 m0, s0
	s_sendmsg sendmsg(MSG_INTERRUPT)
	s_mov_b32 m0, ttmp2
.LBB4_1533:                             ; =>This Inner Loop Header: Depth=1
	s_sethalt 5
	s_branch .LBB4_1533
.LBB4_1534:
	s_trap 2
	s_sendmsg_rtn_b32 s0, sendmsg(MSG_RTN_GET_DOORBELL)
	s_mov_b32 ttmp2, m0
	s_waitcnt lgkmcnt(0)
	s_and_b32 s0, s0, 0x3ff
	s_delay_alu instid0(SALU_CYCLE_1) | instskip(NEXT) | instid1(SALU_CYCLE_1)
	s_bitset1_b32 s0, 10
	s_mov_b32 m0, s0
	s_sendmsg sendmsg(MSG_INTERRUPT)
	s_mov_b32 m0, ttmp2
.LBB4_1535:                             ; =>This Inner Loop Header: Depth=1
	s_sethalt 5
	s_branch .LBB4_1535
.LBB4_1536:
	s_trap 2
	s_sendmsg_rtn_b32 s0, sendmsg(MSG_RTN_GET_DOORBELL)
	s_mov_b32 ttmp2, m0
	s_waitcnt lgkmcnt(0)
	s_and_b32 s0, s0, 0x3ff
	s_delay_alu instid0(SALU_CYCLE_1) | instskip(NEXT) | instid1(SALU_CYCLE_1)
	s_bitset1_b32 s0, 10
	s_mov_b32 m0, s0
	s_sendmsg sendmsg(MSG_INTERRUPT)
	s_mov_b32 m0, ttmp2
.LBB4_1537:                             ; =>This Inner Loop Header: Depth=1
	s_sethalt 5
	s_branch .LBB4_1537
.LBB4_1538:
	s_trap 2
	s_sendmsg_rtn_b32 s0, sendmsg(MSG_RTN_GET_DOORBELL)
	s_mov_b32 ttmp2, m0
	s_waitcnt lgkmcnt(0)
	s_and_b32 s0, s0, 0x3ff
	s_delay_alu instid0(SALU_CYCLE_1) | instskip(NEXT) | instid1(SALU_CYCLE_1)
	s_bitset1_b32 s0, 10
	s_mov_b32 m0, s0
	s_sendmsg sendmsg(MSG_INTERRUPT)
	s_mov_b32 m0, ttmp2
.LBB4_1539:                             ; =>This Inner Loop Header: Depth=1
	s_sethalt 5
	s_branch .LBB4_1539
.LBB4_1540:
	s_trap 2
	s_sendmsg_rtn_b32 s0, sendmsg(MSG_RTN_GET_DOORBELL)
	s_mov_b32 ttmp2, m0
	s_waitcnt lgkmcnt(0)
	s_and_b32 s0, s0, 0x3ff
	s_delay_alu instid0(SALU_CYCLE_1) | instskip(NEXT) | instid1(SALU_CYCLE_1)
	s_bitset1_b32 s0, 10
	s_mov_b32 m0, s0
	s_sendmsg sendmsg(MSG_INTERRUPT)
	s_mov_b32 m0, ttmp2
.LBB4_1541:                             ; =>This Inner Loop Header: Depth=1
	s_sethalt 5
	s_branch .LBB4_1541
.LBB4_1542:
	s_trap 2
	s_sendmsg_rtn_b32 s0, sendmsg(MSG_RTN_GET_DOORBELL)
	s_mov_b32 ttmp2, m0
	s_waitcnt lgkmcnt(0)
	s_and_b32 s0, s0, 0x3ff
	s_delay_alu instid0(SALU_CYCLE_1) | instskip(NEXT) | instid1(SALU_CYCLE_1)
	s_bitset1_b32 s0, 10
	s_mov_b32 m0, s0
	s_sendmsg sendmsg(MSG_INTERRUPT)
	s_mov_b32 m0, ttmp2
.LBB4_1543:                             ; =>This Inner Loop Header: Depth=1
	s_sethalt 5
	s_branch .LBB4_1543
.LBB4_1544:
	s_trap 2
	s_sendmsg_rtn_b32 s0, sendmsg(MSG_RTN_GET_DOORBELL)
	s_mov_b32 ttmp2, m0
	s_waitcnt lgkmcnt(0)
	s_and_b32 s0, s0, 0x3ff
	s_delay_alu instid0(SALU_CYCLE_1) | instskip(NEXT) | instid1(SALU_CYCLE_1)
	s_bitset1_b32 s0, 10
	s_mov_b32 m0, s0
	s_sendmsg sendmsg(MSG_INTERRUPT)
	s_mov_b32 m0, ttmp2
.LBB4_1545:                             ; =>This Inner Loop Header: Depth=1
	s_sethalt 5
	s_branch .LBB4_1545
.LBB4_1546:
	s_trap 2
	s_sendmsg_rtn_b32 s0, sendmsg(MSG_RTN_GET_DOORBELL)
	s_mov_b32 ttmp2, m0
	s_waitcnt lgkmcnt(0)
	s_and_b32 s0, s0, 0x3ff
	s_delay_alu instid0(SALU_CYCLE_1) | instskip(NEXT) | instid1(SALU_CYCLE_1)
	s_bitset1_b32 s0, 10
	s_mov_b32 m0, s0
	s_sendmsg sendmsg(MSG_INTERRUPT)
	s_mov_b32 m0, ttmp2
.LBB4_1547:                             ; =>This Inner Loop Header: Depth=1
	s_sethalt 5
	s_branch .LBB4_1547
.LBB4_1548:
	s_trap 2
	s_sendmsg_rtn_b32 s0, sendmsg(MSG_RTN_GET_DOORBELL)
	s_mov_b32 ttmp2, m0
	s_waitcnt lgkmcnt(0)
	s_and_b32 s0, s0, 0x3ff
	s_delay_alu instid0(SALU_CYCLE_1) | instskip(NEXT) | instid1(SALU_CYCLE_1)
	s_bitset1_b32 s0, 10
	s_mov_b32 m0, s0
	s_sendmsg sendmsg(MSG_INTERRUPT)
	s_mov_b32 m0, ttmp2
.LBB4_1549:                             ; =>This Inner Loop Header: Depth=1
	s_sethalt 5
	s_branch .LBB4_1549
.LBB4_1550:
	s_trap 2
	s_sendmsg_rtn_b32 s0, sendmsg(MSG_RTN_GET_DOORBELL)
	s_mov_b32 ttmp2, m0
	s_waitcnt lgkmcnt(0)
	s_and_b32 s0, s0, 0x3ff
	s_delay_alu instid0(SALU_CYCLE_1) | instskip(NEXT) | instid1(SALU_CYCLE_1)
	s_bitset1_b32 s0, 10
	s_mov_b32 m0, s0
	s_sendmsg sendmsg(MSG_INTERRUPT)
	s_mov_b32 m0, ttmp2
.LBB4_1551:                             ; =>This Inner Loop Header: Depth=1
	s_sethalt 5
	s_branch .LBB4_1551
.LBB4_1552:
	s_trap 2
	s_sendmsg_rtn_b32 s0, sendmsg(MSG_RTN_GET_DOORBELL)
	s_mov_b32 ttmp2, m0
	s_waitcnt lgkmcnt(0)
	s_and_b32 s0, s0, 0x3ff
	s_delay_alu instid0(SALU_CYCLE_1) | instskip(NEXT) | instid1(SALU_CYCLE_1)
	s_bitset1_b32 s0, 10
	s_mov_b32 m0, s0
	s_sendmsg sendmsg(MSG_INTERRUPT)
	s_mov_b32 m0, ttmp2
.LBB4_1553:                             ; =>This Inner Loop Header: Depth=1
	s_sethalt 5
	s_branch .LBB4_1553
.LBB4_1554:
	s_trap 2
	s_sendmsg_rtn_b32 s0, sendmsg(MSG_RTN_GET_DOORBELL)
	s_mov_b32 ttmp2, m0
	s_waitcnt lgkmcnt(0)
	s_and_b32 s0, s0, 0x3ff
	s_delay_alu instid0(SALU_CYCLE_1) | instskip(NEXT) | instid1(SALU_CYCLE_1)
	s_bitset1_b32 s0, 10
	s_mov_b32 m0, s0
	s_sendmsg sendmsg(MSG_INTERRUPT)
	s_mov_b32 m0, ttmp2
.LBB4_1555:                             ; =>This Inner Loop Header: Depth=1
	s_sethalt 5
	s_branch .LBB4_1555
.LBB4_1556:
	s_trap 2
	s_sendmsg_rtn_b32 s0, sendmsg(MSG_RTN_GET_DOORBELL)
	s_mov_b32 ttmp2, m0
	s_waitcnt lgkmcnt(0)
	s_and_b32 s0, s0, 0x3ff
	s_delay_alu instid0(SALU_CYCLE_1) | instskip(NEXT) | instid1(SALU_CYCLE_1)
	s_bitset1_b32 s0, 10
	s_mov_b32 m0, s0
	s_sendmsg sendmsg(MSG_INTERRUPT)
	s_mov_b32 m0, ttmp2
.LBB4_1557:                             ; =>This Inner Loop Header: Depth=1
	s_sethalt 5
	s_branch .LBB4_1557
.LBB4_1558:
	s_trap 2
	s_sendmsg_rtn_b32 s0, sendmsg(MSG_RTN_GET_DOORBELL)
	s_mov_b32 ttmp2, m0
	s_waitcnt lgkmcnt(0)
	s_and_b32 s0, s0, 0x3ff
	s_delay_alu instid0(SALU_CYCLE_1) | instskip(NEXT) | instid1(SALU_CYCLE_1)
	s_bitset1_b32 s0, 10
	s_mov_b32 m0, s0
	s_sendmsg sendmsg(MSG_INTERRUPT)
	s_mov_b32 m0, ttmp2
.LBB4_1559:                             ; =>This Inner Loop Header: Depth=1
	s_sethalt 5
	s_branch .LBB4_1559
.LBB4_1560:
	s_trap 2
	s_sendmsg_rtn_b32 s0, sendmsg(MSG_RTN_GET_DOORBELL)
	s_mov_b32 ttmp2, m0
	s_waitcnt lgkmcnt(0)
	s_and_b32 s0, s0, 0x3ff
	s_delay_alu instid0(SALU_CYCLE_1) | instskip(NEXT) | instid1(SALU_CYCLE_1)
	s_bitset1_b32 s0, 10
	s_mov_b32 m0, s0
	s_sendmsg sendmsg(MSG_INTERRUPT)
	s_mov_b32 m0, ttmp2
.LBB4_1561:                             ; =>This Inner Loop Header: Depth=1
	s_sethalt 5
	s_branch .LBB4_1561
.LBB4_1562:
	s_trap 2
	s_sendmsg_rtn_b32 s0, sendmsg(MSG_RTN_GET_DOORBELL)
	s_mov_b32 ttmp2, m0
	s_waitcnt lgkmcnt(0)
	s_and_b32 s0, s0, 0x3ff
	s_delay_alu instid0(SALU_CYCLE_1) | instskip(NEXT) | instid1(SALU_CYCLE_1)
	s_bitset1_b32 s0, 10
	s_mov_b32 m0, s0
	s_sendmsg sendmsg(MSG_INTERRUPT)
	s_mov_b32 m0, ttmp2
.LBB4_1563:                             ; =>This Inner Loop Header: Depth=1
	s_sethalt 5
	s_branch .LBB4_1563
.LBB4_1564:
	s_trap 2
	s_sendmsg_rtn_b32 s0, sendmsg(MSG_RTN_GET_DOORBELL)
	s_mov_b32 ttmp2, m0
	s_waitcnt lgkmcnt(0)
	s_and_b32 s0, s0, 0x3ff
	s_delay_alu instid0(SALU_CYCLE_1) | instskip(NEXT) | instid1(SALU_CYCLE_1)
	s_bitset1_b32 s0, 10
	s_mov_b32 m0, s0
	s_sendmsg sendmsg(MSG_INTERRUPT)
	s_mov_b32 m0, ttmp2
.LBB4_1565:                             ; =>This Inner Loop Header: Depth=1
	s_sethalt 5
	s_branch .LBB4_1565
.LBB4_1566:
	s_trap 2
	s_sendmsg_rtn_b32 s0, sendmsg(MSG_RTN_GET_DOORBELL)
	s_mov_b32 ttmp2, m0
	s_waitcnt lgkmcnt(0)
	s_and_b32 s0, s0, 0x3ff
	s_delay_alu instid0(SALU_CYCLE_1) | instskip(NEXT) | instid1(SALU_CYCLE_1)
	s_bitset1_b32 s0, 10
	s_mov_b32 m0, s0
	s_sendmsg sendmsg(MSG_INTERRUPT)
	s_mov_b32 m0, ttmp2
.LBB4_1567:                             ; =>This Inner Loop Header: Depth=1
	s_sethalt 5
	s_branch .LBB4_1567
.LBB4_1568:
	s_trap 2
	s_sendmsg_rtn_b32 s0, sendmsg(MSG_RTN_GET_DOORBELL)
	s_mov_b32 ttmp2, m0
	s_waitcnt lgkmcnt(0)
	s_and_b32 s0, s0, 0x3ff
	s_delay_alu instid0(SALU_CYCLE_1) | instskip(NEXT) | instid1(SALU_CYCLE_1)
	s_bitset1_b32 s0, 10
	s_mov_b32 m0, s0
	s_sendmsg sendmsg(MSG_INTERRUPT)
	s_mov_b32 m0, ttmp2
.LBB4_1569:                             ; =>This Inner Loop Header: Depth=1
	s_sethalt 5
	s_branch .LBB4_1569
.LBB4_1570:
	s_trap 2
	s_sendmsg_rtn_b32 s0, sendmsg(MSG_RTN_GET_DOORBELL)
	s_mov_b32 ttmp2, m0
	s_waitcnt lgkmcnt(0)
	s_and_b32 s0, s0, 0x3ff
	s_delay_alu instid0(SALU_CYCLE_1) | instskip(NEXT) | instid1(SALU_CYCLE_1)
	s_bitset1_b32 s0, 10
	s_mov_b32 m0, s0
	s_sendmsg sendmsg(MSG_INTERRUPT)
	s_mov_b32 m0, ttmp2
.LBB4_1571:                             ; =>This Inner Loop Header: Depth=1
	s_sethalt 5
	s_branch .LBB4_1571
.LBB4_1572:
	s_trap 2
	s_sendmsg_rtn_b32 s0, sendmsg(MSG_RTN_GET_DOORBELL)
	s_mov_b32 ttmp2, m0
	s_waitcnt lgkmcnt(0)
	s_and_b32 s0, s0, 0x3ff
	s_delay_alu instid0(SALU_CYCLE_1) | instskip(NEXT) | instid1(SALU_CYCLE_1)
	s_bitset1_b32 s0, 10
	s_mov_b32 m0, s0
	s_sendmsg sendmsg(MSG_INTERRUPT)
	s_mov_b32 m0, ttmp2
.LBB4_1573:                             ; =>This Inner Loop Header: Depth=1
	s_sethalt 5
	s_branch .LBB4_1573
.LBB4_1574:
	s_trap 2
	s_sendmsg_rtn_b32 s0, sendmsg(MSG_RTN_GET_DOORBELL)
	s_mov_b32 ttmp2, m0
	s_waitcnt lgkmcnt(0)
	s_and_b32 s0, s0, 0x3ff
	s_delay_alu instid0(SALU_CYCLE_1) | instskip(NEXT) | instid1(SALU_CYCLE_1)
	s_bitset1_b32 s0, 10
	s_mov_b32 m0, s0
	s_sendmsg sendmsg(MSG_INTERRUPT)
	s_mov_b32 m0, ttmp2
.LBB4_1575:                             ; =>This Inner Loop Header: Depth=1
	s_sethalt 5
	s_branch .LBB4_1575
.LBB4_1576:
	s_trap 2
	s_sendmsg_rtn_b32 s0, sendmsg(MSG_RTN_GET_DOORBELL)
	s_mov_b32 ttmp2, m0
	s_waitcnt lgkmcnt(0)
	s_and_b32 s0, s0, 0x3ff
	s_delay_alu instid0(SALU_CYCLE_1) | instskip(NEXT) | instid1(SALU_CYCLE_1)
	s_bitset1_b32 s0, 10
	s_mov_b32 m0, s0
	s_sendmsg sendmsg(MSG_INTERRUPT)
	s_mov_b32 m0, ttmp2
.LBB4_1577:                             ; =>This Inner Loop Header: Depth=1
	s_sethalt 5
	s_branch .LBB4_1577
.LBB4_1578:
	s_trap 2
	s_sendmsg_rtn_b32 s0, sendmsg(MSG_RTN_GET_DOORBELL)
	s_mov_b32 ttmp2, m0
	s_waitcnt lgkmcnt(0)
	s_and_b32 s0, s0, 0x3ff
	s_delay_alu instid0(SALU_CYCLE_1) | instskip(NEXT) | instid1(SALU_CYCLE_1)
	s_bitset1_b32 s0, 10
	s_mov_b32 m0, s0
	s_sendmsg sendmsg(MSG_INTERRUPT)
	s_mov_b32 m0, ttmp2
.LBB4_1579:                             ; =>This Inner Loop Header: Depth=1
	s_sethalt 5
	s_branch .LBB4_1579
.LBB4_1580:
	s_trap 2
	s_sendmsg_rtn_b32 s0, sendmsg(MSG_RTN_GET_DOORBELL)
	s_mov_b32 ttmp2, m0
	s_waitcnt lgkmcnt(0)
	s_and_b32 s0, s0, 0x3ff
	s_delay_alu instid0(SALU_CYCLE_1) | instskip(NEXT) | instid1(SALU_CYCLE_1)
	s_bitset1_b32 s0, 10
	s_mov_b32 m0, s0
	s_sendmsg sendmsg(MSG_INTERRUPT)
	s_mov_b32 m0, ttmp2
.LBB4_1581:                             ; =>This Inner Loop Header: Depth=1
	s_sethalt 5
	s_branch .LBB4_1581
.LBB4_1582:
	s_trap 2
	s_sendmsg_rtn_b32 s0, sendmsg(MSG_RTN_GET_DOORBELL)
	s_mov_b32 ttmp2, m0
	s_waitcnt lgkmcnt(0)
	s_and_b32 s0, s0, 0x3ff
	s_delay_alu instid0(SALU_CYCLE_1) | instskip(NEXT) | instid1(SALU_CYCLE_1)
	s_bitset1_b32 s0, 10
	s_mov_b32 m0, s0
	s_sendmsg sendmsg(MSG_INTERRUPT)
	s_mov_b32 m0, ttmp2
.LBB4_1583:                             ; =>This Inner Loop Header: Depth=1
	s_sethalt 5
	s_branch .LBB4_1583
.LBB4_1584:
	s_trap 2
	s_sendmsg_rtn_b32 s0, sendmsg(MSG_RTN_GET_DOORBELL)
	s_mov_b32 ttmp2, m0
	s_waitcnt lgkmcnt(0)
	s_and_b32 s0, s0, 0x3ff
	s_delay_alu instid0(SALU_CYCLE_1) | instskip(NEXT) | instid1(SALU_CYCLE_1)
	s_bitset1_b32 s0, 10
	s_mov_b32 m0, s0
	s_sendmsg sendmsg(MSG_INTERRUPT)
	s_mov_b32 m0, ttmp2
.LBB4_1585:                             ; =>This Inner Loop Header: Depth=1
	s_sethalt 5
	s_branch .LBB4_1585
.LBB4_1586:
	s_trap 2
	s_sendmsg_rtn_b32 s0, sendmsg(MSG_RTN_GET_DOORBELL)
	s_mov_b32 ttmp2, m0
	s_waitcnt lgkmcnt(0)
	s_and_b32 s0, s0, 0x3ff
	s_delay_alu instid0(SALU_CYCLE_1) | instskip(NEXT) | instid1(SALU_CYCLE_1)
	s_bitset1_b32 s0, 10
	s_mov_b32 m0, s0
	s_sendmsg sendmsg(MSG_INTERRUPT)
	s_mov_b32 m0, ttmp2
.LBB4_1587:                             ; =>This Inner Loop Header: Depth=1
	s_sethalt 5
	s_branch .LBB4_1587
.LBB4_1588:
	s_trap 2
	s_sendmsg_rtn_b32 s0, sendmsg(MSG_RTN_GET_DOORBELL)
	s_mov_b32 ttmp2, m0
	s_waitcnt lgkmcnt(0)
	s_and_b32 s0, s0, 0x3ff
	s_delay_alu instid0(SALU_CYCLE_1) | instskip(NEXT) | instid1(SALU_CYCLE_1)
	s_bitset1_b32 s0, 10
	s_mov_b32 m0, s0
	s_sendmsg sendmsg(MSG_INTERRUPT)
	s_mov_b32 m0, ttmp2
.LBB4_1589:                             ; =>This Inner Loop Header: Depth=1
	s_sethalt 5
	s_branch .LBB4_1589
.LBB4_1590:
	s_trap 2
	s_sendmsg_rtn_b32 s0, sendmsg(MSG_RTN_GET_DOORBELL)
	s_mov_b32 ttmp2, m0
	s_waitcnt lgkmcnt(0)
	s_and_b32 s0, s0, 0x3ff
	s_delay_alu instid0(SALU_CYCLE_1) | instskip(NEXT) | instid1(SALU_CYCLE_1)
	s_bitset1_b32 s0, 10
	s_mov_b32 m0, s0
	s_sendmsg sendmsg(MSG_INTERRUPT)
	s_mov_b32 m0, ttmp2
.LBB4_1591:                             ; =>This Inner Loop Header: Depth=1
	s_sethalt 5
	s_branch .LBB4_1591
.LBB4_1592:
	s_trap 2
	s_sendmsg_rtn_b32 s0, sendmsg(MSG_RTN_GET_DOORBELL)
	s_mov_b32 ttmp2, m0
	s_waitcnt lgkmcnt(0)
	s_and_b32 s0, s0, 0x3ff
	s_delay_alu instid0(SALU_CYCLE_1) | instskip(NEXT) | instid1(SALU_CYCLE_1)
	s_bitset1_b32 s0, 10
	s_mov_b32 m0, s0
	s_sendmsg sendmsg(MSG_INTERRUPT)
	s_mov_b32 m0, ttmp2
.LBB4_1593:                             ; =>This Inner Loop Header: Depth=1
	s_sethalt 5
	s_branch .LBB4_1593
.LBB4_1594:
	s_trap 2
	s_sendmsg_rtn_b32 s0, sendmsg(MSG_RTN_GET_DOORBELL)
	s_mov_b32 ttmp2, m0
	s_waitcnt lgkmcnt(0)
	s_and_b32 s0, s0, 0x3ff
	s_delay_alu instid0(SALU_CYCLE_1) | instskip(NEXT) | instid1(SALU_CYCLE_1)
	s_bitset1_b32 s0, 10
	s_mov_b32 m0, s0
	s_sendmsg sendmsg(MSG_INTERRUPT)
	s_mov_b32 m0, ttmp2
.LBB4_1595:                             ; =>This Inner Loop Header: Depth=1
	s_sethalt 5
	s_branch .LBB4_1595
.LBB4_1596:
	s_trap 2
	s_sendmsg_rtn_b32 s0, sendmsg(MSG_RTN_GET_DOORBELL)
	s_mov_b32 ttmp2, m0
	s_waitcnt lgkmcnt(0)
	s_and_b32 s0, s0, 0x3ff
	s_delay_alu instid0(SALU_CYCLE_1) | instskip(NEXT) | instid1(SALU_CYCLE_1)
	s_bitset1_b32 s0, 10
	s_mov_b32 m0, s0
	s_sendmsg sendmsg(MSG_INTERRUPT)
	s_mov_b32 m0, ttmp2
.LBB4_1597:                             ; =>This Inner Loop Header: Depth=1
	s_sethalt 5
	s_branch .LBB4_1597
.LBB4_1598:
	s_trap 2
	s_sendmsg_rtn_b32 s0, sendmsg(MSG_RTN_GET_DOORBELL)
	s_mov_b32 ttmp2, m0
	s_waitcnt lgkmcnt(0)
	s_and_b32 s0, s0, 0x3ff
	s_delay_alu instid0(SALU_CYCLE_1) | instskip(NEXT) | instid1(SALU_CYCLE_1)
	s_bitset1_b32 s0, 10
	s_mov_b32 m0, s0
	s_sendmsg sendmsg(MSG_INTERRUPT)
	s_mov_b32 m0, ttmp2
.LBB4_1599:                             ; =>This Inner Loop Header: Depth=1
	s_sethalt 5
	s_branch .LBB4_1599
.LBB4_1600:
	s_trap 2
	s_sendmsg_rtn_b32 s0, sendmsg(MSG_RTN_GET_DOORBELL)
	s_mov_b32 ttmp2, m0
	s_waitcnt lgkmcnt(0)
	s_and_b32 s0, s0, 0x3ff
	s_delay_alu instid0(SALU_CYCLE_1) | instskip(NEXT) | instid1(SALU_CYCLE_1)
	s_bitset1_b32 s0, 10
	s_mov_b32 m0, s0
	s_sendmsg sendmsg(MSG_INTERRUPT)
	s_mov_b32 m0, ttmp2
.LBB4_1601:                             ; =>This Inner Loop Header: Depth=1
	s_sethalt 5
	s_branch .LBB4_1601
.LBB4_1602:
	s_trap 2
	s_sendmsg_rtn_b32 s0, sendmsg(MSG_RTN_GET_DOORBELL)
	s_mov_b32 ttmp2, m0
	s_waitcnt lgkmcnt(0)
	s_and_b32 s0, s0, 0x3ff
	s_delay_alu instid0(SALU_CYCLE_1) | instskip(NEXT) | instid1(SALU_CYCLE_1)
	s_bitset1_b32 s0, 10
	s_mov_b32 m0, s0
	s_sendmsg sendmsg(MSG_INTERRUPT)
	s_mov_b32 m0, ttmp2
.LBB4_1603:                             ; =>This Inner Loop Header: Depth=1
	s_sethalt 5
	s_branch .LBB4_1603
.LBB4_1604:
	s_trap 2
	s_sendmsg_rtn_b32 s0, sendmsg(MSG_RTN_GET_DOORBELL)
	s_mov_b32 ttmp2, m0
	s_waitcnt lgkmcnt(0)
	s_and_b32 s0, s0, 0x3ff
	s_delay_alu instid0(SALU_CYCLE_1) | instskip(NEXT) | instid1(SALU_CYCLE_1)
	s_bitset1_b32 s0, 10
	s_mov_b32 m0, s0
	s_sendmsg sendmsg(MSG_INTERRUPT)
	s_mov_b32 m0, ttmp2
.LBB4_1605:                             ; =>This Inner Loop Header: Depth=1
	s_sethalt 5
	s_branch .LBB4_1605
.LBB4_1606:
	s_trap 2
	s_sendmsg_rtn_b32 s0, sendmsg(MSG_RTN_GET_DOORBELL)
	s_mov_b32 ttmp2, m0
	s_waitcnt lgkmcnt(0)
	s_and_b32 s0, s0, 0x3ff
	s_delay_alu instid0(SALU_CYCLE_1) | instskip(NEXT) | instid1(SALU_CYCLE_1)
	s_bitset1_b32 s0, 10
	s_mov_b32 m0, s0
	s_sendmsg sendmsg(MSG_INTERRUPT)
	s_mov_b32 m0, ttmp2
.LBB4_1607:                             ; =>This Inner Loop Header: Depth=1
	s_sethalt 5
	s_branch .LBB4_1607
.LBB4_1608:
	s_trap 2
	s_sendmsg_rtn_b32 s0, sendmsg(MSG_RTN_GET_DOORBELL)
	s_mov_b32 ttmp2, m0
	s_waitcnt lgkmcnt(0)
	s_and_b32 s0, s0, 0x3ff
	s_delay_alu instid0(SALU_CYCLE_1) | instskip(NEXT) | instid1(SALU_CYCLE_1)
	s_bitset1_b32 s0, 10
	s_mov_b32 m0, s0
	s_sendmsg sendmsg(MSG_INTERRUPT)
	s_mov_b32 m0, ttmp2
.LBB4_1609:                             ; =>This Inner Loop Header: Depth=1
	s_sethalt 5
	s_branch .LBB4_1609
.LBB4_1610:
	s_trap 2
	s_sendmsg_rtn_b32 s0, sendmsg(MSG_RTN_GET_DOORBELL)
	s_mov_b32 ttmp2, m0
	s_waitcnt lgkmcnt(0)
	s_and_b32 s0, s0, 0x3ff
	s_delay_alu instid0(SALU_CYCLE_1) | instskip(NEXT) | instid1(SALU_CYCLE_1)
	s_bitset1_b32 s0, 10
	s_mov_b32 m0, s0
	s_sendmsg sendmsg(MSG_INTERRUPT)
	s_mov_b32 m0, ttmp2
.LBB4_1611:                             ; =>This Inner Loop Header: Depth=1
	s_sethalt 5
	s_branch .LBB4_1611
.LBB4_1612:
	s_trap 2
	s_sendmsg_rtn_b32 s0, sendmsg(MSG_RTN_GET_DOORBELL)
	s_mov_b32 ttmp2, m0
	s_waitcnt lgkmcnt(0)
	s_and_b32 s0, s0, 0x3ff
	s_delay_alu instid0(SALU_CYCLE_1) | instskip(NEXT) | instid1(SALU_CYCLE_1)
	s_bitset1_b32 s0, 10
	s_mov_b32 m0, s0
	s_sendmsg sendmsg(MSG_INTERRUPT)
	s_mov_b32 m0, ttmp2
.LBB4_1613:                             ; =>This Inner Loop Header: Depth=1
	s_sethalt 5
	s_branch .LBB4_1613
.LBB4_1614:
	s_trap 2
	s_sendmsg_rtn_b32 s0, sendmsg(MSG_RTN_GET_DOORBELL)
	s_mov_b32 ttmp2, m0
	s_waitcnt lgkmcnt(0)
	s_and_b32 s0, s0, 0x3ff
	s_delay_alu instid0(SALU_CYCLE_1) | instskip(NEXT) | instid1(SALU_CYCLE_1)
	s_bitset1_b32 s0, 10
	s_mov_b32 m0, s0
	s_sendmsg sendmsg(MSG_INTERRUPT)
	s_mov_b32 m0, ttmp2
.LBB4_1615:                             ; =>This Inner Loop Header: Depth=1
	s_sethalt 5
	s_branch .LBB4_1615
.Lfunc_end4:
	.size	_ZN12_GLOBAL__N_17runRingIa7FuncSumIaE11ProtoSimpleILi2ELi2ELi0ELi1ELi0ELi0EELi0ELi1ELi0ELb0EEEviiP15ncclDevWorkColl, .Lfunc_end4-_ZN12_GLOBAL__N_17runRingIa7FuncSumIaE11ProtoSimpleILi2ELi2ELi0ELi1ELi0ELi0EELi0ELi1ELi0ELb0EEEviiP15ncclDevWorkColl
                                        ; -- End function
	.section	.AMDGPU.csdata,"",@progbits
; Function info:
; codeLenInByte = 45180
; NumSgprs: 41
; NumVgprs: 152
; ScratchSize: 80
; MemoryBound: 0
	.text
	.p2align	2                               ; -- Begin function _Z46ncclDevFunc_AllGather_RING_SIMPLE_Sum_i8_0_0_1v
	.type	_Z46ncclDevFunc_AllGather_RING_SIMPLE_Sum_i8_0_0_1v,@function
_Z46ncclDevFunc_AllGather_RING_SIMPLE_Sum_i8_0_0_1v: ; @_Z46ncclDevFunc_AllGather_RING_SIMPLE_Sum_i8_0_0_1v
; %bb.0:
	s_waitcnt vmcnt(0) expcnt(0) lgkmcnt(0)
	s_mov_b32 s0, s33
	s_mov_b32 s33, s32
	s_or_saveexec_b32 s1, -1
	scratch_store_b32 off, v40, s33 offset:8 ; 4-byte Folded Spill
	s_mov_b32 exec_lo, s1
	v_writelane_b32 v40, s0, 13
	s_add_i32 s32, s32, 16
	s_clause 0x1
	scratch_store_b32 off, v41, s33 offset:4
	; meta instruction
	scratch_store_b32 off, v42, s33
	v_writelane_b32 v40, s34, 0
	v_writelane_b32 v40, s35, 1
	;; [unrolled: 1-line block ×13, first 2 shown]
	s_cbranch_execnz .LBB5_13
; %bb.1:
	ds_load_b32 v0, v0
	s_waitcnt lgkmcnt(0)
	v_cmp_gt_i32_e32 vcc_lo, 1, v0
	s_cbranch_vccnz .LBB5_12
; %bb.2:
	v_and_b32_e32 v160, 0x3ff, v31
	s_mov_b32 s44, 0
	s_mov_b64 s[42:43], src_shared_base
.LBB5_3:                                ; =>This Inner Loop Header: Depth=1
	s_cbranch_execnz .LBB5_15
; %bb.4:                                ;   in Loop: Header=BB5_3 Depth=1
	ds_load_b32 v0, v0
	s_cmp_eq_u32 s44, 0
	s_cbranch_scc1 .LBB5_8
; %bb.5:                                ;   in Loop: Header=BB5_3 Depth=1
	s_cbranch_execnz .LBB5_19
; %bb.6:                                ;   in Loop: Header=BB5_3 Depth=1
	s_waitcnt lgkmcnt(0)
	ds_load_b32 v1, v0
	s_waitcnt lgkmcnt(0)
	v_xor_b32_e32 v1, v1, v0
	s_delay_alu instid0(VALU_DEP_1) | instskip(NEXT) | instid1(VALU_DEP_1)
	v_and_b32_e32 v1, 0xff0000, v1
	v_cmp_eq_u32_e32 vcc_lo, 0, v1
	s_cbranch_vccnz .LBB5_8
; %bb.7:                                ;   in Loop: Header=BB5_3 Depth=1
	s_waitcnt_vscnt null, 0x0
	s_barrier
	buffer_gl0_inv
	ds_load_b32 v0, v0
.LBB5_8:                                ;   in Loop: Header=BB5_3 Depth=1
	s_waitcnt lgkmcnt(0)
	v_lshrrev_b32_e32 v0, 11, v0
	s_mov_b32 s42, exec_lo
	s_delay_alu instid0(VALU_DEP_1) | instskip(NEXT) | instid1(VALU_DEP_1)
	v_and_b32_e32 v1, 0x1fe0, v0
	v_cmpx_lt_u32_e64 v160, v1
	s_cbranch_execz .LBB5_10
; %bb.9:                                ;   in Loop: Header=BB5_3 Depth=1
	v_dual_mov_b32 v161, v31 :: v_dual_mov_b32 v0, v160
	v_mov_b32_e32 v3, s43
	s_getpc_b64 s[0:1]
	s_add_u32 s0, s0, _ZN12_GLOBAL__N_17runRingIa7FuncSumIaE11ProtoSimpleILi2ELi2ELi0ELi1ELi0ELi0EELi0ELi1ELi0ELb0EEEviiP15ncclDevWorkColl@rel32@lo+4
	s_addc_u32 s1, s1, _ZN12_GLOBAL__N_17runRingIa7FuncSumIaE11ProtoSimpleILi2ELi2ELi0ELi1ELi0ELi0EELi0ELi1ELi0ELb0EEEviiP15ncclDevWorkColl@rel32@hi+12
	s_mov_b64 s[40:41], s[8:9]
	s_mov_b32 s39, s12
	s_swappc_b64 s[30:31], s[0:1]
	v_mov_b32_e32 v31, v161
	s_mov_b32 s12, s39
	s_mov_b64 s[8:9], s[40:41]
.LBB5_10:                               ;   in Loop: Header=BB5_3 Depth=1
	s_or_b32 exec_lo, exec_lo, s42
	s_cbranch_execnz .LBB5_17
; %bb.11:                               ;   in Loop: Header=BB5_3 Depth=1
	ds_load_b32 v0, v0
	s_add_i32 s44, s44, 1
	s_waitcnt lgkmcnt(0)
	v_cmp_lt_i32_e32 vcc_lo, s44, v0
	s_cbranch_vccnz .LBB5_3
.LBB5_12:
	s_clause 0x1
	scratch_load_b32 v42, off, s33
	scratch_load_b32 v41, off, s33 offset:4
	v_readlane_b32 s30, v40, 11
	v_readlane_b32 s31, v40, 12
	v_readlane_b32 s44, v40, 10
	v_readlane_b32 s43, v40, 9
	v_readlane_b32 s42, v40, 8
	v_readlane_b32 s41, v40, 7
	v_readlane_b32 s40, v40, 6
	v_readlane_b32 s39, v40, 5
	v_readlane_b32 s38, v40, 4
	v_readlane_b32 s37, v40, 3
	v_readlane_b32 s36, v40, 2
	v_readlane_b32 s35, v40, 1
	v_readlane_b32 s34, v40, 0
	v_readlane_b32 s0, v40, 13
	s_or_saveexec_b32 s1, -1
	scratch_load_b32 v40, off, s33 offset:8 ; 4-byte Folded Reload
	s_mov_b32 exec_lo, s1
	s_add_i32 s32, s32, -16
	s_mov_b32 s33, s0
	s_waitcnt vmcnt(0)
	s_setpc_b64 s[30:31]
.LBB5_13:
	s_trap 2
	s_sendmsg_rtn_b32 s0, sendmsg(MSG_RTN_GET_DOORBELL)
	s_mov_b32 ttmp2, m0
	s_waitcnt lgkmcnt(0)
	s_and_b32 s0, s0, 0x3ff
	s_delay_alu instid0(SALU_CYCLE_1) | instskip(NEXT) | instid1(SALU_CYCLE_1)
	s_bitset1_b32 s0, 10
	s_mov_b32 m0, s0
	s_sendmsg sendmsg(MSG_INTERRUPT)
	s_mov_b32 m0, ttmp2
.LBB5_14:                               ; =>This Inner Loop Header: Depth=1
	s_sethalt 5
	s_branch .LBB5_14
.LBB5_15:
	s_trap 2
	s_sendmsg_rtn_b32 s0, sendmsg(MSG_RTN_GET_DOORBELL)
	s_mov_b32 ttmp2, m0
	s_waitcnt lgkmcnt(0)
	s_and_b32 s0, s0, 0x3ff
	s_delay_alu instid0(SALU_CYCLE_1) | instskip(NEXT) | instid1(SALU_CYCLE_1)
	s_bitset1_b32 s0, 10
	s_mov_b32 m0, s0
	s_sendmsg sendmsg(MSG_INTERRUPT)
	s_mov_b32 m0, ttmp2
.LBB5_16:                               ; =>This Inner Loop Header: Depth=1
	s_sethalt 5
	s_branch .LBB5_16
.LBB5_17:
	s_trap 2
	s_sendmsg_rtn_b32 s0, sendmsg(MSG_RTN_GET_DOORBELL)
	s_mov_b32 ttmp2, m0
	s_waitcnt lgkmcnt(0)
	s_and_b32 s0, s0, 0x3ff
	s_delay_alu instid0(SALU_CYCLE_1) | instskip(NEXT) | instid1(SALU_CYCLE_1)
	s_bitset1_b32 s0, 10
	s_mov_b32 m0, s0
	s_sendmsg sendmsg(MSG_INTERRUPT)
	s_mov_b32 m0, ttmp2
.LBB5_18:                               ; =>This Inner Loop Header: Depth=1
	s_sethalt 5
	s_branch .LBB5_18
.LBB5_19:
	s_trap 2
	s_sendmsg_rtn_b32 s0, sendmsg(MSG_RTN_GET_DOORBELL)
	s_mov_b32 ttmp2, m0
	s_waitcnt lgkmcnt(0)
	s_and_b32 s0, s0, 0x3ff
	s_delay_alu instid0(SALU_CYCLE_1) | instskip(NEXT) | instid1(SALU_CYCLE_1)
	s_bitset1_b32 s0, 10
	s_mov_b32 m0, s0
	s_sendmsg sendmsg(MSG_INTERRUPT)
	s_mov_b32 m0, ttmp2
.LBB5_20:                               ; =>This Inner Loop Header: Depth=1
	s_sethalt 5
	s_branch .LBB5_20
.Lfunc_end5:
	.size	_Z46ncclDevFunc_AllGather_RING_SIMPLE_Sum_i8_0_0_1v, .Lfunc_end5-_Z46ncclDevFunc_AllGather_RING_SIMPLE_Sum_i8_0_0_1v
                                        ; -- End function
	.section	.AMDGPU.csdata,"",@progbits
; Function info:
; codeLenInByte = 788
; NumSgprs: 47
; NumVgprs: 162
; ScratchSize: 96
; MemoryBound: 0
	.text
	.p2align	2                               ; -- Begin function _Z41ncclDevFunc_AllGather_PAT_LL_Sum_i8_0_0_1v
	.type	_Z41ncclDevFunc_AllGather_PAT_LL_Sum_i8_0_0_1v,@function
_Z41ncclDevFunc_AllGather_PAT_LL_Sum_i8_0_0_1v: ; @_Z41ncclDevFunc_AllGather_PAT_LL_Sum_i8_0_0_1v
; %bb.0:
	s_waitcnt vmcnt(0) expcnt(0) lgkmcnt(0)
	s_cbranch_execnz .LBB6_3
; %bb.1:
	ds_load_b32 v0, v0
	s_waitcnt lgkmcnt(0)
	v_cmp_gt_i32_e32 vcc_lo, 1, v0
	s_cbranch_vccnz .LBB6_13
; %bb.2:
	s_mov_b32 s0, 0
	s_branch .LBB6_6
.LBB6_3:
	s_trap 2
	s_sendmsg_rtn_b32 s0, sendmsg(MSG_RTN_GET_DOORBELL)
	s_mov_b32 ttmp2, m0
	s_waitcnt lgkmcnt(0)
	s_and_b32 s0, s0, 0x3ff
	s_delay_alu instid0(SALU_CYCLE_1) | instskip(NEXT) | instid1(SALU_CYCLE_1)
	s_bitset1_b32 s0, 10
	s_mov_b32 m0, s0
	s_sendmsg sendmsg(MSG_INTERRUPT)
	s_mov_b32 m0, ttmp2
.LBB6_4:                                ; =>This Inner Loop Header: Depth=1
	s_sethalt 5
	s_branch .LBB6_4
	.p2align	6
.LBB6_5:                                ;   in Loop: Header=BB6_6 Depth=1
	s_add_i32 s0, s0, 1
	s_waitcnt lgkmcnt(0)
	v_cmp_lt_i32_e32 vcc_lo, s0, v0
	s_cbranch_vccz .LBB6_13
.LBB6_6:                                ; =>This Inner Loop Header: Depth=1
	s_cmp_eq_u32 s0, 0
	s_cbranch_scc1 .LBB6_5
; %bb.7:                                ;   in Loop: Header=BB6_6 Depth=1
	s_cbranch_execnz .LBB6_11
; %bb.8:                                ;   in Loop: Header=BB6_6 Depth=1
	ds_load_b32 v1, v0
	s_waitcnt lgkmcnt(0)
	v_xor_b32_e32 v1, v1, v1
	s_delay_alu instid0(VALU_DEP_1) | instskip(NEXT) | instid1(VALU_DEP_1)
	v_and_b32_e32 v1, 0xff0000, v1
	v_cmp_eq_u32_e32 vcc_lo, 0, v1
	s_cbranch_vccnz .LBB6_5
; %bb.9:                                ;   in Loop: Header=BB6_6 Depth=1
	s_waitcnt_vscnt null, 0x0
	s_barrier
	buffer_gl0_inv
	s_cbranch_execnz .LBB6_14
; %bb.10:                               ;   in Loop: Header=BB6_6 Depth=1
	ds_load_b32 v0, v0
	s_branch .LBB6_5
.LBB6_11:
	s_trap 2
	s_sendmsg_rtn_b32 s0, sendmsg(MSG_RTN_GET_DOORBELL)
	s_mov_b32 ttmp2, m0
	s_waitcnt lgkmcnt(0)
	s_and_b32 s0, s0, 0x3ff
	s_delay_alu instid0(SALU_CYCLE_1) | instskip(NEXT) | instid1(SALU_CYCLE_1)
	s_bitset1_b32 s0, 10
	s_mov_b32 m0, s0
	s_sendmsg sendmsg(MSG_INTERRUPT)
	s_mov_b32 m0, ttmp2
.LBB6_12:                               ; =>This Inner Loop Header: Depth=1
	s_sethalt 5
	s_branch .LBB6_12
.LBB6_13:
	s_setpc_b64 s[30:31]
.LBB6_14:
	s_trap 2
	s_sendmsg_rtn_b32 s0, sendmsg(MSG_RTN_GET_DOORBELL)
	s_mov_b32 ttmp2, m0
	s_waitcnt lgkmcnt(0)
	s_and_b32 s0, s0, 0x3ff
	s_delay_alu instid0(SALU_CYCLE_1) | instskip(NEXT) | instid1(SALU_CYCLE_1)
	s_bitset1_b32 s0, 10
	s_mov_b32 m0, s0
	s_sendmsg sendmsg(MSG_INTERRUPT)
	s_mov_b32 m0, ttmp2
.LBB6_15:                               ; =>This Inner Loop Header: Depth=1
	s_sethalt 5
	s_branch .LBB6_15
.Lfunc_end6:
	.size	_Z41ncclDevFunc_AllGather_PAT_LL_Sum_i8_0_0_1v, .Lfunc_end6-_Z41ncclDevFunc_AllGather_PAT_LL_Sum_i8_0_0_1v
                                        ; -- End function
	.section	.AMDGPU.csdata,"",@progbits
; Function info:
; codeLenInByte = 292
; NumSgprs: 34
; NumVgprs: 2
; ScratchSize: 0
; MemoryBound: 0
	.text
	.p2align	2                               ; -- Begin function _Z45ncclDevFunc_AllGather_PAT_SIMPLE_Sum_i8_0_0_1v
	.type	_Z45ncclDevFunc_AllGather_PAT_SIMPLE_Sum_i8_0_0_1v,@function
_Z45ncclDevFunc_AllGather_PAT_SIMPLE_Sum_i8_0_0_1v: ; @_Z45ncclDevFunc_AllGather_PAT_SIMPLE_Sum_i8_0_0_1v
; %bb.0:
	s_waitcnt vmcnt(0) expcnt(0) lgkmcnt(0)
	s_or_saveexec_b32 s0, -1
	scratch_store_b32 off, v40, s32 offset:344 ; 4-byte Folded Spill
	s_mov_b32 exec_lo, s0
	v_writelane_b32 v40, s34, 0
	v_writelane_b32 v40, s30, 1
	;; [unrolled: 1-line block ×3, first 2 shown]
	s_cbranch_execnz .LBB7_425
; %bb.1:
	ds_load_b32 v0, v0
	s_waitcnt lgkmcnt(0)
	v_cmp_gt_i32_e32 vcc_lo, 1, v0
	s_cbranch_vccnz .LBB7_424
; %bb.2:
	s_load_b32 s0, s[8:9], 0x0
	v_dual_mov_b32 v8, 0 :: v_dual_and_b32 v35, 0x3ff, v31
	s_mov_b32 s18, 0
	s_delay_alu instid0(VALU_DEP_1) | instskip(SKIP_3) | instid1(VALU_DEP_4)
	v_and_b32_e32 v36, 31, v35
	v_cmp_eq_u32_e64 s2, 0x80, v35
	v_cmp_ne_u32_e64 s3, 0x80, v35
	v_cmp_gt_u32_e64 s4, 0x80, v35
	v_cmp_eq_u32_e64 s5, 0, v36
	s_waitcnt lgkmcnt(0)
	s_cmp_lt_u32 s12, s0
	s_cselect_b32 s0, 12, 18
	s_delay_alu instid0(SALU_CYCLE_1)
	s_add_u32 s0, s8, s0
	s_addc_u32 s1, s9, 0
	global_load_u16 v34, v8, s[0:1]
	v_cmp_gt_u32_e64 s0, 32, v35
	v_cmp_eq_u32_e64 s1, 0, v35
	s_cbranch_execnz .LBB7_427
; %bb.3:
	v_dual_mov_b32 v11, 1 :: v_dual_mov_b32 v38, 2
	v_dual_mov_b32 v37, -1 :: v_dual_mov_b32 v10, 4
	s_mov_b32 s19, s32
	s_mov_b32 s14, 0
	s_brev_b32 s15, 1
	s_addk_i32 s19, 0xd8
	s_mov_b64 s[16:17], src_shared_base
.LBB7_4:                                ; =>This Loop Header: Depth=1
                                        ;     Child Loop BB7_27 Depth 2
                                        ;     Child Loop BB7_36 Depth 2
	;; [unrolled: 1-line block ×4, first 2 shown]
                                        ;       Child Loop BB7_73 Depth 3
                                        ;       Child Loop BB7_83 Depth 3
	;; [unrolled: 1-line block ×12, first 2 shown]
                                        ;     Child Loop BB7_273 Depth 2
                                        ;     Child Loop BB7_286 Depth 2
	;; [unrolled: 1-line block ×6, first 2 shown]
                                        ;       Child Loop BB7_327 Depth 3
                                        ;       Child Loop BB7_387 Depth 3
	;; [unrolled: 1-line block ×4, first 2 shown]
	s_cbranch_execnz .LBB7_429
; %bb.5:                                ;   in Loop: Header=BB7_4 Depth=1
	ds_load_b32 v0, v0
	s_cmp_eq_u32 s18, 0
	s_waitcnt lgkmcnt(0)
	v_readfirstlane_b32 s8, v0
	s_cbranch_scc1 .LBB7_10
; %bb.6:                                ;   in Loop: Header=BB7_4 Depth=1
	s_cbranch_execnz .LBB7_431
; %bb.7:                                ;   in Loop: Header=BB7_4 Depth=1
	ds_load_b32 v0, v0
	s_waitcnt lgkmcnt(0)
	v_xor_b32_e32 v0, s8, v0
	s_delay_alu instid0(VALU_DEP_1) | instskip(NEXT) | instid1(VALU_DEP_1)
	v_and_b32_e32 v0, 0xff0000, v0
	v_cmp_eq_u32_e32 vcc_lo, 0, v0
	s_cbranch_vccnz .LBB7_10
; %bb.8:                                ;   in Loop: Header=BB7_4 Depth=1
	s_waitcnt vmcnt(0)
	s_waitcnt_vscnt null, 0x0
	s_barrier
	buffer_gl0_inv
	s_cbranch_execnz .LBB7_437
; %bb.9:                                ;   in Loop: Header=BB7_4 Depth=1
	ds_load_b32 v0, v0
	s_waitcnt lgkmcnt(0)
	v_readfirstlane_b32 s8, v0
.LBB7_10:                               ;   in Loop: Header=BB7_4 Depth=1
	s_delay_alu instid0(VALU_DEP_1) | instskip(SKIP_2) | instid1(SALU_CYCLE_1)
	s_lshr_b32 s6, s8, 11
	s_mov_b32 s16, exec_lo
	s_and_b32 s7, s6, 0x1fe0
	v_cmpx_gt_u32_e64 s7, v35
	s_cbranch_execz .LBB7_422
; %bb.11:                               ;   in Loop: Header=BB7_4 Depth=1
	s_cbranch_execnz .LBB7_435
; %bb.12:                               ;   in Loop: Header=BB7_4 Depth=1
	ds_load_2addr_b64 v[0:3], v0 offset1:1
	s_and_b32 s6, s8, 0xff
	s_bfe_u32 s10, s8, 0x80008
	s_not_b32 s9, s6
	s_delay_alu instid0(SALU_CYCLE_1) | instskip(NEXT) | instid1(SALU_CYCLE_1)
	s_add_i32 s11, s10, s9
	s_ashr_i32 s12, s11, 31
	s_waitcnt lgkmcnt(0)
	ds_load_b64 v[12:13], v0
	ds_load_b32 v4, v0
	v_mul_lo_u32 v5, v2, s12
	v_mul_hi_u32 v6, v2, s11
	v_mul_lo_u32 v7, v3, s11
	s_delay_alu instid0(VALU_DEP_2) | instskip(SKIP_1) | instid1(VALU_DEP_2)
	v_add_nc_u32_e32 v5, v6, v5
	v_mul_lo_u32 v6, v2, s11
	v_add_nc_u32_e32 v5, v5, v7
	s_waitcnt lgkmcnt(1)
	v_readfirstlane_b32 s21, v12
	s_waitcnt lgkmcnt(0)
	v_cmp_ne_u32_e32 vcc_lo, s6, v4
	s_delay_alu instid0(VALU_DEP_4)
	v_add_co_u32 v14, s6, v6, v0
	v_readfirstlane_b32 s20, v13
	v_add_co_ci_u32_e64 v15, s6, v5, v1, s6
	s_cbranch_vccz .LBB7_16
; %bb.13:                               ;   in Loop: Header=BB7_4 Depth=1
	v_cmp_ne_u32_e32 vcc_lo, s10, v4
	s_cbranch_vccz .LBB7_17
; %bb.14:                               ;   in Loop: Header=BB7_4 Depth=1
	s_cbranch_execnz .LBB7_443
; %bb.15:                               ;   in Loop: Header=BB7_4 Depth=1
	v_add_nc_u32_e32 v6, s9, v4
	ds_load_b64 v[4:5], v0
	s_mov_b32 s6, 0
	v_ashrrev_i32_e32 v7, 31, v6
	v_mul_hi_u32 v9, v2, v6
	v_mul_lo_u32 v16, v3, v6
	v_mul_lo_u32 v6, v2, v6
	s_delay_alu instid0(VALU_DEP_4) | instskip(NEXT) | instid1(VALU_DEP_1)
	v_mul_lo_u32 v7, v2, v7
	v_add_nc_u32_e32 v7, v9, v7
	s_delay_alu instid0(VALU_DEP_1) | instskip(SKIP_3) | instid1(VALU_DEP_3)
	v_add_nc_u32_e32 v7, v7, v16
	s_waitcnt lgkmcnt(0)
	v_lshrrev_b64 v[16:17], 12, v[4:5]
	v_add_co_u32 v4, vcc_lo, v6, v0
	v_add_co_ci_u32_e32 v5, vcc_lo, v7, v1, vcc_lo
	s_branch .LBB7_18
.LBB7_16:                               ;   in Loop: Header=BB7_4 Depth=1
	s_mov_b32 s6, -1
                                        ; implicit-def: $vgpr16_vgpr17
                                        ; implicit-def: $vgpr4_vgpr5
	s_branch .LBB7_22
.LBB7_17:                               ;   in Loop: Header=BB7_4 Depth=1
	s_mov_b32 s6, -1
                                        ; implicit-def: $vgpr16_vgpr17
                                        ; implicit-def: $vgpr4_vgpr5
.LBB7_18:                               ;   in Loop: Header=BB7_4 Depth=1
	s_delay_alu instid0(SALU_CYCLE_1)
	s_and_not1_b32 vcc_lo, exec_lo, s6
	s_cbranch_vccnz .LBB7_21
; %bb.19:                               ;   in Loop: Header=BB7_4 Depth=1
	s_cbranch_execnz .LBB7_447
; %bb.20:                               ;   in Loop: Header=BB7_4 Depth=1
	ds_load_b32 v2, v0
	v_dual_mov_b32 v4, v14 :: v_dual_mov_b32 v5, v15
	s_waitcnt lgkmcnt(0)
	v_lshrrev_b32_e32 v16, 1, v2
	v_dual_mov_b32 v2, v12 :: v_dual_mov_b32 v3, v13
.LBB7_21:                               ;   in Loop: Header=BB7_4 Depth=1
	s_mov_b32 s6, 0
.LBB7_22:                               ;   in Loop: Header=BB7_4 Depth=1
	s_delay_alu instid0(SALU_CYCLE_1)
	s_and_not1_b32 vcc_lo, exec_lo, s6
	s_cbranch_vccnz .LBB7_25
; %bb.23:                               ;   in Loop: Header=BB7_4 Depth=1
	s_cbranch_execnz .LBB7_439
; %bb.24:                               ;   in Loop: Header=BB7_4 Depth=1
	ds_load_b64 v[2:3], v0
	v_mov_b32_e32 v4, 0
	v_mov_b32_e32 v5, 0
	s_waitcnt lgkmcnt(0)
	v_lshlrev_b64 v[16:17], 9, v[2:3]
	v_dual_mov_b32 v3, v1 :: v_dual_mov_b32 v2, v0
.LBB7_25:                               ;   in Loop: Header=BB7_4 Depth=1
	s_waitcnt vmcnt(0)
	s_waitcnt_vscnt null, 0x0
	s_barrier
	buffer_gl0_inv
	s_and_saveexec_b32 s6, s0
	s_cbranch_execz .LBB7_28
; %bb.26:                               ;   in Loop: Header=BB7_4 Depth=1
	v_mov_b32_e32 v0, v35
	s_bfe_u32 s8, s8, 0x80010
	s_mov_b32 s9, 0
	s_mulk_i32 s8, 0x700
                                        ; implicit-def: $vgpr1
.LBB7_27:                               ;   Parent Loop BB7_4 Depth=1
                                        ; =>  This Inner Loop Header: Depth=2
	s_delay_alu instid0(VALU_DEP_1) | instskip(SKIP_4) | instid1(SALU_CYCLE_1)
	v_add_nc_u32_e32 v0, s7, v0
	ds_store_b32 v1, v8
	v_add_nc_u32_e32 v1, s8, v1
	v_cmp_lt_u32_e32 vcc_lo, 31, v0
	s_or_b32 s9, vcc_lo, s9
	s_and_not1_b32 exec_lo, exec_lo, s9
	s_cbranch_execnz .LBB7_27
.LBB7_28:                               ;   in Loop: Header=BB7_4 Depth=1
	s_or_b32 exec_lo, exec_lo, s6
	s_and_saveexec_b32 s6, s1
	s_cbranch_execz .LBB7_30
; %bb.29:                               ;   in Loop: Header=BB7_4 Depth=1
	v_mov_b32_e32 v9, v8
	ds_store_b64 v0, v[8:9]
	s_cbranch_execnz .LBB7_441
.LBB7_30:                               ;   in Loop: Header=BB7_4 Depth=1
	s_or_b32 exec_lo, exec_lo, s6
	s_and_saveexec_b32 s6, s2
	s_cbranch_execz .LBB7_32
; %bb.31:                               ;   in Loop: Header=BB7_4 Depth=1
	ds_store_b32 v0, v8
	s_cbranch_execnz .LBB7_445
.LBB7_32:                               ;   in Loop: Header=BB7_4 Depth=1
	s_or_b32 exec_lo, exec_lo, s6
	s_waitcnt lgkmcnt(0)
	s_barrier
	buffer_gl0_inv
	s_and_saveexec_b32 s6, s3
	s_delay_alu instid0(SALU_CYCLE_1)
	s_xor_b32 s22, exec_lo, s6
	s_cbranch_execz .LBB7_298
; %bb.33:                               ;   in Loop: Header=BB7_4 Depth=1
	s_and_saveexec_b32 s23, s4
	s_cbranch_execz .LBB7_297
; %bb.34:                               ;   in Loop: Header=BB7_4 Depth=1
	s_cbranch_execnz .LBB7_453
; %bb.35:                               ;   in Loop: Header=BB7_4 Depth=1
	ds_load_b128 v[0:3], v0
	s_mov_b32 s6, 0
.LBB7_36:                               ;   Parent Loop BB7_4 Depth=1
                                        ; =>  This Inner Loop Header: Depth=2
	s_cbranch_execnz .LBB7_455
; %bb.37:                               ;   in Loop: Header=BB7_36 Depth=2
	v_mov_b32_e32 v9, v8
	flat_load_b32 v4, v[8:9] glc dlc
	s_waitcnt vmcnt(0) lgkmcnt(0)
	v_cmp_ne_u32_e32 vcc_lo, 0, v4
	s_or_b32 s6, vcc_lo, s6
	s_delay_alu instid0(SALU_CYCLE_1)
	s_and_not1_b32 exec_lo, exec_lo, s6
	s_cbranch_execnz .LBB7_36
; %bb.38:                               ;   in Loop: Header=BB7_4 Depth=1
	s_or_b32 exec_lo, exec_lo, s6
	v_lshlrev_b32_e32 v5, 5, v4
	v_bfe_i32 v4, v4, 26, 1
	s_delay_alu instid0(VALU_DEP_2) | instskip(NEXT) | instid1(VALU_DEP_1)
	v_sub_nc_u32_e32 v6, 0, v5
	v_max_i32_e32 v5, v5, v6
	s_delay_alu instid0(VALU_DEP_1) | instskip(SKIP_1) | instid1(VALU_DEP_2)
	v_cvt_f32_u32_e32 v6, v5
	v_sub_nc_u32_e32 v7, 0, v5
	v_rcp_iflag_f32_e32 v6, v6
	s_waitcnt_depctr 0xfff
	v_mul_f32_e32 v6, 0x4f7ffffe, v6
	s_delay_alu instid0(VALU_DEP_1) | instskip(NEXT) | instid1(VALU_DEP_1)
	v_cvt_u32_f32_e32 v6, v6
	v_mul_lo_u32 v7, v7, v6
	s_delay_alu instid0(VALU_DEP_1) | instskip(NEXT) | instid1(VALU_DEP_1)
	v_mul_hi_u32 v7, v6, v7
	v_add_nc_u32_e32 v6, v6, v7
	s_delay_alu instid0(VALU_DEP_1) | instskip(NEXT) | instid1(VALU_DEP_1)
	v_lshrrev_b32_e32 v6, 25, v6
	v_mul_lo_u32 v7, v6, v5
	v_add_nc_u32_e32 v9, 1, v6
	s_delay_alu instid0(VALU_DEP_2) | instskip(NEXT) | instid1(VALU_DEP_1)
	v_sub_nc_u32_e32 v7, 0x80, v7
	v_sub_nc_u32_e32 v12, v7, v5
	v_cmp_ge_u32_e32 vcc_lo, v7, v5
	s_delay_alu instid0(VALU_DEP_2) | instskip(NEXT) | instid1(VALU_DEP_1)
	v_dual_cndmask_b32 v6, v6, v9 :: v_dual_cndmask_b32 v7, v7, v12
	v_add_nc_u32_e32 v9, 1, v6
	s_delay_alu instid0(VALU_DEP_2) | instskip(NEXT) | instid1(VALU_DEP_2)
	v_cmp_ge_u32_e32 vcc_lo, v7, v5
	v_cndmask_b32_e32 v5, v6, v9, vcc_lo
	s_delay_alu instid0(VALU_DEP_1) | instskip(NEXT) | instid1(VALU_DEP_1)
	v_xor_b32_e32 v5, v5, v4
	v_sub_nc_u32_e32 v12, v5, v4
	s_delay_alu instid0(VALU_DEP_1) | instskip(NEXT) | instid1(VALU_DEP_1)
	v_lshlrev_b32_e32 v39, 5, v12
	v_sub_nc_u32_e32 v4, 0, v39
	s_delay_alu instid0(VALU_DEP_1) | instskip(NEXT) | instid1(VALU_DEP_1)
	v_max_i32_e32 v16, v39, v4
	v_cvt_f32_u32_e32 v4, v16
	v_sub_nc_u32_e32 v5, 0, v16
	s_delay_alu instid0(VALU_DEP_2) | instskip(SKIP_2) | instid1(VALU_DEP_1)
	v_rcp_iflag_f32_e32 v4, v4
	s_waitcnt_depctr 0xfff
	v_mul_f32_e32 v4, 0x4f7ffffe, v4
	v_cvt_u32_f32_e32 v4, v4
	s_delay_alu instid0(VALU_DEP_1) | instskip(NEXT) | instid1(VALU_DEP_1)
	v_mul_lo_u32 v5, v5, v4
	v_mul_hi_u32 v5, v4, v5
	s_delay_alu instid0(VALU_DEP_1) | instskip(NEXT) | instid1(VALU_DEP_1)
	v_add_nc_u32_e32 v19, v4, v5
	v_mul_hi_u32 v4, v35, v19
	s_delay_alu instid0(VALU_DEP_1) | instskip(NEXT) | instid1(VALU_DEP_1)
	v_mul_lo_u32 v5, v4, v16
	v_sub_nc_u32_e32 v5, v35, v5
	s_delay_alu instid0(VALU_DEP_1) | instskip(SKIP_1) | instid1(VALU_DEP_1)
	v_sub_nc_u32_e32 v6, v5, v16
	v_cmp_ge_u32_e64 s6, v5, v16
	v_cndmask_b32_e64 v5, v5, v6, s6
	s_delay_alu instid0(VALU_DEP_1)
	v_cmp_ge_u32_e32 vcc_lo, v5, v16
	s_cbranch_execnz .LBB7_457
; %bb.39:                               ;   in Loop: Header=BB7_4 Depth=1
	v_add_nc_u32_e32 v5, 1, v4
	v_bfe_i32 v17, v12, 26, 1
	v_mov_b32_e32 v9, 0x800
	s_delay_alu instid0(VALU_DEP_3) | instskip(SKIP_1) | instid1(VALU_DEP_1)
	v_cndmask_b32_e64 v4, v4, v5, s6
	s_mov_b32 s6, exec_lo
	v_add_nc_u32_e32 v5, 1, v4
	s_delay_alu instid0(VALU_DEP_1) | instskip(NEXT) | instid1(VALU_DEP_1)
	v_cndmask_b32_e32 v4, v4, v5, vcc_lo
	v_xor_b32_e32 v4, v4, v17
	s_delay_alu instid0(VALU_DEP_1) | instskip(SKIP_2) | instid1(VALU_DEP_1)
	v_sub_nc_u32_e32 v48, v4, v17
	ds_load_b64 v[4:5], v0
	v_mul_lo_u32 v18, v48, v39
	v_sub_nc_u32_e32 v13, v35, v18
	s_delay_alu instid0(VALU_DEP_1)
	v_cmpx_gt_i32_e32 5, v13
	s_cbranch_execz .LBB7_41
; %bb.40:                               ;   in Loop: Header=BB7_4 Depth=1
	v_ashrrev_i32_e32 v14, 31, v13
	s_getpc_b64 s[8:9]
	s_add_u32 s8, s8, __const.Primitives.roles@rel32@lo+4
	s_addc_u32 s9, s9, __const.Primitives.roles@rel32@hi+12
	s_delay_alu instid0(VALU_DEP_1) | instskip(NEXT) | instid1(VALU_DEP_1)
	v_lshlrev_b64 v[6:7], 2, v[13:14]
	v_add_co_u32 v6, vcc_lo, v6, s8
	s_delay_alu instid0(VALU_DEP_2)
	v_add_co_ci_u32_e32 v7, vcc_lo, s9, v7, vcc_lo
	global_load_b32 v6, v[6:7], off
	s_waitcnt vmcnt(0)
	v_or_b32_e32 v9, 0x800, v6
.LBB7_41:                               ;   in Loop: Header=BB7_4 Depth=1
	s_or_b32 exec_lo, exec_lo, s6
	ds_load_b32 v6, v0
	s_cbranch_execnz .LBB7_459
; %bb.42:                               ;   in Loop: Header=BB7_4 Depth=1
	v_lshlrev_b64 v[14:15], v13, 1
	s_waitcnt lgkmcnt(0)
	v_ashrrev_i32_e32 v7, 31, v6
	v_cmp_gt_i32_e64 s6, 32, v13
	s_delay_alu instid0(VALU_DEP_2) | instskip(NEXT) | instid1(VALU_DEP_2)
	v_cmp_lt_u64_e32 vcc_lo, v[14:15], v[6:7]
	s_and_b32 s7, s6, vcc_lo
	s_delay_alu instid0(SALU_CYCLE_1)
	s_and_saveexec_b32 s6, s7
	s_cbranch_execz .LBB7_45
; %bb.43:                               ;   in Loop: Header=BB7_4 Depth=1
	v_cvt_f32_u32_e32 v7, v6
	s_delay_alu instid0(VALU_DEP_1)
	v_rcp_iflag_f32_e32 v7, v7
	s_waitcnt_depctr 0xfff
	v_mul_f32_e32 v14, 0x4f7ffffe, v7
	ds_load_b32 v7, v0
	v_cvt_u32_f32_e32 v15, v14
	v_sub_nc_u32_e32 v14, 0, v6
	s_delay_alu instid0(VALU_DEP_1) | instskip(NEXT) | instid1(VALU_DEP_1)
	v_mul_lo_u32 v14, v14, v15
	v_mul_hi_u32 v20, v15, v14
	v_lshlrev_b32_e64 v14, v13, 1
	s_waitcnt lgkmcnt(0)
	s_delay_alu instid0(VALU_DEP_1) | instskip(NEXT) | instid1(VALU_DEP_3)
	v_add_nc_u32_e32 v21, v7, v14
	v_add_nc_u32_e32 v15, v15, v20
	s_delay_alu instid0(VALU_DEP_1) | instskip(NEXT) | instid1(VALU_DEP_1)
	v_mul_hi_u32 v20, v21, v15
	v_mul_lo_u32 v20, v20, v6
	s_delay_alu instid0(VALU_DEP_1) | instskip(NEXT) | instid1(VALU_DEP_1)
	v_sub_nc_u32_e32 v20, v21, v20
	v_sub_nc_u32_e32 v21, v20, v6
	v_cmp_ge_u32_e32 vcc_lo, v20, v6
	s_delay_alu instid0(VALU_DEP_2) | instskip(NEXT) | instid1(VALU_DEP_1)
	v_cndmask_b32_e32 v20, v20, v21, vcc_lo
	v_cmp_ge_u32_e32 vcc_lo, v20, v6
	s_cbranch_execnz .LBB7_463
; %bb.44:                               ;   in Loop: Header=BB7_4 Depth=1
	v_sub_nc_u32_e32 v21, v20, v6
	ds_load_b64 v[24:25], v0
	v_sub_nc_u32_e32 v14, v6, v14
	s_mov_b32 s8, s14
	s_mov_b32 s9, s14
	s_delay_alu instid0(VALU_DEP_1) | instskip(NEXT) | instid1(VALU_DEP_1)
	v_dual_cndmask_b32 v20, v20, v21 :: v_dual_add_nc_u32 v7, v14, v7
	v_ashrrev_i32_e32 v21, 31, v20
	s_delay_alu instid0(VALU_DEP_2) | instskip(NEXT) | instid1(VALU_DEP_2)
	v_mul_hi_u32 v14, v7, v15
	v_lshlrev_b64 v[20:21], 3, v[20:21]
	s_delay_alu instid0(VALU_DEP_2) | instskip(SKIP_1) | instid1(VALU_DEP_2)
	v_mul_lo_u32 v14, v14, v6
	s_waitcnt lgkmcnt(0)
	v_add_co_u32 v20, vcc_lo, v24, v20
	s_delay_alu instid0(VALU_DEP_3) | instskip(NEXT) | instid1(VALU_DEP_3)
	v_add_co_ci_u32_e32 v21, vcc_lo, v25, v21, vcc_lo
	v_sub_nc_u32_e32 v7, v7, v14
	flat_load_b64 v[26:27], v[20:21]
	v_sub_nc_u32_e32 v14, v7, v6
	s_waitcnt vmcnt(0) lgkmcnt(0)
	v_add_co_u32 v20, vcc_lo, 0x1f8, v26
	v_add_co_ci_u32_e32 v21, vcc_lo, 0, v27, vcc_lo
	v_cmp_ge_u32_e32 vcc_lo, v7, v6
	ds_store_b64 v0, v[20:21]
	s_clause 0x1
	flat_load_b64 v[20:21], v[26:27] offset:520
	flat_load_b64 v[28:29], v[26:27] offset:608
	v_cndmask_b32_e32 v7, v7, v14, vcc_lo
	s_delay_alu instid0(VALU_DEP_1) | instskip(SKIP_1) | instid1(VALU_DEP_2)
	v_sub_nc_u32_e32 v14, v7, v6
	v_cmp_ge_u32_e32 vcc_lo, v7, v6
	v_cndmask_b32_e32 v6, v7, v14, vcc_lo
	s_waitcnt vmcnt(1) lgkmcnt(1)
	ds_store_b64 v0, v[20:21]
	flat_load_b128 v[20:23], v[26:27] offset:552
	s_waitcnt vmcnt(1) lgkmcnt(2)
	ds_store_b64 v0, v[28:29]
	s_waitcnt vmcnt(0) lgkmcnt(1)
	ds_store_b64 v0, v[20:21]
	flat_load_b64 v[14:15], v[20:21] glc
	v_mov_b32_e32 v21, s9
	v_ashrrev_i32_e32 v7, 31, v6
	ds_store_b64 v0, v[22:23]
	v_mov_b32_e32 v20, s8
	v_lshlrev_b64 v[6:7], 3, v[6:7]
	s_delay_alu instid0(VALU_DEP_1) | instskip(NEXT) | instid1(VALU_DEP_2)
	v_add_co_u32 v6, vcc_lo, v24, v6
	v_add_co_ci_u32_e32 v7, vcc_lo, v25, v7, vcc_lo
	flat_load_b64 v[6:7], v[6:7]
	s_waitcnt vmcnt(0) lgkmcnt(0)
	flat_load_b64 v[22:23], v[6:7] offset:104
	flat_load_b32 v26, v[26:27] offset:576
	s_waitcnt vmcnt(1) lgkmcnt(1)
	ds_store_2addr_b64 v0, v[22:23], v[6:7] offset1:1
	flat_load_b64 v[22:23], v[6:7] offset:96
	s_waitcnt vmcnt(0) lgkmcnt(0)
	ds_store_b64 v0, v[22:23]
	s_clause 0x1
	flat_load_b64 v[22:23], v[6:7] offset:16
	flat_load_b64 v[24:25], v[6:7] offset:56
	ds_store_b64 v0, v[14:15]
	ds_store_b64 v0, v[20:21]
	ds_store_b32 v0, v26
	s_waitcnt vmcnt(0) lgkmcnt(3)
	ds_store_2addr_b64 v0, v[22:23], v[24:25] offset1:1
	flat_load_b64 v[14:15], v[24:25] glc
	flat_load_b64 v[22:23], v[6:7] offset:48
	s_waitcnt vmcnt(0) lgkmcnt(0)
	ds_store_2addr_b64 v0, v[22:23], v[14:15] offset1:1
	flat_load_b32 v6, v[6:7] offset:72
	ds_store_b64 v0, v[20:21]
	s_waitcnt vmcnt(0) lgkmcnt(1)
	ds_store_b32 v0, v6
.LBB7_45:                               ;   in Loop: Header=BB7_4 Depth=1
	s_or_b32 exec_lo, exec_lo, s6
	s_cbranch_execnz .LBB7_461
; %bb.46:                               ;   in Loop: Header=BB7_4 Depth=1
	s_mov_b32 s6, exec_lo
	v_cmpx_eq_u32_e32 0, v13
	s_cbranch_execz .LBB7_48
; %bb.47:                               ;   in Loop: Header=BB7_4 Depth=1
	ds_store_2addr_b64 v0, v[2:3], v[0:1] offset0:14 offset1:15
	ds_store_b64 v0, v[4:5]
	s_cbranch_execnz .LBB7_467
.LBB7_48:                               ;   in Loop: Header=BB7_4 Depth=1
	s_or_b32 exec_lo, exec_lo, s6
	v_cmp_ne_u32_e64 s6, v39, v34
                                        ; implicit-def: $vgpr14_vgpr15
                                        ; implicit-def: $vgpr0
	s_delay_alu instid0(VALU_DEP_1) | instskip(NEXT) | instid1(SALU_CYCLE_1)
	s_and_saveexec_b32 s7, s6
	s_xor_b32 s7, exec_lo, s7
	s_cbranch_execz .LBB7_67
; %bb.49:                               ;   in Loop: Header=BB7_4 Depth=1
	v_mov_b32_e32 v14, 0
	v_dual_mov_b32 v15, 0 :: v_dual_mov_b32 v0, v36
	s_and_saveexec_b32 s8, s5
	s_cbranch_execz .LBB7_66
; %bb.50:                               ;   in Loop: Header=BB7_4 Depth=1
	s_mov_b32 s10, exec_lo
	s_mov_b32 s9, exec_lo
	v_mbcnt_lo_u32_b32 v0, s10, 0
	s_waitcnt lgkmcnt(0)
	buffer_gl1_inv
	buffer_gl0_inv
	v_cmpx_eq_u32_e32 0, v0
	s_cbranch_execz .LBB7_52
; %bb.51:                               ;   in Loop: Header=BB7_4 Depth=1
	s_bcnt1_i32_b32 s10, s10
	s_delay_alu instid0(SALU_CYCLE_1)
	v_dual_mov_b32 v1, v8 :: v_dual_mov_b32 v0, s10
	ds_add_u64 v0, v[0:1]
	s_cbranch_execnz .LBB7_473
.LBB7_52:                               ;   in Loop: Header=BB7_4 Depth=1
	s_or_b32 exec_lo, exec_lo, s9
	s_cbranch_execnz .LBB7_471
; %bb.53:                               ;   in Loop: Header=BB7_4 Depth=1
	ds_load_b64 v[0:1], v0
	s_waitcnt lgkmcnt(0)
	v_cmp_lt_u64_e32 vcc_lo, 3, v[0:1]
	s_cbranch_vccnz .LBB7_65
; %bb.54:                               ;   in Loop: Header=BB7_4 Depth=1
	s_mov_b32 s9, 0
	s_mov_b32 s12, 0
                                        ; implicit-def: $sgpr10
                                        ; implicit-def: $sgpr11
	s_branch .LBB7_56
.LBB7_55:                               ;   in Loop: Header=BB7_56 Depth=2
	s_or_b32 exec_lo, exec_lo, s25
	s_delay_alu instid0(SALU_CYCLE_1) | instskip(NEXT) | instid1(SALU_CYCLE_1)
	s_and_b32 s13, exec_lo, s24
	s_or_b32 s9, s13, s9
	s_and_not1_b32 s10, s10, exec_lo
	s_and_b32 s13, s11, exec_lo
	s_delay_alu instid0(SALU_CYCLE_1)
	s_or_b32 s10, s10, s13
	s_and_not1_b32 exec_lo, exec_lo, s9
	s_cbranch_execz .LBB7_62
.LBB7_56:                               ;   Parent Loop BB7_4 Depth=1
                                        ; =>  This Inner Loop Header: Depth=2
	s_add_i32 s12, s12, 1
                                        ; implicit-def: $sgpr24
	s_delay_alu instid0(SALU_CYCLE_1) | instskip(SKIP_1) | instid1(SALU_CYCLE_1)
	s_cmpk_lg_i32 s12, 0x2710
	s_cselect_b32 s13, -1, 0
	s_and_b32 vcc_lo, exec_lo, s13
	s_cbranch_vccz .LBB7_60
.LBB7_57:                               ;   in Loop: Header=BB7_56 Depth=2
	s_and_not1_b32 s11, s11, exec_lo
	s_and_b32 s25, s24, exec_lo
	s_mov_b32 s24, -1
	s_or_b32 s11, s11, s25
	s_and_saveexec_b32 s25, s13
	s_cbranch_execz .LBB7_55
; %bb.58:                               ;   in Loop: Header=BB7_56 Depth=2
	s_sleep 1
	s_cbranch_execnz .LBB7_477
; %bb.59:                               ;   in Loop: Header=BB7_56 Depth=2
	ds_load_b64 v[0:1], v0
	s_and_not1_b32 s11, s11, exec_lo
	s_waitcnt lgkmcnt(0)
	v_cmp_lt_u64_e32 vcc_lo, 3, v[0:1]
	s_or_not1_b32 s24, vcc_lo, exec_lo
	s_branch .LBB7_55
.LBB7_60:                               ;   in Loop: Header=BB7_56 Depth=2
	s_cbranch_execnz .LBB7_479
; %bb.61:                               ;   in Loop: Header=BB7_56 Depth=2
	ds_load_b64 v[0:1], v0
	s_and_not1_b32 s13, s13, exec_lo
	s_mov_b32 s12, 0
	s_mov_b32 s24, -1
	s_waitcnt lgkmcnt(0)
	flat_load_b32 v0, v[0:1] glc
	s_waitcnt vmcnt(0) lgkmcnt(0)
	buffer_gl1_inv
	buffer_gl0_inv
	v_cmp_eq_u32_e32 vcc_lo, 0, v0
	s_and_b32 s25, vcc_lo, exec_lo
	s_delay_alu instid0(SALU_CYCLE_1)
	s_or_b32 s13, s13, s25
	s_branch .LBB7_57
.LBB7_62:                               ;   in Loop: Header=BB7_4 Depth=1
	s_or_b32 exec_lo, exec_lo, s9
	s_and_saveexec_b32 s9, s10
	s_delay_alu instid0(SALU_CYCLE_1)
	s_xor_b32 s9, exec_lo, s9
	s_cbranch_execz .LBB7_64
; %bb.63:                               ;   in Loop: Header=BB7_4 Depth=1
	ds_store_b32 v0, v11
	s_cbranch_execnz .LBB7_515
.LBB7_64:                               ;   in Loop: Header=BB7_4 Depth=1
	s_or_b32 exec_lo, exec_lo, s9
.LBB7_65:                               ;   in Loop: Header=BB7_4 Depth=1
	v_mov_b32_e32 v14, 4
	v_dual_mov_b32 v15, 0 :: v_dual_mov_b32 v0, 0
	;;#ASMSTART
	s_wakeup
	;;#ASMEND
.LBB7_66:                               ;   in Loop: Header=BB7_4 Depth=1
	s_or_b32 exec_lo, exec_lo, s8
.LBB7_67:                               ;   in Loop: Header=BB7_4 Depth=1
	s_and_not1_saveexec_b32 s7, s7
	s_cbranch_execz .LBB7_69
; %bb.68:                               ;   in Loop: Header=BB7_4 Depth=1
	v_mov_b32_e32 v14, 0
	v_dual_mov_b32 v15, 0 :: v_dual_mov_b32 v0, v36
	s_waitcnt lgkmcnt(0)
	buffer_gl1_inv
	buffer_gl0_inv
	s_barrier
.LBB7_69:                               ;   in Loop: Header=BB7_4 Depth=1
	s_or_b32 exec_lo, exec_lo, s7
	v_lshrrev_b32_e32 v1, 25, v19
	v_cmp_eq_u32_e64 s7, 0, v0
	s_mov_b32 s24, 0
	s_delay_alu instid0(VALU_DEP_2) | instskip(NEXT) | instid1(VALU_DEP_1)
	v_mul_lo_u32 v2, v1, v16
	v_sub_nc_u32_e32 v2, 0x80, v2
	s_delay_alu instid0(VALU_DEP_1) | instskip(SKIP_1) | instid1(VALU_DEP_1)
	v_sub_nc_u32_e32 v3, v2, v16
	v_cmp_ge_u32_e64 s8, v2, v16
	v_cndmask_b32_e64 v2, v2, v3, s8
	s_delay_alu instid0(VALU_DEP_1)
	v_cmp_ge_u32_e32 vcc_lo, v2, v16
	s_cbranch_execnz .LBB7_465
; %bb.70:                               ;   in Loop: Header=BB7_4 Depth=1
	v_ashrrev_i32_e32 v0, 31, v13
	v_add_nc_u32_e32 v2, 1, v1
	v_lshlrev_b32_e32 v49, 10, v12
	v_lshlrev_b32_e32 v50, 9, v12
	;; [unrolled: 1-line block ×3, first 2 shown]
	v_lshrrev_b32_e32 v0, 27, v0
	v_cndmask_b32_e64 v1, v1, v2, s8
	v_subrev_nc_u32_e32 v2, 32, v39
	v_add_nc_u32_e32 v5, 0xfffffe00, v50
	v_cmp_eq_u32_e64 s9, v35, v18
	v_add_nc_u32_e32 v0, v13, v0
	v_add_nc_u32_e32 v3, 1, v1
	v_ashrrev_i32_e32 v71, 31, v49
	v_ashrrev_i32_e32 v7, 31, v5
	;; [unrolled: 1-line block ×3, first 2 shown]
	s_delay_alu instid0(VALU_DEP_4) | instskip(SKIP_3) | instid1(VALU_DEP_4)
	v_dual_cndmask_b32 v1, v1, v3 :: v_dual_and_b32 v4, 0xffffffe0, v0
	v_ashrrev_i32_e32 v52, 5, v0
	v_add_nc_u32_e32 v0, 0xfffffc00, v49
	v_ashrrev_i32_e32 v81, 31, v51
	v_sub_nc_u32_e32 v53, v13, v4
	v_add_nc_u32_e32 v4, 0xffffff00, v51
	v_lshlrev_b32_e32 v3, 10, v52
	v_ashrrev_i32_e32 v6, 31, v0
	v_add_co_u32 v54, vcc_lo, 0x400, v0
	v_xor_b32_e32 v1, v1, v17
	v_ashrrev_i32_e32 v0, 31, v4
	s_delay_alu instid0(VALU_DEP_4)
	v_add_co_ci_u32_e32 v55, vcc_lo, 0, v6, vcc_lo
	v_add_co_u32 v65, vcc_lo, 0x200, v5
	v_add_co_ci_u32_e32 v66, vcc_lo, 0, v7, vcc_lo
	v_lshl_add_u32 v16, v53, 4, v3
	v_sub_nc_u32_e32 v64, v1, v17
	v_ashrrev_i32_e32 v1, 31, v2
	v_add_co_u32 v67, vcc_lo, 0x100, v4
	v_add_co_ci_u32_e32 v68, vcc_lo, 0, v0, vcc_lo
	v_add_co_u32 v69, vcc_lo, v2, 32
	v_cmp_gt_i32_e64 s8, 1, v53
	v_ashrrev_i32_e32 v17, 31, v16
	v_add_co_ci_u32_e32 v70, vcc_lo, 0, v1, vcc_lo
	v_ashrrev_i32_e32 v82, 31, v39
                                        ; implicit-def: $vgpr18_vgpr19
.LBB7_71:                               ;   Parent Loop BB7_4 Depth=1
                                        ; =>  This Loop Header: Depth=2
                                        ;       Child Loop BB7_73 Depth 3
                                        ;       Child Loop BB7_83 Depth 3
	;; [unrolled: 1-line block ×12, first 2 shown]
	s_cbranch_execnz .LBB7_469
; %bb.72:                               ;   in Loop: Header=BB7_71 Depth=2
	s_mov_b32 s10, 0
.LBB7_73:                               ;   Parent Loop BB7_4 Depth=1
                                        ;     Parent Loop BB7_71 Depth=2
                                        ; =>    This Inner Loop Header: Depth=3
	ds_load_b32 v0, v0 offset:36
	s_waitcnt lgkmcnt(0)
	v_cmp_ne_u32_e32 vcc_lo, 0, v0
	s_or_b32 s10, vcc_lo, s10
	s_delay_alu instid0(SALU_CYCLE_1)
	s_and_not1_b32 exec_lo, exec_lo, s10
	s_cbranch_execnz .LBB7_73
; %bb.74:                               ;   in Loop: Header=BB7_71 Depth=2
	s_or_b32 exec_lo, exec_lo, s10
	ds_load_b32 v83, v0 offset:32
	v_and_b32_e32 v0, 2, v0
	s_mov_b32 s10, exec_lo
	s_delay_alu instid0(VALU_DEP_1)
	v_cmpx_ne_u32_e32 0, v0
	s_xor_b32 s10, exec_lo, s10
	s_cbranch_execz .LBB7_116
; %bb.75:                               ;   in Loop: Header=BB7_71 Depth=2
	s_and_saveexec_b32 s11, s6
	s_delay_alu instid0(SALU_CYCLE_1)
	s_xor_b32 s11, exec_lo, s11
	s_cbranch_execz .LBB7_93
; %bb.76:                               ;   in Loop: Header=BB7_71 Depth=2
	s_and_saveexec_b32 s12, s7
	s_cbranch_execz .LBB7_92
; %bb.77:                               ;   in Loop: Header=BB7_71 Depth=2
	s_mov_b32 s25, exec_lo
	s_mov_b32 s13, exec_lo
	v_mbcnt_lo_u32_b32 v0, s25, 0
	s_waitcnt lgkmcnt(0)
	buffer_gl1_inv
	buffer_gl0_inv
	v_cmpx_eq_u32_e32 0, v0
	s_cbranch_execz .LBB7_79
; %bb.78:                               ;   in Loop: Header=BB7_71 Depth=2
	s_bcnt1_i32_b32 s25, s25
	s_delay_alu instid0(SALU_CYCLE_1)
	v_dual_mov_b32 v1, v8 :: v_dual_mov_b32 v0, s25
	ds_add_u64 v0, v[0:1]
	s_cbranch_execnz .LBB7_493
.LBB7_79:                               ;   in Loop: Header=BB7_71 Depth=2
	s_or_b32 exec_lo, exec_lo, s13
	s_cbranch_execnz .LBB7_485
; %bb.80:                               ;   in Loop: Header=BB7_71 Depth=2
	ds_load_b64 v[0:1], v0
	v_add_co_u32 v14, vcc_lo, v14, 4
	v_add_co_ci_u32_e32 v15, vcc_lo, 0, v15, vcc_lo
	s_mov_b32 s13, exec_lo
	s_waitcnt lgkmcnt(0)
	s_delay_alu instid0(VALU_DEP_1)
	v_cmpx_lt_u64_e64 v[0:1], v[14:15]
	s_cbranch_execz .LBB7_91
; %bb.81:                               ;   in Loop: Header=BB7_71 Depth=2
	s_mov_b32 s25, 0
	s_mov_b32 s28, 0
                                        ; implicit-def: $sgpr26
                                        ; implicit-def: $sgpr27
	s_branch .LBB7_83
.LBB7_82:                               ;   in Loop: Header=BB7_83 Depth=3
	s_or_b32 exec_lo, exec_lo, vcc_hi
	s_delay_alu instid0(SALU_CYCLE_1) | instskip(NEXT) | instid1(SALU_CYCLE_1)
	s_and_b32 s29, exec_lo, vcc_lo
	s_or_b32 s25, s29, s25
	s_and_not1_b32 s26, s26, exec_lo
	s_and_b32 s29, s27, exec_lo
	s_delay_alu instid0(SALU_CYCLE_1)
	s_or_b32 s26, s26, s29
	s_and_not1_b32 exec_lo, exec_lo, s25
	s_cbranch_execz .LBB7_89
.LBB7_83:                               ;   Parent Loop BB7_4 Depth=1
                                        ;     Parent Loop BB7_71 Depth=2
                                        ; =>    This Inner Loop Header: Depth=3
	s_add_i32 s28, s28, 1
                                        ; implicit-def: $vcc_hi
	s_delay_alu instid0(SALU_CYCLE_1) | instskip(SKIP_1) | instid1(SALU_CYCLE_1)
	s_cmpk_lg_i32 s28, 0x2710
	s_cselect_b32 s29, -1, 0
	s_and_b32 vcc_lo, exec_lo, s29
	s_cbranch_vccnz .LBB7_86
; %bb.84:                               ;   in Loop: Header=BB7_83 Depth=3
	s_cbranch_execnz .LBB7_505
; %bb.85:                               ;   in Loop: Header=BB7_83 Depth=3
	ds_load_b64 v[0:1], v0
	s_and_not1_b32 s29, s29, exec_lo
	s_mov_b32 s28, 0
	s_waitcnt lgkmcnt(0)
	flat_load_b32 v0, v[0:1] glc
	s_waitcnt vmcnt(0) lgkmcnt(0)
	buffer_gl1_inv
	buffer_gl0_inv
	v_cmp_eq_u32_e32 vcc_lo, 0, v0
	s_mov_b32 vcc_hi, -1
	s_and_b32 vcc_lo, vcc_lo, exec_lo
	s_delay_alu instid0(SALU_CYCLE_1)
	s_or_b32 s29, s29, vcc_lo
.LBB7_86:                               ;   in Loop: Header=BB7_83 Depth=3
	s_and_not1_b32 s27, s27, exec_lo
	s_and_b32 vcc_hi, vcc_hi, exec_lo
	s_mov_b32 vcc_lo, -1
	s_or_b32 s27, s27, vcc_hi
	s_and_saveexec_b32 vcc_hi, s29
	s_cbranch_execz .LBB7_82
; %bb.87:                               ;   in Loop: Header=BB7_83 Depth=3
	s_sleep 1
	s_cbranch_execnz .LBB7_501
; %bb.88:                               ;   in Loop: Header=BB7_83 Depth=3
	ds_load_b64 v[0:1], v0
	s_and_not1_b32 s27, s27, exec_lo
	s_waitcnt lgkmcnt(0)
	v_cmp_ge_u64_e32 vcc_lo, v[0:1], v[14:15]
	s_or_not1_b32 vcc_lo, vcc_lo, exec_lo
	s_branch .LBB7_82
.LBB7_89:                               ;   in Loop: Header=BB7_71 Depth=2
	s_or_b32 exec_lo, exec_lo, s25
	s_and_saveexec_b32 s25, s26
	s_delay_alu instid0(SALU_CYCLE_1)
	s_xor_b32 s25, exec_lo, s25
	s_cbranch_execz .LBB7_91
; %bb.90:                               ;   in Loop: Header=BB7_71 Depth=2
	ds_store_b32 v0, v11
	s_cbranch_execnz .LBB7_533
.LBB7_91:                               ;   in Loop: Header=BB7_71 Depth=2
	s_or_b32 exec_lo, exec_lo, s13
	;;#ASMSTART
	s_wakeup
	;;#ASMEND
.LBB7_92:                               ;   in Loop: Header=BB7_71 Depth=2
	s_or_b32 exec_lo, exec_lo, s12
.LBB7_93:                               ;   in Loop: Header=BB7_71 Depth=2
	s_and_not1_saveexec_b32 s11, s11
	s_cbranch_execz .LBB7_95
; %bb.94:                               ;   in Loop: Header=BB7_71 Depth=2
	s_waitcnt lgkmcnt(0)
	buffer_gl1_inv
	buffer_gl0_inv
	s_waitcnt_vscnt null, 0x0
	s_barrier
.LBB7_95:                               ;   in Loop: Header=BB7_71 Depth=2
	s_or_b32 exec_lo, exec_lo, s11
	s_and_saveexec_b32 s11, s6
	s_delay_alu instid0(SALU_CYCLE_1)
	s_xor_b32 s11, exec_lo, s11
	s_cbranch_execz .LBB7_113
; %bb.96:                               ;   in Loop: Header=BB7_71 Depth=2
	s_and_saveexec_b32 s12, s7
	s_cbranch_execz .LBB7_112
; %bb.97:                               ;   in Loop: Header=BB7_71 Depth=2
	s_mov_b32 s25, exec_lo
	s_mov_b32 s13, exec_lo
	v_mbcnt_lo_u32_b32 v0, s25, 0
	s_waitcnt lgkmcnt(0)
	buffer_gl1_inv
	buffer_gl0_inv
	v_cmpx_eq_u32_e32 0, v0
	s_cbranch_execz .LBB7_99
; %bb.98:                               ;   in Loop: Header=BB7_71 Depth=2
	s_bcnt1_i32_b32 s25, s25
	s_delay_alu instid0(SALU_CYCLE_1)
	v_dual_mov_b32 v1, v8 :: v_dual_mov_b32 v0, s25
	ds_add_u64 v0, v[0:1]
	s_cbranch_execnz .LBB7_495
.LBB7_99:                               ;   in Loop: Header=BB7_71 Depth=2
	s_or_b32 exec_lo, exec_lo, s13
	s_cbranch_execnz .LBB7_491
; %bb.100:                              ;   in Loop: Header=BB7_71 Depth=2
	ds_load_b64 v[0:1], v0
	v_add_co_u32 v14, vcc_lo, v14, 4
	v_add_co_ci_u32_e32 v15, vcc_lo, 0, v15, vcc_lo
	s_mov_b32 s13, exec_lo
	s_waitcnt lgkmcnt(0)
	s_delay_alu instid0(VALU_DEP_1)
	v_cmpx_lt_u64_e64 v[0:1], v[14:15]
	s_cbranch_execz .LBB7_111
; %bb.101:                              ;   in Loop: Header=BB7_71 Depth=2
	s_mov_b32 s25, 0
	s_mov_b32 s28, 0
                                        ; implicit-def: $sgpr26
                                        ; implicit-def: $sgpr27
	s_branch .LBB7_103
.LBB7_102:                              ;   in Loop: Header=BB7_103 Depth=3
	s_or_b32 exec_lo, exec_lo, vcc_hi
	s_delay_alu instid0(SALU_CYCLE_1) | instskip(NEXT) | instid1(SALU_CYCLE_1)
	s_and_b32 s29, exec_lo, vcc_lo
	s_or_b32 s25, s29, s25
	s_and_not1_b32 s26, s26, exec_lo
	s_and_b32 s29, s27, exec_lo
	s_delay_alu instid0(SALU_CYCLE_1)
	s_or_b32 s26, s26, s29
	s_and_not1_b32 exec_lo, exec_lo, s25
	s_cbranch_execz .LBB7_109
.LBB7_103:                              ;   Parent Loop BB7_4 Depth=1
                                        ;     Parent Loop BB7_71 Depth=2
                                        ; =>    This Inner Loop Header: Depth=3
	s_add_i32 s28, s28, 1
                                        ; implicit-def: $vcc_hi
	s_delay_alu instid0(SALU_CYCLE_1) | instskip(SKIP_1) | instid1(SALU_CYCLE_1)
	s_cmpk_lg_i32 s28, 0x2710
	s_cselect_b32 s29, -1, 0
	s_and_b32 vcc_lo, exec_lo, s29
	s_cbranch_vccz .LBB7_107
.LBB7_104:                              ;   in Loop: Header=BB7_103 Depth=3
	s_and_not1_b32 s27, s27, exec_lo
	s_and_b32 vcc_hi, vcc_hi, exec_lo
	s_mov_b32 vcc_lo, -1
	s_or_b32 s27, s27, vcc_hi
	s_and_saveexec_b32 vcc_hi, s29
	s_cbranch_execz .LBB7_102
; %bb.105:                              ;   in Loop: Header=BB7_103 Depth=3
	s_sleep 1
	s_cbranch_execnz .LBB7_507
; %bb.106:                              ;   in Loop: Header=BB7_103 Depth=3
	ds_load_b64 v[0:1], v0
	s_and_not1_b32 s27, s27, exec_lo
	s_waitcnt lgkmcnt(0)
	v_cmp_ge_u64_e32 vcc_lo, v[0:1], v[14:15]
	s_or_not1_b32 vcc_lo, vcc_lo, exec_lo
	s_branch .LBB7_102
.LBB7_107:                              ;   in Loop: Header=BB7_103 Depth=3
	s_cbranch_execnz .LBB7_509
; %bb.108:                              ;   in Loop: Header=BB7_103 Depth=3
	ds_load_b64 v[0:1], v0
	s_and_not1_b32 s29, s29, exec_lo
	s_mov_b32 s28, 0
	s_waitcnt lgkmcnt(0)
	flat_load_b32 v0, v[0:1] glc
	s_waitcnt vmcnt(0) lgkmcnt(0)
	buffer_gl1_inv
	buffer_gl0_inv
	v_cmp_eq_u32_e32 vcc_lo, 0, v0
	s_mov_b32 vcc_hi, -1
	s_and_b32 vcc_lo, vcc_lo, exec_lo
	s_delay_alu instid0(SALU_CYCLE_1)
	s_or_b32 s29, s29, vcc_lo
	s_branch .LBB7_104
.LBB7_109:                              ;   in Loop: Header=BB7_71 Depth=2
	s_or_b32 exec_lo, exec_lo, s25
	s_and_saveexec_b32 s25, s26
	s_delay_alu instid0(SALU_CYCLE_1)
	s_xor_b32 s25, exec_lo, s25
	s_cbranch_execz .LBB7_111
; %bb.110:                              ;   in Loop: Header=BB7_71 Depth=2
	ds_store_b32 v0, v11
	s_cbranch_execnz .LBB7_535
.LBB7_111:                              ;   in Loop: Header=BB7_71 Depth=2
	s_or_b32 exec_lo, exec_lo, s13
	;;#ASMSTART
	s_wakeup
	;;#ASMEND
.LBB7_112:                              ;   in Loop: Header=BB7_71 Depth=2
	s_or_b32 exec_lo, exec_lo, s12
.LBB7_113:                              ;   in Loop: Header=BB7_71 Depth=2
	s_and_not1_saveexec_b32 s11, s11
	s_cbranch_execz .LBB7_115
; %bb.114:                              ;   in Loop: Header=BB7_71 Depth=2
	s_waitcnt lgkmcnt(0)
	buffer_gl1_inv
	buffer_gl0_inv
	s_waitcnt_vscnt null, 0x0
	s_barrier
.LBB7_115:                              ;   in Loop: Header=BB7_71 Depth=2
	s_or_b32 exec_lo, exec_lo, s11
.LBB7_116:                              ;   in Loop: Header=BB7_71 Depth=2
	s_and_not1_saveexec_b32 s25, s10
	s_cbranch_execz .LBB7_259
; %bb.117:                              ;   in Loop: Header=BB7_71 Depth=2
	ds_load_b64 v[4:5], v0
	ds_load_2addr_b64 v[0:3], v0 offset0:14 offset1:15
	v_dual_mov_b32 v20, 0 :: v_dual_and_b32 v7, 36, v9
	v_mov_b32_e32 v21, 0
	s_waitcnt lgkmcnt(0)
	ds_load_b32 v6, v0 offset:28
	ds_load_2addr_b32 v[22:23], v0 offset0:5 offset1:6
	v_cmp_lt_i32_e32 vcc_lo, -1, v4
	v_cmp_ne_u32_e64 s10, 0, v7
	s_delay_alu instid0(VALU_DEP_1) | instskip(NEXT) | instid1(SALU_CYCLE_1)
	s_and_b32 s26, vcc_lo, s10
	s_and_saveexec_b32 s10, s26
	s_cbranch_execz .LBB7_120
; %bb.118:                              ;   in Loop: Header=BB7_71 Depth=2
	s_cbranch_execnz .LBB7_475
; %bb.119:                              ;   in Loop: Header=BB7_71 Depth=2
	ds_load_b64 v[18:19], v0
	v_mov_b32_e32 v21, s17
.LBB7_120:                              ;   in Loop: Header=BB7_71 Depth=2
	s_or_b32 exec_lo, exec_lo, s10
	v_and_b32_e32 v4, 24, v9
	v_cmp_lt_i32_e32 vcc_lo, -1, v5
	s_delay_alu instid0(VALU_DEP_2) | instskip(NEXT) | instid1(VALU_DEP_1)
	v_cmp_ne_u32_e64 s10, 0, v4
	s_and_b32 s27, vcc_lo, s10
	s_delay_alu instid0(SALU_CYCLE_1)
	s_and_saveexec_b32 s10, s27
	s_cbranch_execz .LBB7_123
; %bb.121:                              ;   in Loop: Header=BB7_71 Depth=2
	s_cbranch_execnz .LBB7_481
; %bb.122:                              ;   in Loop: Header=BB7_71 Depth=2
	s_waitcnt lgkmcnt(0)
	ds_load_b64 v[18:19], v0
	v_mov_b32_e32 v21, s17
.LBB7_123:                              ;   in Loop: Header=BB7_71 Depth=2
	s_or_b32 exec_lo, exec_lo, s10
	v_and_b32_e32 v4, 4, v9
	s_waitcnt lgkmcnt(1)
	v_max_i32_e32 v84, 0, v6
	s_delay_alu instid0(VALU_DEP_2) | instskip(SKIP_1) | instid1(SALU_CYCLE_1)
	v_cmp_ne_u32_e32 vcc_lo, 0, v4
	s_and_b32 s11, s26, vcc_lo
	s_and_saveexec_b32 s10, s11
	s_cbranch_execz .LBB7_143
; %bb.124:                              ;   in Loop: Header=BB7_71 Depth=2
	s_clause 0x1
	flat_load_b64 v[4:5], v[20:21] offset:24
	flat_load_b32 v26, v[20:21] offset:64
	ds_load_2addr_b32 v[6:7], v0 offset0:2 offset1:4
	s_mov_b32 s11, 0
                                        ; implicit-def: $sgpr12
                                        ; implicit-def: $sgpr28
                                        ; implicit-def: $sgpr13
	s_waitcnt lgkmcnt(0)
	v_add_nc_u32_e32 v7, v18, v7
	s_delay_alu instid0(VALU_DEP_1) | instskip(SKIP_1) | instid1(VALU_DEP_1)
	v_and_b32_e32 v7, 7, v7
	s_waitcnt vmcnt(0)
	v_mad_i64_i32 v[24:25], null, v7, v26, v[4:5]
	v_ashrrev_i32_e32 v5, 31, v6
	s_delay_alu instid0(VALU_DEP_2) | instskip(SKIP_1) | instid1(VALU_DEP_3)
	v_add_co_u32 v4, vcc_lo, v24, v6
	v_mov_b32_e32 v24, 0
	v_add_co_ci_u32_e32 v5, vcc_lo, v25, v5, vcc_lo
	v_add_co_u32 v6, vcc_lo, v18, 1
	v_add_co_ci_u32_e32 v7, vcc_lo, 0, v19, vcc_lo
	ds_store_b64 v0, v[4:5] offset:584
	s_branch .LBB7_129
.LBB7_125:                              ;   in Loop: Header=BB7_129 Depth=3
	s_or_b32 exec_lo, exec_lo, s34
	v_mov_b32_e32 v4, 0
	s_or_not1_b32 s31, s31, exec_lo
.LBB7_126:                              ;   in Loop: Header=BB7_129 Depth=3
	s_or_b32 exec_lo, exec_lo, s30
	s_delay_alu instid0(VALU_DEP_1)
	v_mov_b32_e32 v24, v4
	s_and_b32 s30, s31, exec_lo
.LBB7_127:                              ;   in Loop: Header=BB7_129 Depth=3
	s_or_b32 exec_lo, exec_lo, vcc_hi
	s_xor_b32 vcc_lo, s30, -1
	s_and_not1_b32 s28, s28, exec_lo
	s_and_b32 vcc_lo, vcc_lo, exec_lo
	s_and_not1_b32 s13, s13, exec_lo
	s_or_b32 s28, s28, vcc_lo
                                        ; implicit-def: $vgpr4_vgpr5
.LBB7_128:                              ;   in Loop: Header=BB7_129 Depth=3
	s_or_b32 exec_lo, exec_lo, s29
	s_delay_alu instid0(SALU_CYCLE_1) | instskip(NEXT) | instid1(SALU_CYCLE_1)
	s_and_b32 s29, exec_lo, s28
	s_or_b32 s11, s29, s11
	s_and_not1_b32 s12, s12, exec_lo
	s_and_b32 s29, s13, exec_lo
	s_delay_alu instid0(SALU_CYCLE_1)
	s_or_b32 s12, s12, s29
	s_and_not1_b32 exec_lo, exec_lo, s11
	s_cbranch_execz .LBB7_136
.LBB7_129:                              ;   Parent Loop BB7_4 Depth=1
                                        ;     Parent Loop BB7_71 Depth=2
                                        ; =>    This Inner Loop Header: Depth=3
	flat_load_b64 v[25:26], v[20:21] offset:48
	ds_load_b32 v4, v0 offset:16
	s_or_b32 s13, s13, exec_lo
	s_or_b32 s28, s28, exec_lo
	s_mov_b32 s29, exec_lo
	s_waitcnt lgkmcnt(0)
	v_ashrrev_i32_e32 v5, 31, v4
	v_add_co_u32 v27, vcc_lo, v6, v4
	s_delay_alu instid0(VALU_DEP_2) | instskip(SKIP_1) | instid1(VALU_DEP_1)
	v_add_co_ci_u32_e32 v28, vcc_lo, v7, v5, vcc_lo
	s_waitcnt vmcnt(0)
	v_cmpx_lt_u64_e64 v[25:26], v[27:28]
	s_cbranch_execz .LBB7_128
; %bb.130:                              ;   in Loop: Header=BB7_129 Depth=3
	flat_load_b64 v[4:5], v[20:21] offset:40
	v_and_b32_e32 v25, 64, v9
	s_mov_b32 s30, 0
	s_mov_b32 vcc_hi, exec_lo
	s_waitcnt vmcnt(0) lgkmcnt(0)
	flat_load_b64 v[4:5], v[4:5] glc
	s_waitcnt vmcnt(0) lgkmcnt(0)
	flat_store_b64 v[20:21], v[4:5] offset:48
	v_cmpx_eq_u32_e32 0, v25
	s_cbranch_execz .LBB7_127
; %bb.131:                              ;   in Loop: Header=BB7_129 Depth=3
	v_add_nc_u32_e32 v4, 1, v24
	s_mov_b32 s31, -1
	s_mov_b32 s30, exec_lo
	v_cmpx_lt_i32_e32 0x270e, v24
	s_cbranch_execz .LBB7_126
; %bb.132:                              ;   in Loop: Header=BB7_129 Depth=3
	s_cbranch_execnz .LBB7_483
; %bb.133:                              ;   in Loop: Header=BB7_129 Depth=3
	ds_load_b64 v[4:5], v0
	s_mov_b32 s34, exec_lo
	s_waitcnt lgkmcnt(0)
	s_waitcnt_vscnt null, 0x0
	flat_load_b32 v4, v[4:5] glc
	s_waitcnt vmcnt(0) lgkmcnt(0)
	buffer_gl1_inv
	buffer_gl0_inv
	v_cmpx_ne_u32_e32 0, v4
	s_cbranch_execz .LBB7_125
; %bb.134:                              ;   in Loop: Header=BB7_129 Depth=3
	ds_store_b32 v0, v4
	s_cbranch_execnz .LBB7_499
; %bb.135:                              ;   in Loop: Header=BB7_129 Depth=3
	v_or_b32_e32 v9, 64, v9
	s_xor_b32 s31, exec_lo, -1
	s_branch .LBB7_125
.LBB7_136:                              ;   in Loop: Header=BB7_71 Depth=2
	s_or_b32 exec_lo, exec_lo, s11
	s_xor_b32 s11, s12, -1
	s_delay_alu instid0(SALU_CYCLE_1) | instskip(NEXT) | instid1(SALU_CYCLE_1)
	s_and_saveexec_b32 s12, s11
	s_xor_b32 s11, exec_lo, s12
	s_cbranch_execz .LBB7_138
; %bb.137:                              ;   in Loop: Header=BB7_71 Depth=2
	ds_load_b32 v4, v0 offset:16
	s_waitcnt lgkmcnt(0)
	v_ashrrev_i32_e32 v5, 31, v4
.LBB7_138:                              ;   in Loop: Header=BB7_71 Depth=2
	s_or_b32 exec_lo, exec_lo, s11
	flat_load_b96 v[24:26], v[20:21] offset:56
	ds_load_b32 v6, v0 offset:8
	v_add_co_u32 v28, vcc_lo, v4, v18
	v_add_co_ci_u32_e32 v29, vcc_lo, v5, v19, vcc_lo
	s_mov_b32 s11, exec_lo
	s_waitcnt lgkmcnt(0)
	v_add_nc_u32_e32 v6, v6, v84
	s_delay_alu instid0(VALU_DEP_1) | instskip(SKIP_2) | instid1(VALU_DEP_2)
	v_ashrrev_i32_e32 v7, 31, v6
	s_waitcnt vmcnt(0)
	v_ashrrev_i32_e32 v27, 31, v26
	v_mad_u64_u32 v[4:5], null, v28, v26, v[6:7]
	v_mul_lo_u32 v7, v29, v26
	s_delay_alu instid0(VALU_DEP_3) | instskip(NEXT) | instid1(VALU_DEP_1)
	v_mul_lo_u32 v6, v28, v27
	v_add3_u32 v5, v7, v5, v6
	s_delay_alu instid0(VALU_DEP_1)
	v_cmpx_ge_u64_e64 v[24:25], v[4:5]
	s_xor_b32 s11, exec_lo, s11
	s_cbranch_execz .LBB7_140
; %bb.139:                              ;   in Loop: Header=BB7_71 Depth=2
	ds_load_b64 v[4:5], v0 offset:136
	s_waitcnt lgkmcnt(0)
	ds_store_b64 v0, v[4:5] offset:208
.LBB7_140:                              ;   in Loop: Header=BB7_71 Depth=2
	s_and_not1_saveexec_b32 s11, s11
	s_cbranch_execz .LBB7_142
; %bb.141:                              ;   in Loop: Header=BB7_71 Depth=2
	ds_load_b64 v[4:5], v0 offset:48
	s_waitcnt lgkmcnt(0)
	v_add_co_u32 v4, vcc_lo, v2, v4
	v_add_co_ci_u32_e32 v5, vcc_lo, v3, v5, vcc_lo
	ds_store_b64 v0, v[4:5]
.LBB7_142:                              ;   in Loop: Header=BB7_71 Depth=2
	s_or_b32 exec_lo, exec_lo, s11
.LBB7_143:                              ;   in Loop: Header=BB7_71 Depth=2
	s_delay_alu instid0(SALU_CYCLE_1) | instskip(SKIP_1) | instid1(VALU_DEP_1)
	s_or_b32 exec_lo, exec_lo, s10
	v_and_b32_e32 v4, 8, v9
	v_cmp_ne_u32_e32 vcc_lo, 0, v4
	s_and_b32 s11, s27, vcc_lo
	s_delay_alu instid0(SALU_CYCLE_1)
	s_and_saveexec_b32 s10, s11
	s_cbranch_execz .LBB7_157
; %bb.144:                              ;   in Loop: Header=BB7_71 Depth=2
	s_waitcnt lgkmcnt(0)
	v_add_co_u32 v4, vcc_lo, v18, 1
	v_add_co_ci_u32_e32 v5, vcc_lo, 0, v19, vcc_lo
	v_mov_b32_e32 v6, 0
	s_mov_b32 s11, 0
                                        ; implicit-def: $sgpr12
	s_branch .LBB7_149
.LBB7_145:                              ;   in Loop: Header=BB7_149 Depth=3
	s_or_b32 exec_lo, exec_lo, s30
	v_mov_b32_e32 v7, 0
	s_or_not1_b32 vcc_hi, vcc_hi, exec_lo
.LBB7_146:                              ;   in Loop: Header=BB7_149 Depth=3
	s_or_b32 exec_lo, exec_lo, s29
	s_delay_alu instid0(VALU_DEP_1)
	v_mov_b32_e32 v6, v7
	s_and_b32 s29, vcc_hi, exec_lo
.LBB7_147:                              ;   in Loop: Header=BB7_149 Depth=3
	s_or_b32 exec_lo, exec_lo, s28
	s_xor_b32 s28, s29, -1
	s_and_not1_b32 s12, s12, exec_lo
	s_and_b32 s28, s28, exec_lo
	s_delay_alu instid0(SALU_CYCLE_1)
	s_or_b32 s12, s12, s28
.LBB7_148:                              ;   in Loop: Header=BB7_149 Depth=3
	s_or_b32 exec_lo, exec_lo, s13
	s_delay_alu instid0(SALU_CYCLE_1) | instskip(NEXT) | instid1(SALU_CYCLE_1)
	s_and_b32 s13, exec_lo, s12
	s_or_b32 s11, s13, s11
	s_delay_alu instid0(SALU_CYCLE_1)
	s_and_not1_b32 exec_lo, exec_lo, s11
	s_cbranch_execz .LBB7_156
.LBB7_149:                              ;   Parent Loop BB7_4 Depth=1
                                        ;     Parent Loop BB7_71 Depth=2
                                        ; =>    This Inner Loop Header: Depth=3
	flat_load_b64 v[24:25], v[20:21] offset:48
	s_or_b32 s12, s12, exec_lo
	s_mov_b32 s13, exec_lo
	s_waitcnt vmcnt(0) lgkmcnt(0)
	v_add_co_u32 v24, vcc_lo, v24, 8
	v_add_co_ci_u32_e32 v25, vcc_lo, 0, v25, vcc_lo
	s_delay_alu instid0(VALU_DEP_1)
	v_cmpx_lt_u64_e64 v[24:25], v[4:5]
	s_cbranch_execz .LBB7_148
; %bb.150:                              ;   in Loop: Header=BB7_149 Depth=3
	flat_load_b64 v[24:25], v[20:21] offset:32
	v_and_b32_e32 v7, 64, v9
	s_mov_b32 s29, 0
	s_mov_b32 s28, exec_lo
	s_waitcnt vmcnt(0) lgkmcnt(0)
	flat_load_b64 v[24:25], v[24:25] glc
	s_waitcnt vmcnt(0) lgkmcnt(0)
	flat_store_b64 v[20:21], v[24:25] offset:48
	v_cmpx_eq_u32_e32 0, v7
	s_cbranch_execz .LBB7_147
; %bb.151:                              ;   in Loop: Header=BB7_149 Depth=3
	v_add_nc_u32_e32 v7, 1, v6
	s_mov_b32 vcc_hi, -1
	s_mov_b32 s29, exec_lo
	v_cmpx_lt_i32_e32 0x270e, v6
	s_cbranch_execz .LBB7_146
; %bb.152:                              ;   in Loop: Header=BB7_149 Depth=3
	s_cbranch_execnz .LBB7_489
; %bb.153:                              ;   in Loop: Header=BB7_149 Depth=3
	ds_load_b64 v[6:7], v0
	s_mov_b32 s30, exec_lo
	s_waitcnt lgkmcnt(0)
	s_waitcnt_vscnt null, 0x0
	flat_load_b32 v6, v[6:7] glc
	s_waitcnt vmcnt(0) lgkmcnt(0)
	buffer_gl1_inv
	buffer_gl0_inv
	v_cmpx_ne_u32_e32 0, v6
	s_cbranch_execz .LBB7_145
; %bb.154:                              ;   in Loop: Header=BB7_149 Depth=3
	ds_store_b32 v0, v6
	s_cbranch_execnz .LBB7_503
; %bb.155:                              ;   in Loop: Header=BB7_149 Depth=3
	v_or_b32_e32 v9, 64, v9
	s_xor_b32 vcc_hi, exec_lo, -1
	s_branch .LBB7_145
.LBB7_156:                              ;   in Loop: Header=BB7_71 Depth=2
	s_or_b32 exec_lo, exec_lo, s11
	s_clause 0x1
	flat_load_b64 v[4:5], v[20:21] offset:24
	flat_load_b32 v24, v[20:21] offset:64
	ds_load_b32 v25, v0 offset:12
	v_and_b32_e32 v26, 7, v18
	s_waitcnt vmcnt(0) lgkmcnt(1)
	s_delay_alu instid0(VALU_DEP_1) | instskip(SKIP_2) | instid1(VALU_DEP_2)
	v_mad_i64_i32 v[6:7], null, v26, v24, v[4:5]
	s_waitcnt lgkmcnt(0)
	v_ashrrev_i32_e32 v5, 31, v25
	v_add_co_u32 v4, vcc_lo, v6, v25
	s_delay_alu instid0(VALU_DEP_2)
	v_add_co_ci_u32_e32 v5, vcc_lo, v7, v5, vcc_lo
	ds_store_b64 v0, v[4:5] offset:584
.LBB7_157:                              ;   in Loop: Header=BB7_71 Depth=2
	s_or_b32 exec_lo, exec_lo, s10
	s_cbranch_execnz .LBB7_487
; %bb.158:                              ;   in Loop: Header=BB7_71 Depth=2
	ds_load_b32 v4, v0
	ds_load_b64 v[24:25], v0
	v_and_b32_e32 v5, 1, v9
	s_delay_alu instid0(VALU_DEP_1) | instskip(SKIP_2) | instid1(VALU_DEP_2)
	v_cmp_eq_u32_e64 s10, 1, v5
	s_waitcnt lgkmcnt(1)
	v_cmp_gt_i32_e32 vcc_lo, 0, v4
	s_and_b32 s12, vcc_lo, s10
	s_delay_alu instid0(SALU_CYCLE_1)
	s_and_saveexec_b32 s11, s12
	s_cbranch_execz .LBB7_162
; %bb.159:                              ;   in Loop: Header=BB7_71 Depth=2
	ds_load_b64 v[6:7], v0 offset:40
	s_mov_b32 s12, exec_lo
	s_waitcnt lgkmcnt(0)
	v_add_co_u32 v4, vcc_lo, v6, v84
	v_add_co_ci_u32_e32 v5, vcc_lo, 0, v7, vcc_lo
	v_add_co_u32 v0, vcc_lo, v0, v6
	v_add_co_ci_u32_e32 v1, vcc_lo, v1, v7, vcc_lo
	ds_store_b64 v0, v[0:1] offset:584
	v_cmpx_lt_u64_e64 v[24:25], v[4:5]
	s_cbranch_execz .LBB7_161
; %bb.160:                              ;   in Loop: Header=BB7_71 Depth=2
	ds_load_b64 v[0:1], v0 offset:48
	v_dual_mov_b32 v25, v5 :: v_dual_mov_b32 v24, v4
	s_waitcnt lgkmcnt(0)
	v_add_co_u32 v0, vcc_lo, v2, v0
	v_add_co_ci_u32_e32 v1, vcc_lo, v3, v1, vcc_lo
.LBB7_161:                              ;   in Loop: Header=BB7_71 Depth=2
	s_or_b32 exec_lo, exec_lo, s12
	ds_store_b64 v0, v[0:1]
.LBB7_162:                              ;   in Loop: Header=BB7_71 Depth=2
	s_or_b32 exec_lo, exec_lo, s11
	s_and_saveexec_b32 s11, s6
	s_delay_alu instid0(SALU_CYCLE_1)
	s_xor_b32 s11, exec_lo, s11
	s_cbranch_execz .LBB7_180
; %bb.163:                              ;   in Loop: Header=BB7_71 Depth=2
	s_and_saveexec_b32 s12, s7
	s_cbranch_execz .LBB7_179
; %bb.164:                              ;   in Loop: Header=BB7_71 Depth=2
	s_mov_b32 s28, exec_lo
	s_mov_b32 s13, exec_lo
	v_mbcnt_lo_u32_b32 v0, s28, 0
	s_waitcnt lgkmcnt(0)
	s_waitcnt_vscnt null, 0x0
	buffer_gl1_inv
	buffer_gl0_inv
	v_cmpx_eq_u32_e32 0, v0
	s_cbranch_execz .LBB7_166
; %bb.165:                              ;   in Loop: Header=BB7_71 Depth=2
	s_bcnt1_i32_b32 s28, s28
	s_delay_alu instid0(SALU_CYCLE_1)
	v_dual_mov_b32 v1, v8 :: v_dual_mov_b32 v0, s28
	ds_add_u64 v0, v[0:1]
	s_cbranch_execnz .LBB7_513
.LBB7_166:                              ;   in Loop: Header=BB7_71 Depth=2
	s_or_b32 exec_lo, exec_lo, s13
	s_cbranch_execnz .LBB7_511
; %bb.167:                              ;   in Loop: Header=BB7_71 Depth=2
	ds_load_b64 v[0:1], v0
	v_add_co_u32 v14, vcc_lo, v14, 4
	v_add_co_ci_u32_e32 v15, vcc_lo, 0, v15, vcc_lo
	s_mov_b32 s13, exec_lo
	s_waitcnt lgkmcnt(0)
	s_delay_alu instid0(VALU_DEP_1)
	v_cmpx_lt_u64_e64 v[0:1], v[14:15]
	s_cbranch_execz .LBB7_178
; %bb.168:                              ;   in Loop: Header=BB7_71 Depth=2
	s_mov_b32 s28, 0
	s_mov_b32 s30, 0
                                        ; implicit-def: $sgpr29
                                        ; implicit-def: $vcc_hi
	s_branch .LBB7_170
.LBB7_169:                              ;   in Loop: Header=BB7_170 Depth=3
	s_or_b32 exec_lo, exec_lo, s34
	s_delay_alu instid0(SALU_CYCLE_1) | instskip(NEXT) | instid1(SALU_CYCLE_1)
	s_and_b32 vcc_lo, exec_lo, vcc_lo
	s_or_b32 s28, vcc_lo, s28
	s_and_not1_b32 s29, s29, exec_lo
	s_and_b32 vcc_lo, vcc_hi, exec_lo
	s_delay_alu instid0(SALU_CYCLE_1)
	s_or_b32 s29, s29, vcc_lo
	s_and_not1_b32 exec_lo, exec_lo, s28
	s_cbranch_execz .LBB7_176
.LBB7_170:                              ;   Parent Loop BB7_4 Depth=1
                                        ;     Parent Loop BB7_71 Depth=2
                                        ; =>    This Inner Loop Header: Depth=3
	s_add_i32 s30, s30, 1
                                        ; implicit-def: $sgpr34
	s_delay_alu instid0(SALU_CYCLE_1) | instskip(SKIP_1) | instid1(SALU_CYCLE_1)
	s_cmpk_lg_i32 s30, 0x2710
	s_cselect_b32 s31, -1, 0
	s_and_b32 vcc_lo, exec_lo, s31
	s_cbranch_vccz .LBB7_174
.LBB7_171:                              ;   in Loop: Header=BB7_170 Depth=3
	s_and_not1_b32 vcc_hi, vcc_hi, exec_lo
	s_and_b32 s34, s34, exec_lo
	s_mov_b32 vcc_lo, -1
	s_or_b32 vcc_hi, vcc_hi, s34
	s_and_saveexec_b32 s34, s31
	s_cbranch_execz .LBB7_169
; %bb.172:                              ;   in Loop: Header=BB7_170 Depth=3
	s_sleep 1
	s_cbranch_execnz .LBB7_521
; %bb.173:                              ;   in Loop: Header=BB7_170 Depth=3
	ds_load_b64 v[0:1], v0
	s_waitcnt lgkmcnt(0)
	v_cmp_ge_u64_e32 vcc_lo, v[0:1], v[14:15]
	s_and_not1_b32 vcc_hi, vcc_hi, exec_lo
	s_or_not1_b32 vcc_lo, vcc_lo, exec_lo
	s_branch .LBB7_169
.LBB7_174:                              ;   in Loop: Header=BB7_170 Depth=3
	s_cbranch_execnz .LBB7_527
; %bb.175:                              ;   in Loop: Header=BB7_170 Depth=3
	ds_load_b64 v[0:1], v0
	s_and_not1_b32 s31, s31, exec_lo
	s_mov_b32 s30, 0
	s_mov_b32 s34, -1
	s_waitcnt lgkmcnt(0)
	flat_load_b32 v0, v[0:1] glc
	s_waitcnt vmcnt(0) lgkmcnt(0)
	buffer_gl1_inv
	buffer_gl0_inv
	v_cmp_eq_u32_e32 vcc_lo, 0, v0
	s_and_b32 vcc_lo, vcc_lo, exec_lo
	s_delay_alu instid0(SALU_CYCLE_1)
	s_or_b32 s31, s31, vcc_lo
	s_branch .LBB7_171
.LBB7_176:                              ;   in Loop: Header=BB7_71 Depth=2
	s_or_b32 exec_lo, exec_lo, s28
	s_and_saveexec_b32 s28, s29
	s_delay_alu instid0(SALU_CYCLE_1)
	s_xor_b32 s28, exec_lo, s28
	s_cbranch_execz .LBB7_178
; %bb.177:                              ;   in Loop: Header=BB7_71 Depth=2
	ds_store_b32 v0, v11
	s_cbranch_execnz .LBB7_537
.LBB7_178:                              ;   in Loop: Header=BB7_71 Depth=2
	s_or_b32 exec_lo, exec_lo, s13
	;;#ASMSTART
	s_wakeup
	;;#ASMEND
.LBB7_179:                              ;   in Loop: Header=BB7_71 Depth=2
	s_or_b32 exec_lo, exec_lo, s12
.LBB7_180:                              ;   in Loop: Header=BB7_71 Depth=2
	s_and_not1_saveexec_b32 s11, s11
	s_cbranch_execz .LBB7_182
; %bb.181:                              ;   in Loop: Header=BB7_71 Depth=2
	s_waitcnt lgkmcnt(0)
	s_waitcnt_vscnt null, 0x0
	buffer_gl1_inv
	buffer_gl0_inv
	s_barrier
.LBB7_182:                              ;   in Loop: Header=BB7_71 Depth=2
	s_or_b32 exec_lo, exec_lo, s11
	ds_load_b32 v5, v0 offset:4
	ds_load_2addr_b64 v[0:3], v0 offset0:17 offset1:26
	s_cbranch_execnz .LBB7_497
; %bb.183:                              ;   in Loop: Header=BB7_71 Depth=2
	s_waitcnt lgkmcnt(0)
	ds_load_b32 v4, v0
	s_mov_b32 s11, -1
	s_and_saveexec_b32 s12, s8
	s_cbranch_execz .LBB7_185
; %bb.184:                              ;   in Loop: Header=BB7_71 Depth=2
	ds_load_b32 v6, v0 offset:584
	s_waitcnt lgkmcnt(0)
	v_and_b32_e32 v6, 15, v6
	s_delay_alu instid0(VALU_DEP_1)
	v_cmp_eq_u32_e32 vcc_lo, 0, v6
	s_or_not1_b32 s11, vcc_lo, exec_lo
.LBB7_185:                              ;   in Loop: Header=BB7_71 Depth=2
	s_or_b32 exec_lo, exec_lo, s12
	v_cmp_gt_i32_e32 vcc_lo, 0, v5
	v_lshrrev_b32_e32 v6, 28, v5
	s_mov_b32 s12, exec_lo
	v_cndmask_b32_e64 v5, 2, 1, vcc_lo
	v_cmp_eq_u64_e32 vcc_lo, v[0:1], v[2:3]
	s_delay_alu instid0(VALU_DEP_3) | instskip(NEXT) | instid1(VALU_DEP_1)
	v_and_b32_e32 v6, 8, v6
	v_add_nc_u32_e32 v85, v0, v6
	s_delay_alu instid0(VALU_DEP_4) | instskip(NEXT) | instid1(VALU_DEP_1)
	v_subrev_co_ci_u32_e32 v86, vcc_lo, 0, v5, vcc_lo
	v_cmpx_lt_i32_e64 v53, v86
	s_cbranch_execz .LBB7_187
; %bb.186:                              ;   in Loop: Header=BB7_71 Depth=2
	s_delay_alu instid0(VALU_DEP_3) | instskip(SKIP_3) | instid1(VALU_DEP_1)
	v_lshl_add_u32 v0, v53, 3, v85
	ds_load_b32 v0, v0 offset:584
	s_waitcnt lgkmcnt(0)
	v_and_b32_e32 v0, 15, v0
	v_cmp_eq_u32_e32 vcc_lo, 0, v0
	s_and_b32 s13, s11, vcc_lo
	s_and_not1_b32 s11, s11, exec_lo
	s_and_b32 s13, s13, exec_lo
	s_delay_alu instid0(SALU_CYCLE_1)
	s_or_b32 s11, s11, s13
.LBB7_187:                              ;   in Loop: Header=BB7_71 Depth=2
	s_or_b32 exec_lo, exec_lo, s12
	s_xor_b32 s11, s11, -1
	v_mov_b32_e32 v6, 0
	v_cndmask_b32_e64 v0, 0, 1, s11
	s_waitcnt lgkmcnt(0)
	v_cmp_eq_u32_e64 s11, 0, v4
	;;#ASMSTART
	;;#ASMEND
	s_delay_alu instid0(VALU_DEP_2) | instskip(NEXT) | instid1(VALU_DEP_2)
	v_cmp_ne_u32_e32 vcc_lo, 0, v0
	v_cndmask_b32_e64 v87, 0, v84, s11
	s_mov_b32 s11, -1
	s_cbranch_vccz .LBB7_189
; %bb.188:                              ;   in Loop: Header=BB7_71 Depth=2
	v_dual_mov_b32 v7, v13 :: v_dual_mov_b32 v4, v52
	s_branch .LBB7_206
.LBB7_189:                              ;   in Loop: Header=BB7_71 Depth=2
	s_delay_alu instid0(VALU_DEP_1) | instskip(SKIP_1) | instid1(VALU_DEP_1)
	v_lshrrev_b32_e32 v0, 10, v87
	s_mov_b32 s13, exec_lo
	v_sub_nc_u32_e32 v96, v0, v52
	s_delay_alu instid0(VALU_DEP_1)
	v_cmpx_lt_i32_e32 0, v96
	s_cbranch_execz .LBB7_195
; %bb.190:                              ;   in Loop: Header=BB7_71 Depth=2
	ds_load_b64 v[26:27], v0 offset:584
	ds_load_b64 v[28:29], v85 offset:584
	v_cmp_lt_u32_e32 vcc_lo, 1, v86
	v_dual_mov_b32 v31, v17 :: v_dual_mov_b32 v30, v16
	v_dual_mov_b32 v33, v17 :: v_dual_mov_b32 v32, v16
	s_mov_b32 s28, 0
	s_set_inst_prefetch_distance 0x1
	s_branch .LBB7_192
.LBB7_191:                              ;   in Loop: Header=BB7_192 Depth=3
	s_or_b32 exec_lo, exec_lo, s12
	v_sub_nc_u32_e32 v96, v96, v12
	v_add_co_u32 v32, s11, v32, v49
	s_delay_alu instid0(VALU_DEP_1) | instskip(NEXT) | instid1(VALU_DEP_3)
	v_add_co_ci_u32_e64 v33, s11, v33, v71, s11
	v_cmp_gt_i32_e64 s11, 1, v96
	v_add_co_u32 v30, s12, v30, v54
	s_delay_alu instid0(VALU_DEP_1) | instskip(NEXT) | instid1(VALU_DEP_3)
	v_add_co_ci_u32_e64 v31, s12, v31, v55, s12
	s_or_b32 s28, s11, s28
	s_delay_alu instid0(SALU_CYCLE_1)
	s_and_not1_b32 exec_lo, exec_lo, s28
	s_cbranch_execz .LBB7_194
.LBB7_192:                              ;   Parent Loop BB7_4 Depth=1
                                        ;     Parent Loop BB7_71 Depth=2
                                        ; =>    This Inner Loop Header: Depth=3
	s_waitcnt lgkmcnt(1)
	v_add_co_u32 v0, s11, v26, v30
	s_delay_alu instid0(VALU_DEP_1) | instskip(SKIP_2) | instid1(VALU_DEP_1)
	v_add_co_ci_u32_e64 v1, s11, v27, v31, s11
	s_waitcnt lgkmcnt(0)
	v_add_co_u32 v97, s11, v28, v30
	v_add_co_ci_u32_e64 v98, s11, v29, v31, s11
	s_clause 0x1
	global_load_b128 v[4:7], v[0:1], off slc dlc
	global_load_b128 v[0:3], v[0:1], off offset:512 slc dlc
	s_waitcnt vmcnt(1)
	global_store_b128 v[97:98], v[4:7], off glc slc dlc
	s_waitcnt vmcnt(0)
	global_store_b128 v[97:98], v[0:3], off offset:512 glc slc dlc
	s_and_saveexec_b32 s12, vcc_lo
	s_cbranch_execz .LBB7_191
; %bb.193:                              ;   in Loop: Header=BB7_192 Depth=3
	ds_load_b64 v[97:98], v85 offset:592
	s_waitcnt lgkmcnt(0)
	v_add_co_u32 v97, s11, v32, v97
	s_delay_alu instid0(VALU_DEP_1)
	v_add_co_ci_u32_e64 v98, s11, v33, v98, s11
	s_clause 0x1
	global_store_b128 v[97:98], v[4:7], off glc slc dlc
	global_store_b128 v[97:98], v[0:3], off offset:512 glc slc dlc
	s_branch .LBB7_191
.LBB7_194:                              ;   in Loop: Header=BB7_71 Depth=2
	s_set_inst_prefetch_distance 0x2
	s_or_b32 exec_lo, exec_lo, s28
.LBB7_195:                              ;   in Loop: Header=BB7_71 Depth=2
	s_delay_alu instid0(SALU_CYCLE_1) | instskip(SKIP_4) | instid1(VALU_DEP_2)
	s_or_b32 exec_lo, exec_lo, s13
	v_and_b32_e32 v0, 0x7ffffc00, v87
	v_mov_b32_e32 v6, 0
	s_mov_b32 s11, 0
	s_mov_b32 s28, exec_lo
                                        ; implicit-def: $vgpr7
                                        ; implicit-def: $vgpr4
	v_cmpx_ne_u32_e64 v0, v87
	s_cbranch_execz .LBB7_205
; %bb.196:                              ;   in Loop: Header=BB7_71 Depth=2
	v_lshlrev_b32_e32 v1, 5, v96
	v_bfe_u32 v5, v87, 9, 1
	s_mov_b32 s29, exec_lo
	s_delay_alu instid0(VALU_DEP_2) | instskip(NEXT) | instid1(VALU_DEP_1)
	v_sub_nc_u32_e32 v1, v53, v1
	v_ashrrev_i32_e32 v2, 31, v1
	s_delay_alu instid0(VALU_DEP_1) | instskip(NEXT) | instid1(VALU_DEP_1)
	v_lshrrev_b32_e32 v2, 27, v2
	v_add_nc_u32_e32 v2, v1, v2
	s_delay_alu instid0(VALU_DEP_1) | instskip(SKIP_1) | instid1(VALU_DEP_2)
	v_and_b32_e32 v3, 0xffffffe0, v2
	v_ashrrev_i32_e32 v2, 5, v2
	v_sub_nc_u32_e32 v30, v1, v3
	v_and_b32_e32 v3, 0x3ff, v87
	v_and_b32_e32 v1, 0x200, v87
	s_delay_alu instid0(VALU_DEP_3) | instskip(NEXT) | instid1(VALU_DEP_2)
	v_lshlrev_b32_e32 v4, 4, v30
	v_sub_nc_u32_e32 v31, v3, v1
	s_delay_alu instid0(VALU_DEP_2) | instskip(NEXT) | instid1(VALU_DEP_2)
	v_lshl_add_u32 v1, v2, 9, v4
	v_cmp_lt_i32_e32 vcc_lo, 15, v31
	s_delay_alu instid0(VALU_DEP_2) | instskip(SKIP_1) | instid1(VALU_DEP_1)
	v_sub_nc_u32_e32 v33, v3, v1
	v_add_co_ci_u32_e64 v4, s11, 0, v5, vcc_lo
	v_sub_nc_u32_e32 v32, v4, v2
	s_delay_alu instid0(VALU_DEP_3)
	v_cmpx_lt_i32_e32 15, v33
	s_cbranch_execz .LBB7_202
; %bb.197:                              ;   in Loop: Header=BB7_71 Depth=2
	ds_load_b64 v[4:5], v85 offset:584
	ds_load_b64 v[6:7], v0 offset:584
	v_add_nc_u32_e32 v26, v1, v0
	v_cmp_lt_i32_e64 s11, 1, v86
	s_mov_b32 vcc_hi, 0
	s_delay_alu instid0(VALU_DEP_2) | instskip(NEXT) | instid1(VALU_DEP_1)
	v_ashrrev_i32_e32 v27, 31, v26
	v_dual_mov_b32 v29, v27 :: v_dual_mov_b32 v28, v26
	s_set_inst_prefetch_distance 0x1
	s_branch .LBB7_199
.LBB7_198:                              ;   in Loop: Header=BB7_199 Depth=3
	s_or_b32 exec_lo, exec_lo, s13
	v_sub_nc_u32_e32 v33, v33, v50
	v_add_co_u32 v28, s12, v28, v50
	s_delay_alu instid0(VALU_DEP_1) | instskip(NEXT) | instid1(VALU_DEP_3)
	v_add_co_ci_u32_e64 v29, s12, v29, v80, s12
	v_cmp_gt_i32_e64 s12, 16, v33
	v_add_co_u32 v26, s13, v26, v65
	v_sub_nc_u32_e32 v32, v32, v12
	v_add_co_ci_u32_e64 v27, s13, v27, v66, s13
	s_delay_alu instid0(VALU_DEP_4) | instskip(NEXT) | instid1(SALU_CYCLE_1)
	s_or_b32 vcc_hi, s12, vcc_hi
	s_and_not1_b32 exec_lo, exec_lo, vcc_hi
	s_cbranch_execz .LBB7_201
.LBB7_199:                              ;   Parent Loop BB7_4 Depth=1
                                        ;     Parent Loop BB7_71 Depth=2
                                        ; =>    This Inner Loop Header: Depth=3
	s_waitcnt lgkmcnt(0)
	v_add_co_u32 v0, s12, v6, v26
	s_delay_alu instid0(VALU_DEP_1) | instskip(SKIP_1) | instid1(VALU_DEP_1)
	v_add_co_ci_u32_e64 v1, s12, v7, v27, s12
	v_add_co_u32 v96, s12, v4, v26
	v_add_co_ci_u32_e64 v97, s12, v5, v27, s12
	global_load_b128 v[0:3], v[0:1], off slc dlc
	s_waitcnt vmcnt(0)
	global_store_b128 v[96:97], v[0:3], off glc slc dlc
	s_and_saveexec_b32 s13, s11
	s_cbranch_execz .LBB7_198
; %bb.200:                              ;   in Loop: Header=BB7_199 Depth=3
	ds_load_b64 v[96:97], v85 offset:592
	s_waitcnt lgkmcnt(0)
	v_add_co_u32 v96, s12, v28, v96
	s_delay_alu instid0(VALU_DEP_1)
	v_add_co_ci_u32_e64 v97, s12, v29, v97, s12
	global_store_b128 v[96:97], v[0:3], off glc slc dlc
	s_branch .LBB7_198
.LBB7_201:                              ;   in Loop: Header=BB7_71 Depth=2
	s_set_inst_prefetch_distance 0x2
	s_or_b32 exec_lo, exec_lo, vcc_hi
.LBB7_202:                              ;   in Loop: Header=BB7_71 Depth=2
	s_delay_alu instid0(SALU_CYCLE_1) | instskip(SKIP_3) | instid1(VALU_DEP_1)
	s_or_b32 exec_lo, exec_lo, s29
	v_dual_mov_b32 v6, 0 :: v_dual_and_b32 v1, 15, v87
	s_mov_b32 s12, 0
	s_mov_b32 s13, exec_lo
                                        ; implicit-def: $vgpr7
                                        ; implicit-def: $vgpr4
	v_cndmask_b32_e32 v0, v31, v1, vcc_lo
	s_delay_alu instid0(VALU_DEP_1)
	v_cmpx_ne_u32_e32 0, v0
	s_cbranch_execz .LBB7_204
; %bb.203:                              ;   in Loop: Header=BB7_71 Depth=2
	v_cmp_lt_i32_e64 s11, 0, v32
	v_sub_nc_u32_e32 v1, v31, v1
	v_and_b32_e32 v3, 0x7ffffe00, v87
	s_mov_b32 s12, exec_lo
	s_delay_alu instid0(VALU_DEP_3) | instskip(NEXT) | instid1(VALU_DEP_1)
	v_cndmask_b32_e64 v2, 0, v12, s11
	v_sub_nc_u32_e32 v2, v2, v32
	s_delay_alu instid0(VALU_DEP_1) | instskip(NEXT) | instid1(VALU_DEP_1)
	v_lshl_add_u32 v7, v2, 5, v30
	v_ashrrev_i32_e32 v2, 31, v7
	s_delay_alu instid0(VALU_DEP_1) | instskip(NEXT) | instid1(VALU_DEP_1)
	v_lshrrev_b32_e32 v2, 27, v2
	v_dual_cndmask_b32 v1, 0, v1 :: v_dual_add_nc_u32 v2, v7, v2
	s_delay_alu instid0(VALU_DEP_1) | instskip(NEXT) | instid1(VALU_DEP_2)
	v_add_nc_u32_e32 v6, v1, v3
	v_ashrrev_i32_e32 v4, 5, v2
.LBB7_204:                              ;   in Loop: Header=BB7_71 Depth=2
	s_or_b32 exec_lo, exec_lo, s13
	v_mov_b32_e32 v87, v0
	s_and_b32 s11, s12, exec_lo
.LBB7_205:                              ;   in Loop: Header=BB7_71 Depth=2
	s_or_b32 exec_lo, exec_lo, s28
.LBB7_206:                              ;   in Loop: Header=BB7_71 Depth=2
	s_and_saveexec_b32 s13, s11
	s_cbranch_execz .LBB7_219
; %bb.207:                              ;   in Loop: Header=BB7_71 Depth=2
	v_ashrrev_i32_e32 v0, 31, v87
	s_mov_b32 s28, exec_lo
	s_delay_alu instid0(VALU_DEP_1) | instskip(NEXT) | instid1(VALU_DEP_1)
	v_lshrrev_b32_e32 v0, 24, v0
	v_add_nc_u32_e32 v0, v87, v0
	s_delay_alu instid0(VALU_DEP_1) | instskip(NEXT) | instid1(VALU_DEP_1)
	v_ashrrev_i32_e32 v27, 8, v0
	v_sub_nc_u32_e32 v26, v27, v4
	s_delay_alu instid0(VALU_DEP_1)
	v_cmpx_lt_i32_e32 0, v26
	s_cbranch_execz .LBB7_213
; %bb.208:                              ;   in Loop: Header=BB7_71 Depth=2
	v_ashrrev_i32_e32 v0, 31, v7
	v_lshlrev_b32_e32 v4, 8, v4
	v_cmp_lt_i32_e32 vcc_lo, 1, v86
	s_mov_b32 s29, 0
	s_delay_alu instid0(VALU_DEP_3) | instskip(NEXT) | instid1(VALU_DEP_1)
	v_lshrrev_b32_e32 v0, 27, v0
	v_add_nc_u32_e32 v0, v7, v0
	s_delay_alu instid0(VALU_DEP_1) | instskip(NEXT) | instid1(VALU_DEP_1)
	v_and_b32_e32 v5, 0xffffffe0, v0
	v_sub_nc_u32_e32 v5, v7, v5
	s_delay_alu instid0(VALU_DEP_1)
	v_add3_u32 v28, v5, v4, v6
	v_mov_b32_e32 v4, 0
	v_mov_b32_e32 v5, 0
	ds_load_b64 v[0:1], v0 offset:584
	ds_load_b64 v[2:3], v85 offset:584
	v_ashrrev_i32_e32 v29, 31, v28
	s_branch .LBB7_210
.LBB7_209:                              ;   in Loop: Header=BB7_210 Depth=3
	s_or_b32 exec_lo, exec_lo, s12
	v_add_co_u32 v4, s11, v4, v51
	v_sub_nc_u32_e32 v26, v26, v12
	v_add_co_ci_u32_e64 v5, s11, v5, v81, s11
	v_add_co_u32 v0, s11, v0, v67
	s_delay_alu instid0(VALU_DEP_1) | instskip(NEXT) | instid1(VALU_DEP_4)
	v_add_co_ci_u32_e64 v1, s11, v1, v68, s11
	v_cmp_gt_i32_e64 s11, 1, v26
	v_add_co_u32 v2, s12, v2, v67
	s_delay_alu instid0(VALU_DEP_1) | instskip(NEXT) | instid1(VALU_DEP_3)
	v_add_co_ci_u32_e64 v3, s12, v3, v68, s12
	s_or_b32 s29, s11, s29
	s_delay_alu instid0(SALU_CYCLE_1)
	s_and_not1_b32 exec_lo, exec_lo, s29
	s_cbranch_execz .LBB7_212
.LBB7_210:                              ;   Parent Loop BB7_4 Depth=1
                                        ;     Parent Loop BB7_71 Depth=2
                                        ; =>    This Inner Loop Header: Depth=3
	s_waitcnt lgkmcnt(1)
	v_add_co_u32 v99, s11, v28, v0
	s_delay_alu instid0(VALU_DEP_1)
	v_add_co_ci_u32_e64 v100, s11, v29, v1, s11
	s_clause 0x7
	flat_load_u8 v30, v[99:100] slc dlc
	flat_load_u8 v31, v[99:100] offset:32 slc dlc
	flat_load_u8 v32, v[99:100] offset:64 slc dlc
	;; [unrolled: 1-line block ×7, first 2 shown]
	s_waitcnt lgkmcnt(8)
	v_add_co_u32 v100, s11, v28, v2
	s_delay_alu instid0(VALU_DEP_1)
	v_add_co_ci_u32_e64 v101, s11, v29, v3, s11
	s_waitcnt vmcnt(7) lgkmcnt(7)
	flat_store_b8 v[100:101], v30 glc slc dlc
	s_waitcnt vmcnt(6) lgkmcnt(7)
	flat_store_b8 v[100:101], v31 offset:32 glc slc dlc
	s_waitcnt vmcnt(5) lgkmcnt(7)
	flat_store_b8 v[100:101], v32 offset:64 glc slc dlc
	;; [unrolled: 2-line block ×7, first 2 shown]
	s_and_saveexec_b32 s12, vcc_lo
	s_cbranch_execz .LBB7_209
; %bb.211:                              ;   in Loop: Header=BB7_210 Depth=3
	ds_load_b64 v[100:101], v85 offset:592
	v_add_co_u32 v102, s11, v28, v4
	s_delay_alu instid0(VALU_DEP_1) | instskip(SKIP_1) | instid1(VALU_DEP_2)
	v_add_co_ci_u32_e64 v103, s11, v29, v5, s11
	s_waitcnt lgkmcnt(0)
	v_add_co_u32 v100, s11, v102, v100
	s_delay_alu instid0(VALU_DEP_1)
	v_add_co_ci_u32_e64 v101, s11, v103, v101, s11
	s_clause 0x7
	flat_store_b8 v[100:101], v30 glc slc dlc
	flat_store_b8 v[100:101], v31 offset:32 glc slc dlc
	flat_store_b8 v[100:101], v32 offset:64 glc slc dlc
	;; [unrolled: 1-line block ×7, first 2 shown]
	s_branch .LBB7_209
.LBB7_212:                              ;   in Loop: Header=BB7_71 Depth=2
	s_or_b32 exec_lo, exec_lo, s29
.LBB7_213:                              ;   in Loop: Header=BB7_71 Depth=2
	s_delay_alu instid0(SALU_CYCLE_1) | instskip(SKIP_1) | instid1(VALU_DEP_1)
	s_or_b32 exec_lo, exec_lo, s28
	v_lshlrev_b32_e32 v0, 8, v27
	v_cmp_ne_u32_e32 vcc_lo, v87, v0
	s_and_b32 exec_lo, exec_lo, vcc_lo
	s_cbranch_execz .LBB7_219
; %bb.214:                              ;   in Loop: Header=BB7_71 Depth=2
	v_ashrrev_i32_e32 v1, 31, v7
	v_lshlrev_b32_e32 v2, 5, v26
	s_delay_alu instid0(VALU_DEP_2) | instskip(NEXT) | instid1(VALU_DEP_1)
	v_lshrrev_b32_e32 v1, 27, v1
	v_add_nc_u32_e32 v1, v7, v1
	s_delay_alu instid0(VALU_DEP_1) | instskip(NEXT) | instid1(VALU_DEP_1)
	v_and_b32_e32 v1, 0xffffffe0, v1
	v_sub_nc_u32_e32 v1, v7, v1
	s_delay_alu instid0(VALU_DEP_1) | instskip(NEXT) | instid1(VALU_DEP_1)
	v_sub_nc_u32_e32 v1, v1, v2
	v_add_nc_u32_e32 v4, v0, v1
	s_delay_alu instid0(VALU_DEP_1) | instskip(NEXT) | instid1(VALU_DEP_1)
	v_sub_nc_u32_e32 v26, v87, v4
	v_cmp_lt_i32_e32 vcc_lo, 0, v26
	s_and_b32 exec_lo, exec_lo, vcc_lo
	s_cbranch_execz .LBB7_219
; %bb.215:                              ;   in Loop: Header=BB7_71 Depth=2
	ds_load_b64 v[0:1], v85 offset:584
	v_add_nc_u32_e32 v4, v4, v6
	v_cmp_lt_i32_e32 vcc_lo, 1, v86
	s_mov_b32 s28, 0
	s_delay_alu instid0(VALU_DEP_2) | instskip(NEXT) | instid1(VALU_DEP_1)
	v_ashrrev_i32_e32 v5, 31, v4
	v_dual_mov_b32 v7, v5 :: v_dual_mov_b32 v6, v4
	s_waitcnt lgkmcnt(0)
	ds_load_b64 v[2:3], v0 offset:584
	s_set_inst_prefetch_distance 0x1
	s_branch .LBB7_217
.LBB7_216:                              ;   in Loop: Header=BB7_217 Depth=3
	s_or_b32 exec_lo, exec_lo, s12
	v_sub_nc_u32_e32 v26, v26, v39
	v_add_co_u32 v6, s11, v6, v39
	s_delay_alu instid0(VALU_DEP_1) | instskip(NEXT) | instid1(VALU_DEP_3)
	v_add_co_ci_u32_e64 v7, s11, v7, v82, s11
	v_cmp_gt_i32_e64 s11, 1, v26
	v_add_co_u32 v4, s12, v4, v69
	s_delay_alu instid0(VALU_DEP_1) | instskip(NEXT) | instid1(VALU_DEP_3)
	v_add_co_ci_u32_e64 v5, s12, v5, v70, s12
	s_or_b32 s28, s11, s28
	s_delay_alu instid0(SALU_CYCLE_1)
	s_and_not1_b32 exec_lo, exec_lo, s28
	s_cbranch_execz .LBB7_219
.LBB7_217:                              ;   Parent Loop BB7_4 Depth=1
                                        ;     Parent Loop BB7_71 Depth=2
                                        ; =>    This Inner Loop Header: Depth=3
	s_waitcnt lgkmcnt(0)
	v_add_co_u32 v27, s11, v2, v4
	s_delay_alu instid0(VALU_DEP_1) | instskip(SKIP_2) | instid1(VALU_DEP_1)
	v_add_co_ci_u32_e64 v28, s11, v3, v5, s11
	flat_load_u8 v27, v[27:28] slc dlc
	v_add_co_u32 v28, s11, v0, v4
	v_add_co_ci_u32_e64 v29, s11, v1, v5, s11
	s_waitcnt vmcnt(0) lgkmcnt(0)
	flat_store_b8 v[28:29], v27 glc slc dlc
	s_and_saveexec_b32 s12, vcc_lo
	s_cbranch_execz .LBB7_216
; %bb.218:                              ;   in Loop: Header=BB7_217 Depth=3
	ds_load_b64 v[28:29], v85 offset:592
	s_waitcnt lgkmcnt(0)
	v_add_co_u32 v28, s11, v6, v28
	s_delay_alu instid0(VALU_DEP_1)
	v_add_co_ci_u32_e64 v29, s11, v7, v29, s11
	flat_store_b8 v[28:29], v27 glc slc dlc
	s_branch .LBB7_216
.LBB7_219:                              ;   in Loop: Header=BB7_71 Depth=2
	s_set_inst_prefetch_distance 0x2
	s_or_b32 exec_lo, exec_lo, s13
	v_and_b32_e32 v0, 16, v9
	v_cmp_ne_u32_e32 vcc_lo, 0, v23
	s_delay_alu instid0(VALU_DEP_2)
	v_cmp_ne_u32_e64 s11, 0, v0
	s_and_b32 s12, vcc_lo, s27
	s_delay_alu instid0(VALU_DEP_1) | instid1(SALU_CYCLE_1)
	s_and_b32 s12, s12, s11
	s_delay_alu instid0(SALU_CYCLE_1)
	s_and_saveexec_b32 s11, s12
	s_cbranch_execz .LBB7_223
; %bb.220:                              ;   in Loop: Header=BB7_71 Depth=2
	flat_load_b64 v[0:1], v[20:21] offset:16
	s_mov_b32 s13, exec_lo
	s_waitcnt vmcnt(0) lgkmcnt(0)
	v_cmpx_ne_u64_e32 0, v[0:1]
	s_cbranch_execz .LBB7_222
; %bb.221:                              ;   in Loop: Header=BB7_71 Depth=2
	ds_load_b32 v2, v0 offset:12
	v_and_b32_e32 v3, 7, v18
	s_delay_alu instid0(VALU_DEP_1) | instskip(SKIP_2) | instid1(VALU_DEP_1)
	v_mad_u64_u32 v[4:5], null, v3, 24, v[0:1]
	s_waitcnt lgkmcnt(0)
	v_add_nc_u32_e32 v2, v2, v84
	v_ashrrev_i32_e32 v3, 31, v2
	flat_store_b64 v[4:5], v[2:3] offset:8
.LBB7_222:                              ;   in Loop: Header=BB7_71 Depth=2
	s_or_b32 exec_lo, exec_lo, s13
	flat_load_b64 v[0:1], v[20:21] offset:8
	v_add_co_u32 v18, vcc_lo, v18, 1
	v_add_co_ci_u32_e32 v19, vcc_lo, 0, v19, vcc_lo
	flat_store_b64 v[20:21], v[18:19]
	s_waitcnt vmcnt(0) lgkmcnt(1)
	flat_store_b64 v[0:1], v[18:19] offset:104 glc slc dlc
.LBB7_223:                              ;   in Loop: Header=BB7_71 Depth=2
	s_or_b32 exec_lo, exec_lo, s11
	v_and_b32_e32 v0, 32, v9
	v_cmp_ne_u32_e32 vcc_lo, 0, v22
	s_delay_alu instid0(VALU_DEP_2)
	v_cmp_ne_u32_e64 s11, 0, v0
	s_and_b32 s13, s26, vcc_lo
	s_delay_alu instid0(VALU_DEP_1) | instid1(SALU_CYCLE_1)
	s_and_b32 s13, s13, s11
	s_delay_alu instid0(SALU_CYCLE_1)
	s_and_saveexec_b32 s11, s13
	s_cbranch_execz .LBB7_225
; %bb.224:                              ;   in Loop: Header=BB7_71 Depth=2
	flat_load_b64 v[0:1], v[20:21] offset:8
	v_add_co_u32 v18, vcc_lo, v18, 1
	v_add_co_ci_u32_e32 v19, vcc_lo, 0, v19, vcc_lo
	flat_store_b64 v[20:21], v[18:19]
	s_waitcnt vmcnt(0) lgkmcnt(1)
	flat_store_b64 v[0:1], v[18:19] offset:104 glc slc dlc
.LBB7_225:                              ;   in Loop: Header=BB7_71 Depth=2
	s_or_b32 exec_lo, exec_lo, s11
	ds_load_b32 v0, v0
	s_mov_b32 s11, exec_lo
	s_waitcnt lgkmcnt(0)
	v_cmpx_lt_i32_e32 -1, v0
	s_xor_b32 s11, exec_lo, s11
	s_cbranch_execz .LBB7_229
; %bb.226:                              ;   in Loop: Header=BB7_71 Depth=2
	v_and_b32_e32 v0, 4, v9
	s_mov_b32 s26, exec_lo
	s_delay_alu instid0(VALU_DEP_1)
	v_cmpx_ne_u32_e32 0, v0
	s_cbranch_execz .LBB7_228
; %bb.227:                              ;   in Loop: Header=BB7_71 Depth=2
	flat_load_b32 v4, v[20:21] offset:64
	ds_load_2addr_b32 v[0:1], v0 offset0:2 offset1:4
	s_waitcnt lgkmcnt(0)
	v_add_nc_u32_e32 v2, v0, v84
	v_ashrrev_i32_e32 v0, 31, v1
	v_add_co_u32 v6, vcc_lo, v18, v1
	s_delay_alu instid0(VALU_DEP_3) | instskip(NEXT) | instid1(VALU_DEP_3)
	v_ashrrev_i32_e32 v3, 31, v2
	v_add_co_ci_u32_e32 v7, vcc_lo, v19, v0, vcc_lo
	s_waitcnt vmcnt(0)
	v_ashrrev_i32_e32 v5, 31, v4
	s_delay_alu instid0(VALU_DEP_3) | instskip(NEXT) | instid1(VALU_DEP_3)
	v_mad_u64_u32 v[0:1], null, v6, v4, v[2:3]
	v_mul_lo_u32 v3, v7, v4
	s_delay_alu instid0(VALU_DEP_3) | instskip(NEXT) | instid1(VALU_DEP_1)
	v_mul_lo_u32 v2, v6, v5
	v_add3_u32 v1, v3, v1, v2
	flat_atomic_max_i64 v[20:21], v[0:1] offset:56
.LBB7_228:                              ;   in Loop: Header=BB7_71 Depth=2
	s_or_b32 exec_lo, exec_lo, s26
                                        ; implicit-def: $vgpr24_vgpr25
.LBB7_229:                              ;   in Loop: Header=BB7_71 Depth=2
	s_and_not1_saveexec_b32 s26, s11
	s_cbranch_execz .LBB7_236
; %bb.230:                              ;   in Loop: Header=BB7_71 Depth=2
	s_and_saveexec_b32 s27, s10
	s_cbranch_execz .LBB7_235
; %bb.231:                              ;   in Loop: Header=BB7_71 Depth=2
	s_mov_b32 s28, exec_lo
	s_mov_b64 s[10:11], s[14:15]
.LBB7_232:                              ;   Parent Loop BB7_4 Depth=1
                                        ;     Parent Loop BB7_71 Depth=2
                                        ; =>    This Inner Loop Header: Depth=3
	s_ctz_i32_b32 s29, s28
	s_delay_alu instid0(SALU_CYCLE_1) | instskip(SKIP_1) | instid1(VALU_DEP_1)
	v_readlane_b32 vcc_hi, v25, s29
	v_readlane_b32 vcc_lo, v24, s29
	v_cmp_gt_i64_e64 s30, s[10:11], vcc
	s_delay_alu instid0(VALU_DEP_1) | instskip(SKIP_3) | instid1(SALU_CYCLE_1)
	s_and_b32 s30, s30, exec_lo
	s_cselect_b32 s11, s11, vcc_hi
	s_cselect_b32 s10, s10, vcc_lo
	s_lshl_b32 s29, 1, s29
	s_and_not1_b32 s28, s28, s29
	s_delay_alu instid0(SALU_CYCLE_1)
	s_cmp_lg_u32 s28, 0
	s_cbranch_scc1 .LBB7_232
; %bb.233:                              ;   in Loop: Header=BB7_71 Depth=2
	v_mbcnt_lo_u32_b32 v0, exec_lo, 0
	s_mov_b32 s28, exec_lo
	s_delay_alu instid0(VALU_DEP_1)
	v_cmpx_eq_u32_e32 0, v0
	s_xor_b32 s28, exec_lo, s28
	s_cbranch_execz .LBB7_235
; %bb.234:                              ;   in Loop: Header=BB7_71 Depth=2
	v_dual_mov_b32 v0, s10 :: v_dual_mov_b32 v1, s11
	ds_max_i64 v0, v[0:1]
	s_cbranch_execnz .LBB7_523
.LBB7_235:                              ;   in Loop: Header=BB7_71 Depth=2
	s_or_b32 exec_lo, exec_lo, s27
.LBB7_236:                              ;   in Loop: Header=BB7_71 Depth=2
	s_delay_alu instid0(SALU_CYCLE_1) | instskip(SKIP_1) | instid1(SALU_CYCLE_1)
	s_or_b32 exec_lo, exec_lo, s26
	s_and_saveexec_b32 s10, s6
	s_xor_b32 s10, exec_lo, s10
	s_cbranch_execz .LBB7_254
; %bb.237:                              ;   in Loop: Header=BB7_71 Depth=2
	s_and_saveexec_b32 s11, s7
	s_cbranch_execz .LBB7_253
; %bb.238:                              ;   in Loop: Header=BB7_71 Depth=2
	s_mov_b32 s27, exec_lo
	s_mov_b32 s26, exec_lo
	v_mbcnt_lo_u32_b32 v0, s27, 0
	s_waitcnt lgkmcnt(0)
	s_waitcnt_vscnt null, 0x0
	buffer_gl1_inv
	buffer_gl0_inv
	v_cmpx_eq_u32_e32 0, v0
	s_cbranch_execz .LBB7_240
; %bb.239:                              ;   in Loop: Header=BB7_71 Depth=2
	s_bcnt1_i32_b32 s27, s27
	s_delay_alu instid0(SALU_CYCLE_1)
	v_dual_mov_b32 v1, v8 :: v_dual_mov_b32 v0, s27
	ds_add_u64 v0, v[0:1]
	s_cbranch_execnz .LBB7_525
.LBB7_240:                              ;   in Loop: Header=BB7_71 Depth=2
	s_or_b32 exec_lo, exec_lo, s26
	s_cbranch_execnz .LBB7_519
; %bb.241:                              ;   in Loop: Header=BB7_71 Depth=2
	ds_load_b64 v[0:1], v0
	v_add_co_u32 v14, vcc_lo, v14, 4
	v_add_co_ci_u32_e32 v15, vcc_lo, 0, v15, vcc_lo
	s_mov_b32 s26, exec_lo
	s_waitcnt lgkmcnt(0)
	s_delay_alu instid0(VALU_DEP_1)
	v_cmpx_lt_u64_e64 v[0:1], v[14:15]
	s_cbranch_execz .LBB7_252
; %bb.242:                              ;   in Loop: Header=BB7_71 Depth=2
	s_mov_b32 s27, 0
	s_mov_b32 vcc_hi, 0
                                        ; implicit-def: $sgpr28
                                        ; implicit-def: $sgpr29
	s_branch .LBB7_244
.LBB7_243:                              ;   in Loop: Header=BB7_244 Depth=3
	s_or_b32 exec_lo, exec_lo, s31
	s_delay_alu instid0(SALU_CYCLE_1) | instskip(NEXT) | instid1(SALU_CYCLE_1)
	s_and_b32 vcc_lo, exec_lo, vcc_lo
	s_or_b32 s27, vcc_lo, s27
	s_and_not1_b32 s28, s28, exec_lo
	s_and_b32 vcc_lo, s29, exec_lo
	s_delay_alu instid0(SALU_CYCLE_1)
	s_or_b32 s28, s28, vcc_lo
	s_and_not1_b32 exec_lo, exec_lo, s27
	s_cbranch_execz .LBB7_250
.LBB7_244:                              ;   Parent Loop BB7_4 Depth=1
                                        ;     Parent Loop BB7_71 Depth=2
                                        ; =>    This Inner Loop Header: Depth=3
	s_add_i32 vcc_hi, vcc_hi, 1
                                        ; implicit-def: $sgpr31
	s_delay_alu instid0(SALU_CYCLE_1) | instskip(SKIP_1) | instid1(SALU_CYCLE_1)
	s_cmpk_lg_i32 vcc_hi, 0x2710
	s_cselect_b32 s30, -1, 0
	s_and_b32 vcc_lo, exec_lo, s30
	s_cbranch_vccz .LBB7_248
.LBB7_245:                              ;   in Loop: Header=BB7_244 Depth=3
	s_and_not1_b32 s29, s29, exec_lo
	s_and_b32 s31, s31, exec_lo
	s_mov_b32 vcc_lo, -1
	s_or_b32 s29, s29, s31
	s_and_saveexec_b32 s31, s30
	s_cbranch_execz .LBB7_243
; %bb.246:                              ;   in Loop: Header=BB7_244 Depth=3
	s_sleep 1
	s_cbranch_execnz .LBB7_529
; %bb.247:                              ;   in Loop: Header=BB7_244 Depth=3
	ds_load_b64 v[0:1], v0
	s_and_not1_b32 s29, s29, exec_lo
	s_waitcnt lgkmcnt(0)
	v_cmp_ge_u64_e32 vcc_lo, v[0:1], v[14:15]
	s_or_not1_b32 vcc_lo, vcc_lo, exec_lo
	s_branch .LBB7_243
.LBB7_248:                              ;   in Loop: Header=BB7_244 Depth=3
	s_cbranch_execnz .LBB7_539
; %bb.249:                              ;   in Loop: Header=BB7_244 Depth=3
	ds_load_b64 v[0:1], v0
	s_and_not1_b32 s30, s30, exec_lo
	s_mov_b32 s31, -1
	s_waitcnt lgkmcnt(0)
	flat_load_b32 v0, v[0:1] glc
	s_waitcnt vmcnt(0) lgkmcnt(0)
	buffer_gl1_inv
	buffer_gl0_inv
	v_cmp_eq_u32_e32 vcc_lo, 0, v0
	s_mov_b32 vcc_hi, 0
	s_and_b32 vcc_lo, vcc_lo, exec_lo
	s_delay_alu instid0(SALU_CYCLE_1)
	s_or_b32 s30, s30, vcc_lo
	s_branch .LBB7_245
.LBB7_250:                              ;   in Loop: Header=BB7_71 Depth=2
	s_or_b32 exec_lo, exec_lo, s27
	s_and_saveexec_b32 s27, s28
	s_delay_alu instid0(SALU_CYCLE_1)
	s_xor_b32 s27, exec_lo, s27
	s_cbranch_execz .LBB7_252
; %bb.251:                              ;   in Loop: Header=BB7_71 Depth=2
	ds_store_b32 v0, v11
	s_cbranch_execnz .LBB7_541
.LBB7_252:                              ;   in Loop: Header=BB7_71 Depth=2
	s_or_b32 exec_lo, exec_lo, s26
	;;#ASMSTART
	s_wakeup
	;;#ASMEND
.LBB7_253:                              ;   in Loop: Header=BB7_71 Depth=2
	s_or_b32 exec_lo, exec_lo, s11
.LBB7_254:                              ;   in Loop: Header=BB7_71 Depth=2
	s_and_not1_saveexec_b32 s10, s10
	s_cbranch_execz .LBB7_262
; %bb.255:                              ;   in Loop: Header=BB7_71 Depth=2
	s_waitcnt lgkmcnt(0)
	s_waitcnt_vscnt null, 0x0
	buffer_gl1_inv
	buffer_gl0_inv
	s_barrier
	s_or_b32 exec_lo, exec_lo, s10
	s_and_saveexec_b32 s10, s12
	s_cbranch_execnz .LBB7_263
.LBB7_256:                              ;   in Loop: Header=BB7_71 Depth=2
	s_or_b32 exec_lo, exec_lo, s10
	s_and_saveexec_b32 s10, s13
	s_cbranch_execz .LBB7_258
.LBB7_257:                              ;   in Loop: Header=BB7_71 Depth=2
	flat_load_b64 v[0:1], v[20:21] offset:32
	s_waitcnt vmcnt(0) lgkmcnt(0)
	flat_store_b64 v[0:1], v[18:19] glc slc dlc
.LBB7_258:                              ;   in Loop: Header=BB7_71 Depth=2
	s_or_b32 exec_lo, exec_lo, s10
.LBB7_259:                              ;   in Loop: Header=BB7_71 Depth=2
	s_delay_alu instid0(SALU_CYCLE_1)
	s_or_b32 exec_lo, exec_lo, s25
	s_and_saveexec_b32 s10, s9
	s_cbranch_execz .LBB7_261
; %bb.260:                              ;   in Loop: Header=BB7_71 Depth=2
	ds_store_b32 v0, v8 offset:36
.LBB7_261:                              ;   in Loop: Header=BB7_71 Depth=2
	s_or_b32 exec_lo, exec_lo, s10
	s_waitcnt lgkmcnt(0)
	v_cmp_ne_u32_e32 vcc_lo, 0, v83
	v_add_nc_u32_e32 v48, v48, v64
	s_or_b32 s24, vcc_lo, s24
	s_delay_alu instid0(SALU_CYCLE_1)
	s_and_not1_b32 exec_lo, exec_lo, s24
	s_cbranch_execnz .LBB7_71
	s_branch .LBB7_264
.LBB7_262:                              ;   in Loop: Header=BB7_71 Depth=2
	s_or_b32 exec_lo, exec_lo, s10
	s_and_saveexec_b32 s10, s12
	s_cbranch_execz .LBB7_256
.LBB7_263:                              ;   in Loop: Header=BB7_71 Depth=2
	flat_load_b64 v[0:1], v[20:21] offset:40
	s_waitcnt vmcnt(0) lgkmcnt(0)
	flat_store_b64 v[0:1], v[18:19] glc slc dlc
	s_or_b32 exec_lo, exec_lo, s10
	s_and_saveexec_b32 s10, s13
	s_cbranch_execnz .LBB7_257
	s_branch .LBB7_258
.LBB7_264:                              ;   in Loop: Header=BB7_4 Depth=1
	s_or_b32 exec_lo, exec_lo, s24
	v_and_b32_e32 v0, 0x800, v9
	s_delay_alu instid0(VALU_DEP_1)
	v_cmp_eq_u32_e32 vcc_lo, 0, v0
	s_and_b32 exec_lo, exec_lo, vcc_lo
	s_cbranch_execz .LBB7_297
; %bb.265:                              ;   in Loop: Header=BB7_4 Depth=1
	v_and_b32_e32 v0, 48, v9
	s_mov_b32 s8, exec_lo
	s_delay_alu instid0(VALU_DEP_1)
	v_cmpx_ne_u32_e32 0, v0
	s_cbranch_execz .LBB7_267
; %bb.266:                              ;   in Loop: Header=BB7_4 Depth=1
	v_mov_b32_e32 v0, 0x68
	v_mov_b32_e32 v1, 0
	flat_store_b64 v[0:1], v[18:19]
.LBB7_267:                              ;   in Loop: Header=BB7_4 Depth=1
	s_or_b32 exec_lo, exec_lo, s8
	v_and_b32_e32 v0, 0x88, v9
	s_mov_b32 s8, exec_lo
	s_delay_alu instid0(VALU_DEP_1)
	v_cmpx_eq_u32_e32 0x88, v0
	s_cbranch_execz .LBB7_280
; %bb.268:                              ;   in Loop: Header=BB7_4 Depth=1
	v_add_nc_u32_e32 v0, -1, v18
	s_mov_b32 s9, 0
                                        ; implicit-def: $sgpr10
	s_delay_alu instid0(VALU_DEP_1) | instskip(NEXT) | instid1(VALU_DEP_1)
	v_and_b32_e32 v2, 7, v0
	v_mad_u64_u32 v[0:1], null, v2, 24, 8
	v_mov_b32_e32 v2, 0
	s_branch .LBB7_273
.LBB7_269:                              ;   in Loop: Header=BB7_273 Depth=2
	s_or_b32 exec_lo, exec_lo, s25
	v_mov_b32_e32 v3, 0
	s_or_not1_b32 s24, s24, exec_lo
.LBB7_270:                              ;   in Loop: Header=BB7_273 Depth=2
	s_or_b32 exec_lo, exec_lo, s13
	s_delay_alu instid0(VALU_DEP_1)
	v_mov_b32_e32 v2, v3
	s_and_b32 s13, s24, exec_lo
.LBB7_271:                              ;   in Loop: Header=BB7_273 Depth=2
	s_or_b32 exec_lo, exec_lo, s12
	s_xor_b32 s12, s13, -1
	s_and_not1_b32 s10, s10, exec_lo
	s_and_b32 s12, s12, exec_lo
	s_delay_alu instid0(SALU_CYCLE_1)
	s_or_b32 s10, s10, s12
.LBB7_272:                              ;   in Loop: Header=BB7_273 Depth=2
	s_or_b32 exec_lo, exec_lo, s11
	s_delay_alu instid0(SALU_CYCLE_1) | instskip(NEXT) | instid1(SALU_CYCLE_1)
	s_and_b32 s11, exec_lo, s10
	s_or_b32 s9, s11, s9
	s_delay_alu instid0(SALU_CYCLE_1)
	s_and_not1_b32 exec_lo, exec_lo, s9
	s_cbranch_execz .LBB7_280
.LBB7_273:                              ;   Parent Loop BB7_4 Depth=1
                                        ; =>  This Inner Loop Header: Depth=2
	flat_load_b64 v[3:4], v[0:1] glc dlc
	s_waitcnt vmcnt(0)
	s_or_b32 s10, s10, exec_lo
	s_mov_b32 s11, exec_lo
	s_waitcnt lgkmcnt(0)
	v_cmpx_ne_u64_e32 -1, v[3:4]
	s_cbranch_execz .LBB7_272
; %bb.274:                              ;   in Loop: Header=BB7_273 Depth=2
	v_and_b32_e32 v3, 64, v9
	s_mov_b32 s13, 0
	s_mov_b32 s12, exec_lo
	s_delay_alu instid0(VALU_DEP_1)
	v_cmpx_eq_u32_e32 0, v3
	s_cbranch_execz .LBB7_271
; %bb.275:                              ;   in Loop: Header=BB7_273 Depth=2
	v_add_nc_u32_e32 v3, 1, v2
	s_mov_b32 s24, -1
	s_mov_b32 s13, exec_lo
	v_cmpx_lt_i32_e32 0x270e, v2
	s_cbranch_execz .LBB7_270
; %bb.276:                              ;   in Loop: Header=BB7_273 Depth=2
	s_cbranch_execnz .LBB7_517
; %bb.277:                              ;   in Loop: Header=BB7_273 Depth=2
	ds_load_b64 v[2:3], v0
	s_mov_b32 s25, exec_lo
	s_waitcnt lgkmcnt(0)
	s_waitcnt_vscnt null, 0x0
	flat_load_b32 v2, v[2:3] glc
	s_waitcnt vmcnt(0) lgkmcnt(0)
	buffer_gl1_inv
	buffer_gl0_inv
	v_cmpx_ne_u32_e32 0, v2
	s_cbranch_execz .LBB7_269
; %bb.278:                              ;   in Loop: Header=BB7_273 Depth=2
	ds_store_b32 v0, v2
	s_cbranch_execnz .LBB7_531
; %bb.279:                              ;   in Loop: Header=BB7_273 Depth=2
	v_or_b32_e32 v9, 64, v9
	s_xor_b32 s24, exec_lo, -1
	s_branch .LBB7_269
.LBB7_280:                              ;   in Loop: Header=BB7_4 Depth=1
	s_or_b32 exec_lo, exec_lo, s8
	v_cmp_ne_u32_e32 vcc_lo, 1, v12
	s_and_b32 exec_lo, exec_lo, vcc_lo
	s_cbranch_execz .LBB7_297
; %bb.281:                              ;   in Loop: Header=BB7_4 Depth=1
	s_and_saveexec_b32 s8, s6
	s_delay_alu instid0(SALU_CYCLE_1)
	s_xor_b32 s6, exec_lo, s8
	s_cbranch_execz .LBB7_295
; %bb.282:                              ;   in Loop: Header=BB7_4 Depth=1
	s_and_saveexec_b32 s8, s7
	s_cbranch_execz .LBB7_294
; %bb.283:                              ;   in Loop: Header=BB7_4 Depth=1
	v_mov_b32_e32 v0, 1
	v_mov_b32_e32 v1, 0
	s_waitcnt lgkmcnt(0)
	s_waitcnt_vscnt null, 0x0
	buffer_gl1_inv
	buffer_gl0_inv
	v_ashrrev_i32_e32 v13, 31, v12
	s_mov_b32 s7, exec_lo
	ds_add_u64 v0, v[0:1] offset:272
	ds_load_b64 v[0:1], v0 offset:272
	s_waitcnt lgkmcnt(0)
	v_cmpx_lt_u64_e64 v[0:1], v[12:13]
	s_cbranch_execz .LBB7_293
; %bb.284:                              ;   in Loop: Header=BB7_4 Depth=1
	s_mov_b32 s9, 0
	s_mov_b32 s12, 0
                                        ; implicit-def: $sgpr10
                                        ; implicit-def: $sgpr11
	s_branch .LBB7_286
.LBB7_285:                              ;   in Loop: Header=BB7_286 Depth=2
	s_or_b32 exec_lo, exec_lo, s25
	s_delay_alu instid0(SALU_CYCLE_1) | instskip(NEXT) | instid1(SALU_CYCLE_1)
	s_and_b32 s13, exec_lo, s24
	s_or_b32 s9, s13, s9
	s_and_not1_b32 s10, s10, exec_lo
	s_and_b32 s13, s11, exec_lo
	s_delay_alu instid0(SALU_CYCLE_1)
	s_or_b32 s10, s10, s13
	s_and_not1_b32 exec_lo, exec_lo, s9
	s_cbranch_execz .LBB7_291
.LBB7_286:                              ;   Parent Loop BB7_4 Depth=1
                                        ; =>  This Inner Loop Header: Depth=2
	s_add_i32 s12, s12, 1
                                        ; implicit-def: $sgpr24
	s_delay_alu instid0(SALU_CYCLE_1) | instskip(SKIP_1) | instid1(SALU_CYCLE_1)
	s_cmpk_lg_i32 s12, 0x2710
	s_cselect_b32 s13, -1, 0
	s_and_b32 vcc_lo, exec_lo, s13
	s_cbranch_vccnz .LBB7_289
; %bb.287:                              ;   in Loop: Header=BB7_286 Depth=2
	s_cbranch_execnz .LBB7_543
; %bb.288:                              ;   in Loop: Header=BB7_286 Depth=2
	ds_load_b64 v[0:1], v0
	s_and_not1_b32 s13, s13, exec_lo
	s_mov_b32 s12, 0
	s_mov_b32 s24, -1
	s_waitcnt lgkmcnt(0)
	flat_load_b32 v0, v[0:1] glc
	s_waitcnt vmcnt(0) lgkmcnt(0)
	buffer_gl1_inv
	buffer_gl0_inv
	v_cmp_eq_u32_e32 vcc_lo, 0, v0
	s_and_b32 s25, vcc_lo, exec_lo
	s_delay_alu instid0(SALU_CYCLE_1)
	s_or_b32 s13, s13, s25
.LBB7_289:                              ;   in Loop: Header=BB7_286 Depth=2
	s_and_not1_b32 s11, s11, exec_lo
	s_and_b32 s25, s24, exec_lo
	s_mov_b32 s24, -1
	s_or_b32 s11, s11, s25
	s_and_saveexec_b32 s25, s13
	s_cbranch_execz .LBB7_285
; %bb.290:                              ;   in Loop: Header=BB7_286 Depth=2
	s_sleep 1
	ds_load_b64 v[0:1], v0 offset:272
	s_and_not1_b32 s11, s11, exec_lo
	s_waitcnt lgkmcnt(0)
	v_cmp_ge_u64_e32 vcc_lo, v[0:1], v[12:13]
	s_or_not1_b32 s24, vcc_lo, exec_lo
	s_branch .LBB7_285
.LBB7_291:                              ;   in Loop: Header=BB7_4 Depth=1
	s_or_b32 exec_lo, exec_lo, s9
	s_and_saveexec_b32 s9, s10
	s_delay_alu instid0(SALU_CYCLE_1)
	s_xor_b32 s9, exec_lo, s9
	s_cbranch_execz .LBB7_293
; %bb.292:                              ;   in Loop: Header=BB7_4 Depth=1
	ds_store_b32 v0, v11
	s_cbranch_execnz .LBB7_545
.LBB7_293:                              ;   in Loop: Header=BB7_4 Depth=1
	s_or_b32 exec_lo, exec_lo, s7
	;;#ASMSTART
	s_wakeup
	;;#ASMEND
.LBB7_294:                              ;   in Loop: Header=BB7_4 Depth=1
	s_or_b32 exec_lo, exec_lo, s8
.LBB7_295:                              ;   in Loop: Header=BB7_4 Depth=1
	s_and_not1_saveexec_b32 s6, s6
	s_cbranch_execz .LBB7_297
; %bb.296:                              ;   in Loop: Header=BB7_4 Depth=1
	s_waitcnt lgkmcnt(0)
	s_waitcnt_vscnt null, 0x0
	buffer_gl1_inv
	buffer_gl0_inv
	s_barrier
.LBB7_297:                              ;   in Loop: Header=BB7_4 Depth=1
	s_or_b32 exec_lo, exec_lo, s23
                                        ; implicit-def: $vgpr2_vgpr3
                                        ; implicit-def: $vgpr14
                                        ; implicit-def: $vgpr12_vgpr13
                                        ; implicit-def: $vgpr16_vgpr17
                                        ; implicit-def: $vgpr4_vgpr5
.LBB7_298:                              ;   in Loop: Header=BB7_4 Depth=1
	s_and_not1_saveexec_b32 s6, s22
	s_cbranch_execz .LBB7_422
; %bb.299:                              ;   in Loop: Header=BB7_4 Depth=1
	v_sub_nc_u32_e64 v0, s20, 1 clamp
	v_add_co_u32 v6, vcc_lo, v4, v2
	v_add_co_ci_u32_e32 v7, vcc_lo, v5, v3, vcc_lo
	s_delay_alu instid0(VALU_DEP_3) | instskip(SKIP_2) | instid1(VALU_DEP_3)
	v_readfirstlane_b32 s6, v0
	v_add_co_u32 v12, vcc_lo, v14, v12
	v_add_co_ci_u32_e32 v13, vcc_lo, v15, v13, vcc_lo
	s_clz_i32_u32 s6, s6
	v_and_b32_e32 v0, 0x3ffffe00, v16
	s_sub_i32 s6, 32, s6
	s_clause 0x1
	scratch_store_b128 off, v[4:7], s32
	scratch_store_b64 off, v[12:13], s32 offset:16
	v_mov_b32_e32 v5, s20
	s_lshl_b32 s6, 1, s6
	s_cmp_gt_u32 s20, 1
	v_dual_mov_b32 v4, s21 :: v_dual_mov_b32 v1, v8
	s_cselect_b32 s8, s6, 1
	s_lshr_b32 s6, s20, 31
	v_mov_b32_e32 v6, s8
	s_add_i32 s20, s20, s6
	s_mov_b32 s11, 1
	s_ashr_i32 s6, s20, 1
	s_clause 0x3
	scratch_store_b32 off, v0, s32 offset:24
	scratch_store_b96 off, v[4:6], s32 offset:32
	scratch_store_b32 off, v6, s32 offset:68
	scratch_store_b64 off, v[10:11], s32 offset:52
	s_branch .LBB7_301
.LBB7_300:                              ;   in Loop: Header=BB7_301 Depth=2
	s_and_not1_b32 vcc_lo, exec_lo, s12
	s_cbranch_vccz .LBB7_305
.LBB7_301:                              ;   Parent Loop BB7_4 Depth=1
                                        ; =>  This Inner Loop Header: Depth=2
	s_mov_b32 s7, s11
	s_ashr_i32 s9, s11, 31
	v_mul_hi_u32 v4, v2, s7
	v_mul_lo_u32 v5, v2, s9
	v_mul_lo_u32 v6, v3, s7
	s_mov_b32 s9, s8
	s_delay_alu instid0(VALU_DEP_2) | instskip(SKIP_1) | instid1(VALU_DEP_2)
	v_add_nc_u32_e32 v5, v4, v5
	v_mul_lo_u32 v4, v2, s7
	v_add_nc_u32_e32 v5, v5, v6
	s_delay_alu instid0(VALU_DEP_1)
	v_cmp_lt_u64_e32 vcc_lo, v[0:1], v[4:5]
	v_mov_b32_e32 v5, 0
	v_mov_b32_e32 v6, 0
	s_cbranch_vccnz .LBB7_303
; %bb.302:                              ;   in Loop: Header=BB7_301 Depth=2
	v_cvt_f32_u32_e32 v5, v4
	v_sub_nc_u32_e32 v6, 0, v4
	s_delay_alu instid0(VALU_DEP_2) | instskip(SKIP_2) | instid1(VALU_DEP_1)
	v_rcp_iflag_f32_e32 v5, v5
	s_waitcnt_depctr 0xfff
	v_mul_f32_e32 v5, 0x4f7ffffe, v5
	v_cvt_u32_f32_e32 v5, v5
	s_delay_alu instid0(VALU_DEP_1) | instskip(NEXT) | instid1(VALU_DEP_1)
	v_mul_lo_u32 v6, v6, v5
	v_mul_hi_u32 v6, v5, v6
	s_delay_alu instid0(VALU_DEP_1) | instskip(NEXT) | instid1(VALU_DEP_1)
	v_add_nc_u32_e32 v5, v5, v6
	v_mul_hi_u32 v5, v0, v5
	s_delay_alu instid0(VALU_DEP_1) | instskip(SKIP_1) | instid1(VALU_DEP_2)
	v_mul_lo_u32 v6, v5, v4
	v_add_nc_u32_e32 v7, 1, v5
	v_sub_nc_u32_e32 v6, v0, v6
	s_delay_alu instid0(VALU_DEP_1) | instskip(SKIP_1) | instid1(VALU_DEP_2)
	v_sub_nc_u32_e32 v9, v6, v4
	v_cmp_ge_u32_e32 vcc_lo, v6, v4
	v_dual_cndmask_b32 v6, v6, v9 :: v_dual_cndmask_b32 v5, v5, v7
	s_delay_alu instid0(VALU_DEP_1) | instskip(NEXT) | instid1(VALU_DEP_2)
	v_cmp_ge_u32_e32 vcc_lo, v6, v4
	v_dual_mov_b32 v6, v8 :: v_dual_add_nc_u32 v7, 1, v5
	s_delay_alu instid0(VALU_DEP_1)
	v_cndmask_b32_e32 v5, v5, v7, vcc_lo
.LBB7_303:                              ;   in Loop: Header=BB7_301 Depth=2
	s_cmp_lt_i32 s7, s6
	s_delay_alu instid0(VALU_DEP_1) | instskip(SKIP_4) | instid1(SALU_CYCLE_1)
	v_cmp_gt_u64_e32 vcc_lo, 2, v[5:6]
	s_cselect_b32 s10, -1, 0
	s_cmp_ge_i32 s7, s6
	s_mov_b32 s12, -1
	s_cselect_b32 s8, -1, 0
                                        ; implicit-def: $sgpr11
	s_or_b32 s8, s8, vcc_lo
	s_delay_alu instid0(SALU_CYCLE_1)
	s_and_b32 vcc_lo, exec_lo, s8
                                        ; implicit-def: $sgpr8
	s_cbranch_vccnz .LBB7_300
; %bb.304:                              ;   in Loop: Header=BB7_301 Depth=2
	s_lshr_b32 s8, s9, 31
	s_lshl_b32 s11, s7, 1
	s_add_i32 s8, s9, s8
	s_mov_b32 s12, 0
	s_ashr_i32 s8, s8, 1
	s_delay_alu instid0(SALU_CYCLE_1)
	v_dual_mov_b32 v4, s11 :: v_dual_mov_b32 v5, s8
	s_clause 0x1
	scratch_store_b32 off, v4, s32 offset:56
	scratch_store_b32 off, v5, s32 offset:68
	s_branch .LBB7_300
.LBB7_305:                              ;   in Loop: Header=BB7_4 Depth=1
	v_mov_b32_e32 v4, s7
	s_cmp_gt_i32 s7, 3
	s_mov_b32 s8, 4
	scratch_store_b32 off, v4, s32 offset:44
	s_cbranch_scc1 .LBB7_307
; %bb.306:                              ;   in Loop: Header=BB7_4 Depth=1
	v_mov_b32_e32 v4, s7
	s_mov_b32 s8, s7
	scratch_store_b32 off, v4, s32 offset:52
.LBB7_307:                              ;   in Loop: Header=BB7_4 Depth=1
	s_and_not1_b32 vcc_lo, exec_lo, s10
	s_cbranch_vccnz .LBB7_312
; %bb.308:                              ;   in Loop: Header=BB7_4 Depth=1
	s_lshr_b32 s10, s9, 31
	s_delay_alu instid0(SALU_CYCLE_1) | instskip(SKIP_2) | instid1(SALU_CYCLE_1)
	s_add_i32 s11, s9, s10
	s_lshl_b32 s10, s7, 1
	s_ashr_i32 s11, s11, 1
	v_dual_mov_b32 v4, s10 :: v_dual_mov_b32 v5, s11
	s_cmp_ge_i32 s10, s6
	s_clause 0x1
	scratch_store_b32 off, v4, s32 offset:56
	scratch_store_b32 off, v5, s32 offset:68
	s_cbranch_scc1 .LBB7_311
; %bb.309:                              ;   in Loop: Header=BB7_4 Depth=1
	s_ashr_i32 s12, s9, 31
	s_delay_alu instid0(SALU_CYCLE_1) | instskip(NEXT) | instid1(SALU_CYCLE_1)
	s_lshr_b32 s10, s12, 30
	s_add_i32 s11, s9, s10
	s_lshl_b32 s10, s7, 2
	s_ashr_i32 s11, s11, 2
	s_delay_alu instid0(SALU_CYCLE_1)
	v_dual_mov_b32 v4, s10 :: v_dual_mov_b32 v5, s11
	s_cmp_ge_i32 s10, s6
	s_clause 0x1
	scratch_store_b32 off, v4, s32 offset:56
	scratch_store_b32 off, v5, s32 offset:68
	s_cbranch_scc1 .LBB7_311
; %bb.310:                              ;   in Loop: Header=BB7_4 Depth=1
	s_lshr_b32 s6, s12, 29
	s_lshl_b32 s10, s7, 3
	s_add_i32 s6, s9, s6
	s_delay_alu instid0(SALU_CYCLE_1) | instskip(NEXT) | instid1(SALU_CYCLE_1)
	s_ashr_i32 s11, s6, 3
	v_dual_mov_b32 v4, s10 :: v_dual_mov_b32 v5, s11
	s_clause 0x1
	scratch_store_b32 off, v4, s32 offset:56
	scratch_store_b32 off, v5, s32 offset:68
.LBB7_311:                              ;   in Loop: Header=BB7_4 Depth=1
	s_mov_b32 s7, s10
	s_mov_b32 s9, s11
.LBB7_312:                              ;   in Loop: Header=BB7_4 Depth=1
	s_delay_alu instid0(SALU_CYCLE_1) | instskip(NEXT) | instid1(VALU_DEP_1)
	v_sub_nc_u32_e64 v4, s9, 1 clamp
	v_readfirstlane_b32 s6, v4
	s_delay_alu instid0(VALU_DEP_1) | instskip(NEXT) | instid1(SALU_CYCLE_1)
	s_clz_i32_u32 s6, s6
	s_sub_i32 s6, 32, s6
	s_cmp_lt_u32 s9, 2
	s_cselect_b32 s9, -1, 0
	s_delay_alu instid0(SALU_CYCLE_1)
	s_and_b32 vcc_lo, s9, exec_lo
	s_cselect_b32 s9, 0, s6
	v_cmp_lt_i64_e64 s6, v[0:1], v[2:3]
	s_lshr_b32 s10, s7, 31
	v_mov_b32_e32 v3, 0
	s_mov_b32 s12, s9
	s_delay_alu instid0(VALU_DEP_2)
	v_cndmask_b32_e64 v4, v2, v0, s6
	v_mov_b32_e32 v2, s9
	s_add_i32 s6, s7, s10
	s_add_i32 s10, s7, -2
	s_ashr_i32 s6, s6, 1
	s_cmp_lt_u32 s10, -3
	s_cselect_b32 s10, -1, 0
	s_delay_alu instid0(SALU_CYCLE_1) | instskip(SKIP_1) | instid1(SALU_CYCLE_1)
	s_and_b32 s11, s10, exec_lo
	s_cselect_b32 s11, 2, 1
	v_dual_mov_b32 v0, s6 :: v_dual_mov_b32 v1, s11
	s_mov_b32 s11, s19
	s_clause 0x1
	scratch_store_b32 off, v4, s32 offset:28
	scratch_store_b128 off, v[0:3], s32 offset:72
	s_cbranch_vccnz .LBB7_322
.LBB7_313:                              ;   Parent Loop BB7_4 Depth=1
                                        ; =>  This Inner Loop Header: Depth=2
	v_mov_b32_e32 v0, s12
	s_add_i32 s12, s12, -1
	s_clause 0x1
	scratch_store_b32 off, v0, s11 offset:-128
	scratch_store_b32 off, v11, s11
	s_add_i32 s11, s11, 4
	s_cmp_lg_u32 s12, 0
	s_cbranch_scc1 .LBB7_313
; %bb.314:                              ;   in Loop: Header=BB7_4 Depth=1
	v_mov_b32_e32 v3, 0
	s_mov_b32 s11, 0
	s_mov_b32 s12, s19
	s_branch .LBB7_318
.LBB7_315:                              ;   in Loop: Header=BB7_318 Depth=2
	s_or_b32 exec_lo, exec_lo, s22
	v_add_nc_u32_e32 v1, 1, v1
	scratch_store_b32 off, v1, s12
.LBB7_316:                              ;   in Loop: Header=BB7_318 Depth=2
	s_or_b32 exec_lo, exec_lo, s20
	v_mov_b32_e32 v3, v0
.LBB7_317:                              ;   in Loop: Header=BB7_318 Depth=2
	s_or_b32 exec_lo, exec_lo, s13
	s_add_i32 s11, s11, 1
	s_add_i32 s12, s12, 4
	s_cmp_lg_u32 s9, s11
	s_cbranch_scc0 .LBB7_322
.LBB7_318:                              ;   Parent Loop BB7_4 Depth=1
                                        ; =>  This Inner Loop Header: Depth=2
	scratch_load_b32 v0, off, s12 offset:-128
	s_mov_b32 s13, exec_lo
	s_waitcnt vmcnt(0)
	v_add_nc_u32_e32 v0, -1, v0
	scratch_store_b32 off, v0, s12 offset:-128
	v_cmpx_eq_u32_e32 0, v0
	s_cbranch_execz .LBB7_317
; %bb.319:                              ;   in Loop: Header=BB7_318 Depth=2
	s_lshl_b32 s21, 1, s11
	s_mov_b32 s20, exec_lo
	v_dual_mov_b32 v2, s21 :: v_dual_and_b32 v1, s21, v3
	v_xor_b32_e32 v0, s21, v3
	scratch_store_b32 off, v0, s32 offset:84
	scratch_store_b32 off, v2, s12 offset:-128
	v_cmpx_ne_u32_e32 0, v1
	s_cbranch_execz .LBB7_316
; %bb.320:                              ;   in Loop: Header=BB7_318 Depth=2
	scratch_load_b32 v1, off, s12
	s_mov_b32 s22, exec_lo
	s_waitcnt vmcnt(0)
	v_ctz_i32_b32_e32 v2, v1
	v_cmp_eq_u32_e32 vcc_lo, 0, v1
	s_delay_alu instid0(VALU_DEP_2) | instskip(NEXT) | instid1(VALU_DEP_1)
	v_cndmask_b32_e64 v2, v2, s9, vcc_lo
	v_add3_u32 v2, s21, -1, v2
	scratch_store_b32 off, v2, s12 offset:-128
	v_cmpx_eq_u32_e32 0, v2
	s_cbranch_execz .LBB7_315
; %bb.321:                              ;   in Loop: Header=BB7_318 Depth=2
	v_mov_b32_e32 v0, v3
	v_mov_b32_e32 v2, s21
	scratch_store_b32 off, v3, s32 offset:84
	scratch_store_b32 off, v2, s12 offset:-128
	s_branch .LBB7_315
.LBB7_322:                              ;   in Loop: Header=BB7_4 Depth=1
	v_dual_mov_b32 v0, v3 :: v_dual_mov_b32 v1, v8
	s_and_not1_b32 vcc_lo, exec_lo, s10
	scratch_store_b64 off, v[0:1], s32 offset:60
	s_cbranch_vccnz .LBB7_324
; %bb.323:                              ;   in Loop: Header=BB7_4 Depth=1
	s_lshl_b32 s9, s6, 1
	s_ashr_i32 s6, s6, 31
	s_abs_i32 s12, s7
	s_add_i32 s9, s9, s6
	s_ashr_i32 s7, s7, 31
	s_xor_b32 s9, s9, s6
	s_xor_b32 s6, s7, s6
	v_cvt_f32_u32_e32 v0, s9
	s_sub_i32 s11, 0, s9
	s_delay_alu instid0(VALU_DEP_1) | instskip(SKIP_2) | instid1(VALU_DEP_1)
	v_rcp_iflag_f32_e32 v0, v0
	s_waitcnt_depctr 0xfff
	v_mul_f32_e32 v0, 0x4f7ffffe, v0
	v_cvt_u32_f32_e32 v0, v0
	s_delay_alu instid0(VALU_DEP_1) | instskip(NEXT) | instid1(VALU_DEP_1)
	v_readfirstlane_b32 s10, v0
	s_mul_i32 s11, s11, s10
	s_delay_alu instid0(SALU_CYCLE_1) | instskip(NEXT) | instid1(SALU_CYCLE_1)
	s_mul_hi_u32 s11, s10, s11
	s_add_i32 s10, s10, s11
	s_delay_alu instid0(SALU_CYCLE_1) | instskip(NEXT) | instid1(SALU_CYCLE_1)
	s_mul_hi_u32 s10, s12, s10
	s_mul_i32 s11, s10, s9
	s_delay_alu instid0(SALU_CYCLE_1)
	s_sub_i32 s7, s12, s11
	s_add_i32 s11, s10, 1
	s_sub_i32 s12, s7, s9
	s_cmp_ge_u32 s7, s9
	s_cselect_b32 s10, s11, s10
	s_cselect_b32 s7, s12, s7
	s_add_i32 s11, s10, 1
	s_cmp_ge_u32 s7, s9
	s_cselect_b32 s7, s11, s10
	s_delay_alu instid0(SALU_CYCLE_1) | instskip(NEXT) | instid1(SALU_CYCLE_1)
	s_xor_b32 s7, s7, s6
	s_sub_i32 s7, s7, s6
.LBB7_324:                              ;   in Loop: Header=BB7_4 Depth=1
	s_delay_alu instid0(SALU_CYCLE_1)
	v_dual_mov_b32 v0, s7 :: v_dual_mov_b32 v1, s8
	scratch_store_b32 off, v0, s32 offset:48
	ds_store_b32 v0, v1
	s_cbranch_execnz .LBB7_449
; %bb.325:                              ;   in Loop: Header=BB7_4 Depth=1
	s_mov_b32 s9, 0
	s_mov_b32 s10, 0
.LBB7_326:                              ;   Parent Loop BB7_4 Depth=1
                                        ; =>  This Loop Header: Depth=2
                                        ;       Child Loop BB7_327 Depth 3
                                        ;       Child Loop BB7_387 Depth 3
	;; [unrolled: 1-line block ×4, first 2 shown]
	s_cbranch_execnz .LBB7_451
.LBB7_327:                              ;   Parent Loop BB7_4 Depth=1
                                        ;     Parent Loop BB7_326 Depth=2
                                        ; =>    This Inner Loop Header: Depth=3
	ds_load_b32 v0, v0 offset:36
	s_waitcnt lgkmcnt(0)
	v_cmp_ne_u32_e32 vcc_lo, 0, v0
	s_cbranch_vccnz .LBB7_327
; %bb.328:                              ;   in Loop: Header=BB7_326 Depth=2
	s_clause 0x4
	scratch_load_b32 v12, off, s32 offset:76
	scratch_load_b32 v13, off, s32 offset:64
	;; [unrolled: 1-line block ×4, first 2 shown]
	scratch_load_b64 v[4:5], off, s32
	s_mov_b32 s7, -1
	s_mov_b32 s11, exec_lo
	s_waitcnt vmcnt(1)
	ds_store_2addr_b32 v0, v15, v8 offset0:7 offset1:8
	s_waitcnt vmcnt(0)
	ds_store_b64 v0, v[4:5] offset:40
	v_cmpx_lt_i32_e64 v13, v14
	s_cbranch_execz .LBB7_362
; %bb.329:                              ;   in Loop: Header=BB7_326 Depth=2
                                        ; implicit-def: $sgpr6
	s_mov_b32 s7, exec_lo
	v_cmpx_lt_i32_e32 0, v12
	s_xor_b32 s12, exec_lo, s7
	s_cbranch_execz .LBB7_355
; %bb.330:                              ;   in Loop: Header=BB7_326 Depth=2
                                        ; implicit-def: $sgpr13
	s_mov_b32 s6, exec_lo
	v_cmpx_lt_i32_e32 1, v12
	s_xor_b32 s7, exec_lo, s6
	s_cbranch_execz .LBB7_342
; %bb.331:                              ;   in Loop: Header=BB7_326 Depth=2
	s_mov_b32 s6, 0
	s_mov_b32 s8, exec_lo
	v_cmpx_eq_u32_e32 2, v12
	s_cbranch_execz .LBB7_341
; %bb.332:                              ;   in Loop: Header=BB7_326 Depth=2
	s_clause 0x1
	scratch_load_b32 v2, off, s32 offset:44
	scratch_load_b64 v[0:1], off, s32 offset:68
	v_sub_nc_u32_e32 v9, 0, v13
	v_ashrrev_i32_e32 v18, 31, v13
	s_mov_b32 s13, exec_lo
                                        ; implicit-def: $sgpr6
                                        ; implicit-def: $vgpr19
	s_delay_alu instid0(VALU_DEP_2) | instskip(SKIP_2) | instid1(VALU_DEP_1)
	v_max_i32_e32 v9, v13, v9
	s_waitcnt vmcnt(1)
	v_sub_nc_u32_e32 v3, 0, v2
	v_max_i32_e32 v3, v2, v3
	s_delay_alu instid0(VALU_DEP_1) | instskip(SKIP_1) | instid1(VALU_DEP_2)
	v_cvt_f32_u32_e32 v6, v3
	v_sub_nc_u32_e32 v7, 0, v3
	v_rcp_iflag_f32_e32 v6, v6
	s_waitcnt_depctr 0xfff
	v_mul_f32_e32 v6, 0x4f7ffffe, v6
	s_delay_alu instid0(VALU_DEP_1) | instskip(NEXT) | instid1(VALU_DEP_1)
	v_cvt_u32_f32_e32 v6, v6
	v_mul_lo_u32 v7, v7, v6
	s_delay_alu instid0(VALU_DEP_1) | instskip(NEXT) | instid1(VALU_DEP_1)
	v_mul_hi_u32 v7, v6, v7
	v_add_nc_u32_e32 v7, v6, v7
	s_delay_alu instid0(VALU_DEP_1) | instskip(NEXT) | instid1(VALU_DEP_1)
	v_mul_hi_u32 v6, v9, v7
	v_mul_lo_u32 v16, v6, v3
	s_delay_alu instid0(VALU_DEP_1) | instskip(SKIP_1) | instid1(VALU_DEP_2)
	v_sub_nc_u32_e32 v9, v9, v16
	v_add_nc_u32_e32 v16, 1, v6
	v_sub_nc_u32_e32 v17, v9, v3
	v_cmp_ge_u32_e32 vcc_lo, v9, v3
	s_delay_alu instid0(VALU_DEP_2) | instskip(SKIP_1) | instid1(VALU_DEP_2)
	v_dual_cndmask_b32 v9, v9, v17 :: v_dual_cndmask_b32 v16, v6, v16
	v_ashrrev_i32_e32 v6, 31, v2
	v_cmp_ge_u32_e32 vcc_lo, v9, v3
	s_delay_alu instid0(VALU_DEP_3) | instskip(NEXT) | instid1(VALU_DEP_3)
	v_add_nc_u32_e32 v17, 1, v16
	v_xor_b32_e32 v18, v18, v6
	s_delay_alu instid0(VALU_DEP_2) | instskip(SKIP_3) | instid1(VALU_DEP_3)
	v_cndmask_b32_e32 v9, v16, v17, vcc_lo
	s_waitcnt vmcnt(0)
	v_mul_lo_u32 v16, v0, v1
	v_add_nc_u32_e32 v1, -1, v2
	v_xor_b32_e32 v9, v9, v18
	s_delay_alu instid0(VALU_DEP_1) | instskip(SKIP_1) | instid1(VALU_DEP_2)
	v_sub_nc_u32_e32 v17, v9, v18
	v_lshlrev_b32_e32 v9, 1, v13
	v_mul_lo_u32 v18, v17, v2
	s_delay_alu instid0(VALU_DEP_2) | instskip(NEXT) | instid1(VALU_DEP_1)
	v_or_b32_e32 v0, 1, v9
	v_mul_lo_u32 v0, v16, v0
	s_delay_alu instid0(VALU_DEP_3) | instskip(NEXT) | instid1(VALU_DEP_1)
	v_sub_nc_u32_e32 v18, v13, v18
	v_cmpx_ne_u32_e64 v18, v1
	s_xor_b32 s13, exec_lo, s13
	s_cbranch_execz .LBB7_334
; %bb.333:                              ;   in Loop: Header=BB7_326 Depth=2
	scratch_load_b32 v19, off, s32 offset:36
	v_lshl_add_u32 v1, v16, 1, v0
	s_waitcnt vmcnt(0)
	s_delay_alu instid0(VALU_DEP_1)
	v_cmp_ge_i32_e32 vcc_lo, v1, v19
	s_and_b32 s6, vcc_lo, exec_lo
.LBB7_334:                              ;   in Loop: Header=BB7_326 Depth=2
	s_and_not1_saveexec_b32 s13, s13
	s_cbranch_execz .LBB7_336
; %bb.335:                              ;   in Loop: Header=BB7_326 Depth=2
	scratch_load_b32 v19, off, s32 offset:36
	s_or_b32 s6, s6, exec_lo
.LBB7_336:                              ;   in Loop: Header=BB7_326 Depth=2
	s_or_b32 exec_lo, exec_lo, s13
	s_clause 0x2
	scratch_load_b32 v1, off, s32 offset:40
	scratch_load_b32 v22, off, s32 offset:32
	scratch_load_b64 v[20:21], off, s32 offset:16
	s_waitcnt vmcnt(3)
	v_sub_nc_u32_e32 v23, 0, v19
	v_ctz_i32_b32_e32 v25, v0
	v_cmp_eq_u32_e32 vcc_lo, 0, v16
	v_mul_lo_u32 v18, v18, v15
	s_mov_b32 s13, exec_lo
	v_max_i32_e32 v23, v19, v23
                                        ; implicit-def: $sgpr20
	s_delay_alu instid0(VALU_DEP_1) | instskip(SKIP_1) | instid1(VALU_DEP_2)
	v_cvt_f32_u32_e32 v24, v23
	v_sub_nc_u32_e32 v26, 0, v23
	v_rcp_iflag_f32_e32 v24, v24
	s_waitcnt vmcnt(2)
	s_waitcnt_depctr 0xfff
	v_dual_mul_f32 v24, 0x4f7ffffe, v24 :: v_dual_cndmask_b32 v1, v25, v1
	s_delay_alu instid0(VALU_DEP_1) | instskip(NEXT) | instid1(VALU_DEP_1)
	v_cvt_u32_f32_e32 v24, v24
	v_mul_lo_u32 v25, v26, v24
	s_delay_alu instid0(VALU_DEP_3) | instskip(SKIP_1) | instid1(VALU_DEP_1)
	v_lshl_add_u32 v26, -1, v1, v0
	s_waitcnt vmcnt(1)
	v_add3_u32 v22, v26, v19, v22
	s_delay_alu instid0(VALU_DEP_3) | instskip(NEXT) | instid1(VALU_DEP_2)
	v_mul_hi_u32 v25, v24, v25
	v_sub_nc_u32_e32 v27, 0, v22
	s_delay_alu instid0(VALU_DEP_2) | instskip(NEXT) | instid1(VALU_DEP_2)
	v_add_nc_u32_e32 v24, v24, v25
	v_max_i32_e32 v25, v22, v27
	v_ashrrev_i32_e32 v22, 31, v22
	s_delay_alu instid0(VALU_DEP_2) | instskip(NEXT) | instid1(VALU_DEP_1)
	v_mul_hi_u32 v24, v25, v24
	v_mul_lo_u32 v24, v24, v23
	s_delay_alu instid0(VALU_DEP_1) | instskip(NEXT) | instid1(VALU_DEP_1)
	v_sub_nc_u32_e32 v24, v25, v24
	v_sub_nc_u32_e32 v25, v24, v23
	v_cmp_ge_u32_e32 vcc_lo, v24, v23
	s_delay_alu instid0(VALU_DEP_2) | instskip(NEXT) | instid1(VALU_DEP_1)
	v_cndmask_b32_e32 v24, v24, v25, vcc_lo
	v_sub_nc_u32_e32 v25, v24, v23
	v_cmp_ge_u32_e32 vcc_lo, v24, v23
	s_delay_alu instid0(VALU_DEP_2) | instskip(SKIP_2) | instid1(VALU_DEP_3)
	v_cndmask_b32_e32 v23, v24, v25, vcc_lo
	v_cmp_ge_i32_e32 vcc_lo, v0, v19
	v_ctz_i32_b32_e32 v0, v26
	v_xor_b32_e32 v23, v23, v22
	s_delay_alu instid0(VALU_DEP_1) | instskip(NEXT) | instid1(VALU_DEP_1)
	v_sub_nc_u32_e32 v23, v23, v22
	v_ashrrev_i32_e32 v24, 31, v23
	s_waitcnt vmcnt(0)
	v_mul_lo_u32 v25, v21, v23
	v_mad_u64_u32 v[21:22], null, v20, v23, v[4:5]
	v_cndmask_b32_e64 v23, 0, 1, s6
	v_mul_lo_u32 v20, v20, v24
	s_delay_alu instid0(VALU_DEP_1)
	v_add3_u32 v22, v25, v22, v20
	ds_store_2addr_b32 v0, v8, v23 offset0:5 offset1:6
	ds_store_2addr_b32 v0, v18, v17 offset0:3 offset1:4
	ds_store_2addr_b64 v0, v[0:1], v[21:22] offset1:6
	v_cmpx_ne_u32_e32 0, v26
	s_xor_b32 s13, exec_lo, s13
	s_cbranch_execz .LBB7_338
; %bb.337:                              ;   in Loop: Header=BB7_326 Depth=2
	v_mul_lo_u32 v1, v16, v9
	v_add_nc_u32_e32 v0, 1, v0
	s_and_b32 s20, vcc_lo, exec_lo
	s_delay_alu instid0(VALU_DEP_1) | instskip(NEXT) | instid1(VALU_DEP_1)
	v_ashrrev_i32_e32 v0, v0, v1
	v_sub_nc_u32_e32 v1, 0, v0
	s_delay_alu instid0(VALU_DEP_1) | instskip(NEXT) | instid1(VALU_DEP_1)
	v_max_i32_e32 v1, v0, v1
	v_mul_hi_u32 v7, v1, v7
	s_delay_alu instid0(VALU_DEP_1) | instskip(NEXT) | instid1(VALU_DEP_1)
	v_mul_lo_u32 v9, v7, v3
	v_sub_nc_u32_e32 v1, v1, v9
	v_add_nc_u32_e32 v9, 1, v7
	s_delay_alu instid0(VALU_DEP_2) | instskip(SKIP_1) | instid1(VALU_DEP_1)
	v_sub_nc_u32_e32 v16, v1, v3
	v_cmp_ge_u32_e64 s6, v1, v3
	v_cndmask_b32_e64 v7, v7, v9, s6
	s_delay_alu instid0(VALU_DEP_3) | instskip(SKIP_1) | instid1(VALU_DEP_3)
	v_cndmask_b32_e64 v1, v1, v16, s6
	v_ashrrev_i32_e32 v9, 31, v0
	v_add_nc_u32_e32 v16, 1, v7
	s_delay_alu instid0(VALU_DEP_3) | instskip(NEXT) | instid1(VALU_DEP_3)
	v_cmp_ge_u32_e64 s6, v1, v3
	v_xor_b32_e32 v6, v9, v6
	s_delay_alu instid0(VALU_DEP_2) | instskip(NEXT) | instid1(VALU_DEP_1)
	v_cndmask_b32_e64 v1, v7, v16, s6
	v_xor_b32_e32 v1, v1, v6
	s_delay_alu instid0(VALU_DEP_1) | instskip(NEXT) | instid1(VALU_DEP_1)
	v_sub_nc_u32_e32 v1, v1, v6
	v_mul_lo_u32 v2, v1, v2
	s_delay_alu instid0(VALU_DEP_1) | instskip(NEXT) | instid1(VALU_DEP_1)
	v_sub_nc_u32_e32 v0, v0, v2
	v_mul_lo_u32 v0, v0, v15
	ds_store_2addr_b32 v0, v0, v1 offset0:2 offset1:4
.LBB7_338:                              ;   in Loop: Header=BB7_326 Depth=2
	s_and_not1_saveexec_b32 s6, s13
	s_cbranch_execz .LBB7_340
; %bb.339:                              ;   in Loop: Header=BB7_326 Depth=2
	s_and_not1_b32 s13, s20, exec_lo
	s_and_b32 s20, vcc_lo, exec_lo
	ds_store_b32 v0, v37 offset:8
	s_or_b32 s20, s13, s20
.LBB7_340:                              ;   in Loop: Header=BB7_326 Depth=2
	s_or_b32 exec_lo, exec_lo, s6
	s_delay_alu instid0(SALU_CYCLE_1)
	s_and_b32 s6, s20, exec_lo
.LBB7_341:                              ;   in Loop: Header=BB7_326 Depth=2
	s_or_b32 exec_lo, exec_lo, s8
	s_delay_alu instid0(SALU_CYCLE_1)
	s_and_b32 s13, s6, exec_lo
                                        ; implicit-def: $vgpr15
.LBB7_342:                              ;   in Loop: Header=BB7_326 Depth=2
	s_and_not1_saveexec_b32 s20, s7
	s_cbranch_execz .LBB7_354
; %bb.343:                              ;   in Loop: Header=BB7_326 Depth=2
	s_clause 0x3
	scratch_load_b128 v[0:3], off, s32 offset:32
	scratch_load_b32 v6, off, s32 offset:68
	scratch_load_b32 v17, off, s32 offset:60
	scratch_load_b64 v[22:23], off, s32 offset:16
	s_waitcnt vmcnt(3)
	v_sub_nc_u32_e32 v9, 0, v1
	v_ashrrev_i32_e32 v18, 31, v3
	s_waitcnt vmcnt(2)
	v_mul_lo_u32 v20, v6, v13
	s_delay_alu instid0(VALU_DEP_3) | instskip(SKIP_1) | instid1(VALU_DEP_2)
	v_max_i32_e32 v21, v1, v9
	s_waitcnt vmcnt(1)
	v_add_nc_u32_e32 v9, v20, v17
	s_delay_alu instid0(VALU_DEP_2) | instskip(NEXT) | instid1(VALU_DEP_2)
	v_cvt_f32_u32_e32 v16, v21
	v_ctz_i32_b32_e32 v24, v9
	s_delay_alu instid0(VALU_DEP_2)
	v_rcp_iflag_f32_e32 v16, v16
	v_add_nc_u32_e32 v7, v3, v18
	v_cmp_eq_u32_e32 vcc_lo, 0, v9
	s_waitcnt_depctr 0xfff
	v_mul_f32_e32 v16, 0x4f7ffffe, v16
	v_xor_b32_e32 v19, v7, v18
	s_delay_alu instid0(VALU_DEP_2) | instskip(NEXT) | instid1(VALU_DEP_2)
	v_cvt_u32_f32_e32 v27, v16
	v_cvt_f32_u32_e32 v7, v19
	v_sub_nc_u32_e32 v26, 0, v19
	s_delay_alu instid0(VALU_DEP_2) | instskip(SKIP_3) | instid1(VALU_DEP_1)
	v_rcp_iflag_f32_e32 v7, v7
	s_waitcnt_depctr 0xfff
	v_mul_f32_e32 v25, 0x4f7ffffe, v7
	v_cndmask_b32_e32 v7, v24, v2, vcc_lo
	v_lshlrev_b32_e64 v2, v7, -1
	s_delay_alu instid0(VALU_DEP_1) | instskip(NEXT) | instid1(VALU_DEP_4)
	v_add_nc_u32_e32 v16, v2, v9
	v_cvt_u32_f32_e32 v24, v25
	v_sub_nc_u32_e32 v25, 0, v21
	s_delay_alu instid0(VALU_DEP_3) | instskip(NEXT) | instid1(VALU_DEP_3)
	v_add3_u32 v28, v0, v1, v16
	v_mul_lo_u32 v26, v26, v24
	s_delay_alu instid0(VALU_DEP_3) | instskip(SKIP_1) | instid1(VALU_DEP_4)
	v_mul_lo_u32 v25, v25, v27
	v_sub_nc_u32_e32 v0, 0, v13
	v_sub_nc_u32_e32 v29, 0, v28
	s_delay_alu instid0(VALU_DEP_2) | instskip(SKIP_2) | instid1(VALU_DEP_2)
	v_max_i32_e32 v30, v13, v0
	v_mul_hi_u32 v26, v24, v26
	v_mul_hi_u32 v25, v27, v25
	v_add_nc_u32_e32 v0, v24, v26
	v_max_i32_e32 v24, v28, v29
	s_delay_alu instid0(VALU_DEP_3) | instskip(NEXT) | instid1(VALU_DEP_3)
	v_add_nc_u32_e32 v25, v27, v25
	v_mul_hi_u32 v26, v30, v0
	s_delay_alu instid0(VALU_DEP_2) | instskip(NEXT) | instid1(VALU_DEP_2)
	v_mul_hi_u32 v25, v24, v25
	v_mul_lo_u32 v27, v26, v19
	v_add_nc_u32_e32 v29, 1, v26
	s_delay_alu instid0(VALU_DEP_3) | instskip(NEXT) | instid1(VALU_DEP_3)
	v_mul_lo_u32 v25, v25, v21
	v_sub_nc_u32_e32 v27, v30, v27
	v_ashrrev_i32_e32 v30, 31, v13
	s_delay_alu instid0(VALU_DEP_3) | instskip(NEXT) | instid1(VALU_DEP_3)
	v_sub_nc_u32_e32 v24, v24, v25
	v_sub_nc_u32_e32 v25, v27, v19
	v_cmp_ge_u32_e32 vcc_lo, v27, v19
	s_delay_alu instid0(VALU_DEP_2) | instskip(SKIP_3) | instid1(VALU_DEP_2)
	v_cndmask_b32_e32 v25, v27, v25, vcc_lo
	v_cndmask_b32_e32 v26, v26, v29, vcc_lo
	v_sub_nc_u32_e32 v29, v24, v21
	v_cmp_ge_u32_e32 vcc_lo, v24, v21
	v_dual_cndmask_b32 v24, v24, v29 :: v_dual_add_nc_u32 v27, 1, v26
	v_cmp_ge_u32_e32 vcc_lo, v25, v19
	v_xor_b32_e32 v29, v30, v18
	s_delay_alu instid0(VALU_DEP_3) | instskip(NEXT) | instid1(VALU_DEP_4)
	v_cndmask_b32_e32 v25, v26, v27, vcc_lo
	v_sub_nc_u32_e32 v26, v24, v21
	v_cmp_ge_u32_e32 vcc_lo, v24, v21
	v_ashrrev_i32_e32 v27, 31, v28
	s_delay_alu instid0(VALU_DEP_4) | instskip(NEXT) | instid1(VALU_DEP_4)
	v_xor_b32_e32 v25, v25, v29
	v_cndmask_b32_e32 v21, v24, v26, vcc_lo
	v_cmp_eq_u32_e32 vcc_lo, 0, v7
	s_delay_alu instid0(VALU_DEP_3) | instskip(NEXT) | instid1(VALU_DEP_3)
	v_sub_nc_u32_e32 v26, v25, v29
	v_xor_b32_e32 v21, v21, v27
	s_delay_alu instid0(VALU_DEP_2) | instskip(NEXT) | instid1(VALU_DEP_2)
	v_mul_lo_u32 v24, v26, v3
	v_sub_nc_u32_e32 v25, v21, v27
	v_add_nc_u32_e32 v21, -1, v3
	s_delay_alu instid0(VALU_DEP_2) | instskip(NEXT) | instid1(VALU_DEP_4)
	v_ashrrev_i32_e32 v27, 31, v25
	v_sub_nc_u32_e32 v29, v13, v24
	s_waitcnt vmcnt(0)
	v_mul_lo_u32 v28, v23, v25
	v_mad_u64_u32 v[23:24], null, v22, v25, v[4:5]
	v_mul_lo_u32 v22, v22, v27
	v_mul_lo_u32 v25, v29, v15
	v_cndmask_b32_e64 v27, v26, 0, vcc_lo
	v_cmp_eq_u32_e64 s8, v29, v21
	s_delay_alu instid0(VALU_DEP_4) | instskip(NEXT) | instid1(VALU_DEP_4)
	v_add3_u32 v24, v28, v24, v22
	v_mov_b32_e32 v26, v25
	v_add_nc_u32_e32 v6, v9, v6
	s_delay_alu instid0(VALU_DEP_1) | instskip(SKIP_2) | instid1(VALU_DEP_3)
	v_cmp_ge_i32_e64 s6, v6, v1
	v_cmp_gt_i32_e64 s7, v6, v1
	v_ctz_i32_b32_e32 v6, v16
	s_or_b32 s6, s8, s6
	s_delay_alu instid0(SALU_CYCLE_1) | instskip(NEXT) | instid1(VALU_DEP_3)
	v_cndmask_b32_e64 v22, 0, 1, s6
	s_or_b32 s6, s8, s7
	s_mov_b32 s7, exec_lo
	s_and_b32 s6, vcc_lo, s6
	s_delay_alu instid0(SALU_CYCLE_1)
	v_cndmask_b32_e64 v28, 0, 1, s6
	ds_store_b64 v0, v[23:24] offset:48
	ds_store_b32 v0, v22 offset:24
	ds_store_2addr_b64 v0, v[6:7], v[25:26] offset1:1
	ds_store_b64 v0, v[27:28] offset:16
	v_cmpx_ne_u32_e32 0, v16
	s_xor_b32 s8, exec_lo, s7
	s_cbranch_execz .LBB7_349
; %bb.344:                              ;   in Loop: Header=BB7_326 Depth=2
	v_sub_nc_u32_e32 v7, 0, v17
	s_mov_b32 s21, exec_lo
	s_delay_alu instid0(VALU_DEP_1)
	v_cmpx_eq_u32_e64 v2, v7
	s_cbranch_execz .LBB7_348
; %bb.345:                              ;   in Loop: Header=BB7_326 Depth=2
	v_add_nc_u32_e32 v2, 1, v6
	s_delay_alu instid0(VALU_DEP_1) | instskip(NEXT) | instid1(VALU_DEP_1)
	v_ashrrev_i32_e32 v7, v2, v20
	v_sub_nc_u32_e32 v2, 0, v7
	s_delay_alu instid0(VALU_DEP_1) | instskip(NEXT) | instid1(VALU_DEP_1)
	v_max_i32_e32 v2, v7, v2
	v_mul_hi_u32 v0, v2, v0
	s_delay_alu instid0(VALU_DEP_1) | instskip(NEXT) | instid1(VALU_DEP_1)
	v_mul_lo_u32 v17, v0, v19
	v_sub_nc_u32_e32 v2, v2, v17
	v_add_nc_u32_e32 v17, 1, v0
	s_delay_alu instid0(VALU_DEP_2) | instskip(SKIP_1) | instid1(VALU_DEP_1)
	v_sub_nc_u32_e32 v20, v2, v19
	v_cmp_ge_u32_e64 s6, v2, v19
	v_cndmask_b32_e64 v0, v0, v17, s6
	s_delay_alu instid0(VALU_DEP_3) | instskip(SKIP_1) | instid1(VALU_DEP_3)
	v_cndmask_b32_e64 v2, v2, v20, s6
	v_ashrrev_i32_e32 v17, 31, v7
	v_add_nc_u32_e32 v20, 1, v0
	s_delay_alu instid0(VALU_DEP_3) | instskip(NEXT) | instid1(VALU_DEP_3)
	v_cmp_ge_u32_e64 s6, v2, v19
	v_xor_b32_e32 v17, v17, v18
	s_delay_alu instid0(VALU_DEP_2) | instskip(NEXT) | instid1(VALU_DEP_1)
	v_cndmask_b32_e64 v0, v0, v20, s6
	v_xor_b32_e32 v0, v0, v17
	s_delay_alu instid0(VALU_DEP_1) | instskip(NEXT) | instid1(VALU_DEP_1)
	v_sub_nc_u32_e32 v2, v0, v17
	v_mul_lo_u32 v0, v2, v3
	v_mov_b32_e32 v3, 0
	s_delay_alu instid0(VALU_DEP_2) | instskip(NEXT) | instid1(VALU_DEP_1)
	v_sub_nc_u32_e32 v0, v7, v0
	v_mul_lo_u32 v15, v0, v15
	ds_store_b32 v0, v15 offset:8
	s_and_saveexec_b32 s22, vcc_lo
; %bb.346:                              ;   in Loop: Header=BB7_326 Depth=2
	v_lshlrev_b32_e32 v2, 1, v7
	v_cmp_eq_u32_e64 s6, v0, v21
	s_delay_alu instid0(VALU_DEP_2) | instskip(NEXT) | instid1(VALU_DEP_1)
	v_add_lshl_u32 v2, v2, 3, v6
	v_cmp_ge_i32_e64 s7, v2, v1
	v_mov_b32_e32 v2, 0
	s_delay_alu instid0(VALU_DEP_2) | instskip(NEXT) | instid1(SALU_CYCLE_1)
	s_or_b32 s6, s6, s7
	v_cndmask_b32_e64 v3, 0, 1, s6
; %bb.347:                              ;   in Loop: Header=BB7_326 Depth=2
	s_or_b32 exec_lo, exec_lo, s22
	ds_store_b64 v0, v[2:3] offset:16
.LBB7_348:                              ;   in Loop: Header=BB7_326 Depth=2
	s_or_b32 exec_lo, exec_lo, s21
.LBB7_349:                              ;   in Loop: Header=BB7_326 Depth=2
	s_and_not1_saveexec_b32 s6, s8
	s_cbranch_execz .LBB7_351
; %bb.350:                              ;   in Loop: Header=BB7_326 Depth=2
	ds_store_2addr_b32 v0, v37, v8 offset0:2 offset1:5
.LBB7_351:                              ;   in Loop: Header=BB7_326 Depth=2
	s_or_b32 exec_lo, exec_lo, s6
	v_cmp_ge_i32_e64 s7, v9, v1
	v_cmp_lt_i32_e64 s6, v16, v1
	s_delay_alu instid0(VALU_DEP_1) | instskip(NEXT) | instid1(SALU_CYCLE_1)
	s_and_b32 s6, s7, s6
	s_and_b32 s8, vcc_lo, s6
	s_delay_alu instid0(SALU_CYCLE_1)
	s_and_saveexec_b32 s6, s8
	s_cbranch_execz .LBB7_353
; %bb.352:                              ;   in Loop: Header=BB7_326 Depth=2
	s_and_not1_b32 s7, s7, exec_lo
	ds_store_2addr_b32 v0, v37, v37 offset0:1 offset1:3
	ds_store_b32 v0, v8 offset:24
.LBB7_353:                              ;   in Loop: Header=BB7_326 Depth=2
	s_or_b32 exec_lo, exec_lo, s6
	s_delay_alu instid0(SALU_CYCLE_1) | instskip(SKIP_1) | instid1(SALU_CYCLE_1)
	s_and_not1_b32 s6, s13, exec_lo
	s_and_b32 s7, s7, exec_lo
	s_or_b32 s13, s6, s7
.LBB7_354:                              ;   in Loop: Header=BB7_326 Depth=2
	s_or_b32 exec_lo, exec_lo, s20
	s_delay_alu instid0(SALU_CYCLE_1)
	s_and_b32 s6, s13, exec_lo
                                        ; implicit-def: $vgpr15
.LBB7_355:                              ;   in Loop: Header=BB7_326 Depth=2
	s_and_not1_saveexec_b32 s7, s12
	s_cbranch_execz .LBB7_361
; %bb.356:                              ;   in Loop: Header=BB7_326 Depth=2
	s_mov_b32 s12, 0
	s_mov_b32 s8, exec_lo
	v_cmpx_eq_u32_e32 0, v12
	s_cbranch_execz .LBB7_360
; %bb.357:                              ;   in Loop: Header=BB7_326 Depth=2
	s_clause 0x4
	scratch_load_b64 v[0:1], off, s32 offset:32
	scratch_load_b32 v19, off, s32 offset:44
	scratch_load_b32 v7, off, s32 offset:60
	;; [unrolled: 1-line block ×3, first 2 shown]
	scratch_load_b64 v[16:17], off, s32 offset:16
	s_mov_b32 s12, exec_lo
	s_waitcnt vmcnt(4)
	v_sub_nc_u32_e32 v2, 0, v1
	s_waitcnt vmcnt(3)
	v_sub_nc_u32_e32 v3, 0, v19
	s_delay_alu instid0(VALU_DEP_2) | instskip(NEXT) | instid1(VALU_DEP_2)
	v_max_i32_e32 v9, v1, v2
	v_max_i32_e32 v18, v19, v3
	s_delay_alu instid0(VALU_DEP_2) | instskip(NEXT) | instid1(VALU_DEP_2)
	v_cvt_f32_u32_e32 v2, v9
	v_cvt_f32_u32_e32 v3, v18
	v_sub_nc_u32_e32 v20, 0, v9
	s_delay_alu instid0(VALU_DEP_3) | instskip(NEXT) | instid1(VALU_DEP_2)
	v_rcp_iflag_f32_e32 v2, v2
	v_rcp_iflag_f32_e32 v21, v3
	s_waitcnt_depctr 0xfff
	v_mul_f32_e32 v2, 0x4f7ffffe, v2
	s_delay_alu instid0(VALU_DEP_1) | instskip(SKIP_3) | instid1(VALU_DEP_3)
	v_cvt_u32_f32_e32 v22, v2
	s_waitcnt vmcnt(1)
	v_mad_u64_u32 v[2:3], null, v6, v13, v[7:8]
	v_mul_f32_e32 v7, 0x4f7ffffe, v21
	v_mul_lo_u32 v3, v20, v22
	v_sub_nc_u32_e32 v20, 0, v18
	s_delay_alu instid0(VALU_DEP_3) | instskip(SKIP_1) | instid1(VALU_DEP_2)
	v_cvt_u32_f32_e32 v7, v7
	v_add_nc_u32_e32 v0, v0, v2
	v_mul_lo_u32 v20, v20, v7
	v_mul_hi_u32 v3, v22, v3
	s_delay_alu instid0(VALU_DEP_3) | instskip(NEXT) | instid1(VALU_DEP_1)
	v_sub_nc_u32_e32 v21, 0, v0
	v_max_i32_e32 v21, v0, v21
	s_delay_alu instid0(VALU_DEP_4) | instskip(NEXT) | instid1(VALU_DEP_4)
	v_mul_hi_u32 v20, v7, v20
	v_add_nc_u32_e32 v3, v22, v3
	v_sub_nc_u32_e32 v22, 0, v13
	s_delay_alu instid0(VALU_DEP_2) | instskip(NEXT) | instid1(VALU_DEP_2)
	v_mul_hi_u32 v3, v21, v3
	v_max_i32_e32 v22, v13, v22
	v_add_nc_u32_e32 v7, v7, v20
	s_delay_alu instid0(VALU_DEP_1) | instskip(NEXT) | instid1(VALU_DEP_4)
	v_mul_hi_u32 v7, v22, v7
	v_mul_lo_u32 v3, v3, v9
	s_delay_alu instid0(VALU_DEP_2) | instskip(NEXT) | instid1(VALU_DEP_2)
	v_mul_lo_u32 v7, v7, v18
	v_sub_nc_u32_e32 v3, v21, v3
	s_delay_alu instid0(VALU_DEP_1) | instskip(SKIP_1) | instid1(VALU_DEP_4)
	v_sub_nc_u32_e32 v20, v3, v9
	v_cmp_ge_u32_e32 vcc_lo, v3, v9
	v_sub_nc_u32_e32 v7, v22, v7
	s_delay_alu instid0(VALU_DEP_3) | instskip(SKIP_1) | instid1(VALU_DEP_2)
	v_cndmask_b32_e32 v3, v3, v20, vcc_lo
	v_ashrrev_i32_e32 v0, 31, v0
	v_sub_nc_u32_e32 v20, v3, v9
	v_cmp_ge_u32_e32 vcc_lo, v3, v9
	v_sub_nc_u32_e32 v9, v7, v18
	s_delay_alu instid0(VALU_DEP_3) | instskip(SKIP_1) | instid1(VALU_DEP_2)
	v_cndmask_b32_e32 v3, v3, v20, vcc_lo
	v_cmp_ge_u32_e32 vcc_lo, v7, v18
	v_xor_b32_e32 v3, v3, v0
	s_delay_alu instid0(VALU_DEP_4) | instskip(SKIP_1) | instid1(VALU_DEP_3)
	v_cndmask_b32_e32 v7, v7, v9, vcc_lo
	v_ashrrev_i32_e32 v9, 31, v13
	v_sub_nc_u32_e32 v0, v3, v0
	s_delay_alu instid0(VALU_DEP_3) | instskip(SKIP_1) | instid1(VALU_DEP_3)
	v_sub_nc_u32_e32 v3, v7, v18
	v_cmp_ge_u32_e32 vcc_lo, v7, v18
	v_ashrrev_i32_e32 v20, 31, v0
	s_delay_alu instid0(VALU_DEP_3)
	v_cndmask_b32_e32 v3, v7, v3, vcc_lo
	s_waitcnt vmcnt(0)
	v_mul_lo_u32 v7, v17, v0
	v_mad_u64_u32 v[17:18], null, v16, v0, v[4:5]
	v_mul_lo_u32 v0, v16, v20
	v_xor_b32_e32 v3, v3, v9
	v_mov_b32_e32 v16, v37
	s_delay_alu instid0(VALU_DEP_2) | instskip(SKIP_3) | instid1(VALU_DEP_4)
	v_sub_nc_u32_e32 v3, v3, v9
	v_mov_b32_e32 v9, v8
	v_add3_u32 v18, v7, v18, v0
	v_add_nc_u32_e32 v7, -1, v19
	v_mul_lo_u32 v15, v3, v15
	ds_store_2addr_b64 v0, v[8:9], v[17:18] offset0:5 offset1:6
	v_dual_mov_b32 v0, 1 :: v_dual_mov_b32 v9, v37
	ds_store_2addr_b64 v0, v[8:9], v[15:16] offset1:1
	ds_store_b32 v0, v8 offset:16
	v_cmpx_ne_u32_e64 v3, v7
; %bb.358:                              ;   in Loop: Header=BB7_326 Depth=2
	v_add_nc_u32_e32 v0, v2, v6
	s_delay_alu instid0(VALU_DEP_1)
	v_cmp_ge_i32_e32 vcc_lo, v0, v1
	v_cndmask_b32_e64 v0, 0, 1, vcc_lo
; %bb.359:                              ;   in Loop: Header=BB7_326 Depth=2
	s_or_b32 exec_lo, exec_lo, s12
	v_cmp_ge_i32_e32 vcc_lo, v2, v1
	ds_store_2addr_b32 v0, v0, v8 offset0:5 offset1:6
	s_and_b32 s12, vcc_lo, exec_lo
.LBB7_360:                              ;   in Loop: Header=BB7_326 Depth=2
	s_or_b32 exec_lo, exec_lo, s8
	s_delay_alu instid0(SALU_CYCLE_1) | instskip(SKIP_1) | instid1(SALU_CYCLE_1)
	s_and_not1_b32 s6, s6, exec_lo
	s_and_b32 s8, s12, exec_lo
	s_or_b32 s6, s6, s8
.LBB7_361:                              ;   in Loop: Header=BB7_326 Depth=2
	s_or_b32 exec_lo, exec_lo, s7
	s_delay_alu instid0(SALU_CYCLE_1)
	s_or_not1_b32 s7, s6, exec_lo
.LBB7_362:                              ;   in Loop: Header=BB7_326 Depth=2
	s_or_b32 exec_lo, exec_lo, s11
	scratch_load_b32 v0, off, s32 offset:52
	v_add_nc_u32_e32 v1, 1, v13
                                        ; implicit-def: $sgpr11
	s_mov_b32 s6, exec_lo
	scratch_store_b32 off, v1, s32 offset:64
	s_waitcnt vmcnt(0)
	v_max_i32_e32 v2, v14, v0
	s_delay_alu instid0(VALU_DEP_1)
	v_cmpx_le_i32_e64 v2, v1
	s_xor_b32 s8, exec_lo, s6
	s_cbranch_execz .LBB7_414
; %bb.363:                              ;   in Loop: Header=BB7_326 Depth=2
	s_mov_b32 s6, exec_lo
                                        ; implicit-def: $vgpr2
	v_cmpx_lt_i32_e32 1, v12
	s_xor_b32 s6, exec_lo, s6
	s_cbranch_execz .LBB7_367
; %bb.364:                              ;   in Loop: Header=BB7_326 Depth=2
	v_mov_b32_e32 v2, 1
	s_mov_b32 s11, exec_lo
	v_cmpx_eq_u32_e32 2, v12
	s_cbranch_execz .LBB7_366
; %bb.365:                              ;   in Loop: Header=BB7_326 Depth=2
	scratch_load_b32 v0, off, s32 offset:72
	s_waitcnt vmcnt(0)
	v_lshrrev_b32_e32 v1, 31, v0
	s_delay_alu instid0(VALU_DEP_1) | instskip(SKIP_1) | instid1(VALU_DEP_2)
	v_add_nc_u32_e32 v1, v0, v1
	v_add_nc_u32_e32 v0, 1, v0
	v_ashrrev_i32_e32 v1, 1, v1
	s_delay_alu instid0(VALU_DEP_2)
	v_cmp_gt_u32_e32 vcc_lo, 3, v0
	scratch_store_b32 off, v1, s32 offset:72
	v_cndmask_b32_e64 v2, 2, 1, vcc_lo
.LBB7_366:                              ;   in Loop: Header=BB7_326 Depth=2
	s_or_b32 exec_lo, exec_lo, s11
.LBB7_367:                              ;   in Loop: Header=BB7_326 Depth=2
	s_and_not1_saveexec_b32 s6, s6
	s_cbranch_execz .LBB7_371
; %bb.368:                              ;   in Loop: Header=BB7_326 Depth=2
	v_mov_b32_e32 v2, 1
	s_mov_b32 s11, exec_lo
	v_cmpx_eq_u32_e32 1, v12
	s_cbranch_execz .LBB7_370
; %bb.369:                              ;   in Loop: Header=BB7_326 Depth=2
	scratch_load_b32 v0, off, s32 offset:60
	s_waitcnt vmcnt(0)
	v_and_b32_e32 v0, 0x80000001, v0
	s_delay_alu instid0(VALU_DEP_1)
	v_cmp_ne_u32_e32 vcc_lo, 1, v0
	v_cndmask_b32_e64 v2, 0, 1, vcc_lo
.LBB7_370:                              ;   in Loop: Header=BB7_326 Depth=2
	s_or_b32 exec_lo, exec_lo, s11
.LBB7_371:                              ;   in Loop: Header=BB7_326 Depth=2
	s_delay_alu instid0(SALU_CYCLE_1)
	s_or_b32 exec_lo, exec_lo, s6
	v_cmp_eq_u32_e32 vcc_lo, 0, v12
	v_cmp_ne_u32_e64 s12, 0, v12
	s_mov_b32 s6, -1
	scratch_store_b32 off, v2, s32 offset:76
	s_and_saveexec_b32 s11, s12
	s_cbranch_execz .LBB7_381
; %bb.372:                              ;   in Loop: Header=BB7_326 Depth=2
	s_mov_b32 s20, 0
	s_mov_b32 s13, exec_lo
	v_cmpx_eq_u32_e32 1, v12
	s_cbranch_execz .LBB7_374
; %bb.373:                              ;   in Loop: Header=BB7_326 Depth=2
	scratch_load_b32 v0, off, s32 offset:60
	s_waitcnt vmcnt(0)
	v_and_b32_e32 v0, 1, v0
	s_delay_alu instid0(VALU_DEP_1) | instskip(NEXT) | instid1(VALU_DEP_1)
	v_cmp_eq_u32_e64 s6, 0, v0
	s_and_b32 s20, s6, exec_lo
.LBB7_374:                              ;   in Loop: Header=BB7_326 Depth=2
	s_or_b32 exec_lo, exec_lo, s13
	s_delay_alu instid0(SALU_CYCLE_1)
	s_or_not1_b32 s6, s20, exec_lo
	s_or_b32 exec_lo, exec_lo, s11
	s_and_saveexec_b32 s11, s6
	s_cbranch_execnz .LBB7_382
.LBB7_375:                              ;   in Loop: Header=BB7_326 Depth=2
	s_or_b32 exec_lo, exec_lo, s11
	s_mov_b32 s6, 0
	s_and_saveexec_b32 s11, vcc_lo
	s_cbranch_execz .LBB7_377
.LBB7_376:                              ;   in Loop: Header=BB7_326 Depth=2
	s_clause 0x1
	scratch_load_b32 v0, off, s32 offset:68
	scratch_load_b32 v1, off, s32 offset:60
	s_and_not1_b32 s12, s12, exec_lo
	s_mov_b32 s6, exec_lo
	s_waitcnt vmcnt(1)
	v_lshrrev_b32_e32 v3, 31, v0
	s_delay_alu instid0(VALU_DEP_1) | instskip(NEXT) | instid1(VALU_DEP_1)
	v_add_nc_u32_e32 v0, v0, v3
	v_ashrrev_i32_e32 v0, 1, v0
	s_waitcnt vmcnt(0)
	s_delay_alu instid0(VALU_DEP_1) | instskip(SKIP_1) | instid1(SALU_CYCLE_1)
	v_cmp_ne_u32_e32 vcc_lo, v1, v0
	s_and_b32 s13, vcc_lo, exec_lo
	s_or_b32 s12, s12, s13
.LBB7_377:                              ;   in Loop: Header=BB7_326 Depth=2
	s_or_b32 exec_lo, exec_lo, s11
                                        ; implicit-def: $sgpr11
	s_and_saveexec_b32 s13, s12
	s_delay_alu instid0(SALU_CYCLE_1)
	s_xor_b32 s12, exec_lo, s13
	s_cbranch_execz .LBB7_391
; %bb.378:                              ;   in Loop: Header=BB7_326 Depth=2
	scratch_load_b32 v0, off, s32 offset:56
	s_mov_b32 s11, exec_lo
	scratch_store_b32 off, v8, s32 offset:64
	s_waitcnt vmcnt(0)
	scratch_store_b32 off, v0, s32 offset:48
	v_cmpx_lt_u32_e32 1, v2
	s_cbranch_execz .LBB7_380
; %bb.379:                              ;   in Loop: Header=BB7_326 Depth=2
	scratch_load_b32 v1, off, s32 offset:72
	v_sub_nc_u32_e32 v7, 0, v0
	s_delay_alu instid0(VALU_DEP_1) | instskip(SKIP_2) | instid1(VALU_DEP_1)
	v_max_i32_e32 v7, v0, v7
	s_waitcnt vmcnt(0)
	v_lshlrev_b32_e32 v1, 1, v1
	v_sub_nc_u32_e32 v2, 0, v1
	v_xor_b32_e32 v0, v0, v1
	s_delay_alu instid0(VALU_DEP_2) | instskip(NEXT) | instid1(VALU_DEP_2)
	v_max_i32_e32 v2, v1, v2
	v_ashrrev_i32_e32 v0, 31, v0
	s_delay_alu instid0(VALU_DEP_2) | instskip(SKIP_1) | instid1(VALU_DEP_2)
	v_cvt_f32_u32_e32 v3, v2
	v_sub_nc_u32_e32 v6, 0, v2
	v_rcp_iflag_f32_e32 v3, v3
	s_waitcnt_depctr 0xfff
	v_mul_f32_e32 v3, 0x4f7ffffe, v3
	s_delay_alu instid0(VALU_DEP_1) | instskip(NEXT) | instid1(VALU_DEP_1)
	v_cvt_u32_f32_e32 v3, v3
	v_mul_lo_u32 v6, v6, v3
	s_delay_alu instid0(VALU_DEP_1) | instskip(NEXT) | instid1(VALU_DEP_1)
	v_mul_hi_u32 v6, v3, v6
	v_add_nc_u32_e32 v3, v3, v6
	s_delay_alu instid0(VALU_DEP_1) | instskip(NEXT) | instid1(VALU_DEP_1)
	v_mul_hi_u32 v3, v7, v3
	v_mul_lo_u32 v6, v3, v2
	s_delay_alu instid0(VALU_DEP_1) | instskip(SKIP_1) | instid1(VALU_DEP_2)
	v_sub_nc_u32_e32 v6, v7, v6
	v_add_nc_u32_e32 v7, 1, v3
	v_sub_nc_u32_e32 v9, v6, v2
	v_cmp_ge_u32_e32 vcc_lo, v6, v2
	s_delay_alu instid0(VALU_DEP_3) | instskip(NEXT) | instid1(VALU_DEP_1)
	v_cndmask_b32_e32 v3, v3, v7, vcc_lo
	v_dual_cndmask_b32 v1, v6, v9 :: v_dual_add_nc_u32 v6, 1, v3
	s_delay_alu instid0(VALU_DEP_1) | instskip(NEXT) | instid1(VALU_DEP_2)
	v_cmp_ge_u32_e32 vcc_lo, v1, v2
	v_cndmask_b32_e32 v1, v3, v6, vcc_lo
	s_delay_alu instid0(VALU_DEP_1) | instskip(NEXT) | instid1(VALU_DEP_1)
	v_xor_b32_e32 v1, v1, v0
	v_sub_nc_u32_e32 v0, v1, v0
	scratch_store_b32 off, v0, s32 offset:48
.LBB7_380:                              ;   in Loop: Header=BB7_326 Depth=2
	s_or_b32 exec_lo, exec_lo, s11
	s_mov_b32 s11, 0
	s_and_not1_b32 s6, s6, exec_lo
	s_or_b32 exec_lo, exec_lo, s12
	s_and_saveexec_b32 s12, s6
	s_cbranch_execz .LBB7_413
	s_branch .LBB7_392
.LBB7_381:                              ;   in Loop: Header=BB7_326 Depth=2
	s_or_b32 exec_lo, exec_lo, s11
	s_and_saveexec_b32 s11, s6
	s_cbranch_execz .LBB7_375
.LBB7_382:                              ;   in Loop: Header=BB7_326 Depth=2
	scratch_load_b64 v[0:1], off, s32 offset:80
	s_mov_b32 s13, exec_lo
	s_waitcnt vmcnt(0)
	v_cmpx_lt_i32_e32 0, v0
	s_cbranch_execz .LBB7_407
; %bb.383:                              ;   in Loop: Header=BB7_326 Depth=2
	s_mov_b32 s20, 0
	s_mov_b32 s21, s19
	;; [unrolled: 1-line block ×3, first 2 shown]
	s_branch .LBB7_387
.LBB7_384:                              ;   in Loop: Header=BB7_387 Depth=3
	s_or_b32 exec_lo, exec_lo, s26
	v_add_nc_u32_e32 v1, 1, v6
	scratch_store_b32 off, v1, s21
.LBB7_385:                              ;   in Loop: Header=BB7_387 Depth=3
	s_or_b32 exec_lo, exec_lo, s24
	v_mov_b32_e32 v1, v3
.LBB7_386:                              ;   in Loop: Header=BB7_387 Depth=3
	s_or_b32 exec_lo, exec_lo, s23
	s_add_i32 s22, s22, 1
	s_add_i32 s21, s21, 4
	v_cmp_eq_u32_e64 s6, s22, v0
	s_delay_alu instid0(VALU_DEP_1) | instskip(NEXT) | instid1(SALU_CYCLE_1)
	s_or_b32 s20, s6, s20
	s_and_not1_b32 exec_lo, exec_lo, s20
	s_cbranch_execz .LBB7_406
.LBB7_387:                              ;   Parent Loop BB7_4 Depth=1
                                        ;     Parent Loop BB7_326 Depth=2
                                        ; =>    This Inner Loop Header: Depth=3
	scratch_load_b32 v3, off, s21 offset:-128
	s_mov_b32 s23, exec_lo
	s_waitcnt vmcnt(0)
	v_add_nc_u32_e32 v3, -1, v3
	scratch_store_b32 off, v3, s21 offset:-128
	v_cmpx_eq_u32_e32 0, v3
	s_cbranch_execz .LBB7_386
; %bb.388:                              ;   in Loop: Header=BB7_387 Depth=3
	s_lshl_b32 s25, 1, s22
	s_mov_b32 s24, exec_lo
	v_dual_mov_b32 v7, s25 :: v_dual_and_b32 v6, s25, v1
	v_xor_b32_e32 v3, s25, v1
	scratch_store_b32 off, v3, s32 offset:84
	scratch_store_b32 off, v7, s21 offset:-128
	v_cmpx_ne_u32_e32 0, v6
	s_cbranch_execz .LBB7_385
; %bb.389:                              ;   in Loop: Header=BB7_387 Depth=3
	scratch_load_b32 v6, off, s21
	s_mov_b32 s26, exec_lo
	s_waitcnt vmcnt(0)
	v_ctz_i32_b32_e32 v7, v6
	v_cmp_eq_u32_e64 s6, 0, v6
	s_delay_alu instid0(VALU_DEP_1) | instskip(NEXT) | instid1(VALU_DEP_1)
	v_cndmask_b32_e64 v7, v7, v0, s6
	v_add3_u32 v7, s25, -1, v7
	scratch_store_b32 off, v7, s21 offset:-128
	v_cmpx_eq_u32_e32 0, v7
	s_cbranch_execz .LBB7_384
; %bb.390:                              ;   in Loop: Header=BB7_387 Depth=3
	v_mov_b32_e32 v3, v1
	v_mov_b32_e32 v7, s25
	scratch_store_b32 off, v1, s32 offset:84
	scratch_store_b32 off, v7, s21 offset:-128
	s_branch .LBB7_384
.LBB7_391:                              ;   in Loop: Header=BB7_326 Depth=2
	s_or_b32 exec_lo, exec_lo, s12
	s_and_saveexec_b32 s12, s6
	s_cbranch_execz .LBB7_413
.LBB7_392:                              ;   in Loop: Header=BB7_326 Depth=2
	s_clause 0x1
	scratch_load_b32 v0, off, s32 offset:24
	scratch_load_b64 v[2:3], off, s32 offset:8
	s_mov_b32 s6, exec_lo
                                        ; implicit-def: $sgpr13
	s_waitcnt vmcnt(1)
	v_ashrrev_i32_e32 v1, 31, v0
	v_add_co_u32 v4, vcc_lo, v4, v0
	s_delay_alu instid0(VALU_DEP_2)
	v_add_co_ci_u32_e32 v5, vcc_lo, v5, v1, vcc_lo
	scratch_store_b64 off, v[4:5], s32
	s_waitcnt vmcnt(0)
	v_cmpx_le_u64_e64 v[2:3], v[4:5]
	s_xor_b32 s6, exec_lo, s6
	s_cbranch_execz .LBB7_394
; %bb.393:                              ;   in Loop: Header=BB7_326 Depth=2
	s_mov_b32 s13, -1
	ds_store_b32 v0, v38 offset:32
                                        ; implicit-def: $vgpr2_vgpr3
                                        ; implicit-def: $vgpr4
                                        ; implicit-def: $vgpr0_vgpr1
.LBB7_394:                              ;   in Loop: Header=BB7_326 Depth=2
	s_and_not1_saveexec_b32 s20, s6
	s_cbranch_execz .LBB7_412
; %bb.395:                              ;   in Loop: Header=BB7_326 Depth=2
	s_clause 0x1
	scratch_load_b32 v6, off, s32 offset:56
	scratch_load_b32 v7, off, s32 offset:80
	v_sub_co_u32 v2, vcc_lo, v2, v4
	v_sub_co_ci_u32_e32 v3, vcc_lo, v3, v5, vcc_lo
	s_mov_b32 s21, exec_lo
	s_delay_alu instid0(VALU_DEP_1) | instskip(SKIP_4) | instid1(VALU_DEP_2)
	v_cmp_lt_i64_e32 vcc_lo, v[0:1], v[2:3]
	v_dual_cndmask_b32 v3, v2, v0 :: v_dual_mov_b32 v2, 0
	s_waitcnt vmcnt(1)
	v_lshrrev_b32_e32 v9, 31, v6
	v_add_nc_u32_e32 v4, -2, v6
	v_add_nc_u32_e32 v5, v6, v9
	s_delay_alu instid0(VALU_DEP_2) | instskip(NEXT) | instid1(VALU_DEP_2)
	v_cmp_gt_u32_e32 vcc_lo, -3, v4
	v_ashrrev_i32_e32 v0, 1, v5
	v_cndmask_b32_e64 v1, 1, 2, vcc_lo
	s_clause 0x2
	scratch_store_b32 off, v3, s32 offset:28
	scratch_store_b64 off, v[0:1], s32 offset:72
	scratch_store_b32 off, v8, s32 offset:84
	s_waitcnt vmcnt(0)
	v_cmpx_lt_i32_e32 0, v7
	s_cbranch_execz .LBB7_409
; %bb.396:                              ;   in Loop: Header=BB7_326 Depth=2
	v_mov_b32_e32 v1, v7
	s_mov_b32 s22, 0
	s_mov_b32 s23, s19
.LBB7_397:                              ;   Parent Loop BB7_4 Depth=1
                                        ;     Parent Loop BB7_326 Depth=2
                                        ; =>    This Inner Loop Header: Depth=3
	s_clause 0x1
	scratch_store_b32 off, v1, s23 offset:-128
	scratch_store_b32 off, v11, s23
	v_add_nc_u32_e32 v1, -1, v1
	s_add_i32 s23, s23, 4
	s_delay_alu instid0(VALU_DEP_1) | instskip(NEXT) | instid1(VALU_DEP_1)
	v_cmp_eq_u32_e64 s6, 0, v1
	s_or_b32 s22, s6, s22
	s_delay_alu instid0(SALU_CYCLE_1)
	s_and_not1_b32 exec_lo, exec_lo, s22
	s_cbranch_execnz .LBB7_397
; %bb.398:                              ;   in Loop: Header=BB7_326 Depth=2
	s_or_b32 exec_lo, exec_lo, s22
	v_mov_b32_e32 v2, 0
	s_mov_b32 s22, 0
	s_mov_b32 s23, s19
	s_mov_b32 s24, 0
	s_branch .LBB7_402
.LBB7_399:                              ;   in Loop: Header=BB7_402 Depth=3
	s_or_b32 exec_lo, exec_lo, s28
	v_add_nc_u32_e32 v2, 1, v3
	scratch_store_b32 off, v2, s23
.LBB7_400:                              ;   in Loop: Header=BB7_402 Depth=3
	s_or_b32 exec_lo, exec_lo, s26
	v_mov_b32_e32 v2, v1
.LBB7_401:                              ;   in Loop: Header=BB7_402 Depth=3
	s_or_b32 exec_lo, exec_lo, s25
	s_add_i32 s24, s24, 1
	s_add_i32 s23, s23, 4
	v_cmp_eq_u32_e64 s6, s24, v7
	s_delay_alu instid0(VALU_DEP_1) | instskip(NEXT) | instid1(SALU_CYCLE_1)
	s_or_b32 s22, s6, s22
	s_and_not1_b32 exec_lo, exec_lo, s22
	s_cbranch_execz .LBB7_408
.LBB7_402:                              ;   Parent Loop BB7_4 Depth=1
                                        ;     Parent Loop BB7_326 Depth=2
                                        ; =>    This Inner Loop Header: Depth=3
	scratch_load_b32 v1, off, s23 offset:-128
	s_mov_b32 s25, exec_lo
	s_waitcnt vmcnt(0)
	v_add_nc_u32_e32 v1, -1, v1
	scratch_store_b32 off, v1, s23 offset:-128
	v_cmpx_eq_u32_e32 0, v1
	s_cbranch_execz .LBB7_401
; %bb.403:                              ;   in Loop: Header=BB7_402 Depth=3
	s_lshl_b32 s27, 1, s24
	s_mov_b32 s26, exec_lo
	v_dual_mov_b32 v4, s27 :: v_dual_and_b32 v3, s27, v2
	v_xor_b32_e32 v1, s27, v2
	scratch_store_b32 off, v1, s32 offset:84
	scratch_store_b32 off, v4, s23 offset:-128
	v_cmpx_ne_u32_e32 0, v3
	s_cbranch_execz .LBB7_400
; %bb.404:                              ;   in Loop: Header=BB7_402 Depth=3
	scratch_load_b32 v3, off, s23
	s_mov_b32 s28, exec_lo
	s_waitcnt vmcnt(0)
	v_ctz_i32_b32_e32 v4, v3
	v_cmp_eq_u32_e64 s6, 0, v3
	s_delay_alu instid0(VALU_DEP_1) | instskip(NEXT) | instid1(VALU_DEP_1)
	v_cndmask_b32_e64 v4, v4, v7, s6
	v_add3_u32 v4, s27, -1, v4
	scratch_store_b32 off, v4, s23 offset:-128
	v_cmpx_eq_u32_e32 0, v4
	s_cbranch_execz .LBB7_399
; %bb.405:                              ;   in Loop: Header=BB7_402 Depth=3
	v_dual_mov_b32 v4, s27 :: v_dual_mov_b32 v1, v2
	scratch_store_b32 off, v2, s32 offset:84
	scratch_store_b32 off, v4, s23 offset:-128
	s_branch .LBB7_399
.LBB7_406:                              ;   in Loop: Header=BB7_326 Depth=2
	s_or_b32 exec_lo, exec_lo, s20
.LBB7_407:                              ;   in Loop: Header=BB7_326 Depth=2
	s_delay_alu instid0(SALU_CYCLE_1)
	s_or_b32 exec_lo, exec_lo, s13
	scratch_store_b32 off, v1, s32 offset:60
	s_or_b32 exec_lo, exec_lo, s11
	s_mov_b32 s6, 0
	s_and_saveexec_b32 s11, vcc_lo
	s_cbranch_execz .LBB7_377
	s_branch .LBB7_376
.LBB7_408:                              ;   in Loop: Header=BB7_326 Depth=2
	s_or_b32 exec_lo, exec_lo, s22
.LBB7_409:                              ;   in Loop: Header=BB7_326 Depth=2
	s_delay_alu instid0(SALU_CYCLE_1)
	s_or_b32 exec_lo, exec_lo, s21
	v_mov_b32_e32 v3, v8
	scratch_store_b64 off, v[2:3], s32 offset:60
	s_and_saveexec_b32 s6, vcc_lo
	s_cbranch_execz .LBB7_411
; %bb.410:                              ;   in Loop: Header=BB7_326 Depth=2
	v_ashrrev_i32_e32 v1, 31, v0
	v_sub_nc_u32_e32 v4, 0, v6
	s_delay_alu instid0(VALU_DEP_2) | instskip(NEXT) | instid1(VALU_DEP_2)
	v_lshl_add_u32 v0, v0, 1, v1
	v_max_i32_e32 v4, v6, v4
	s_delay_alu instid0(VALU_DEP_2) | instskip(NEXT) | instid1(VALU_DEP_1)
	v_xor_b32_e32 v0, v0, v1
	v_cvt_f32_u32_e32 v2, v0
	v_sub_nc_u32_e32 v3, 0, v0
	s_delay_alu instid0(VALU_DEP_2) | instskip(SKIP_2) | instid1(VALU_DEP_1)
	v_rcp_iflag_f32_e32 v2, v2
	s_waitcnt_depctr 0xfff
	v_mul_f32_e32 v2, 0x4f7ffffe, v2
	v_cvt_u32_f32_e32 v2, v2
	s_delay_alu instid0(VALU_DEP_1) | instskip(NEXT) | instid1(VALU_DEP_1)
	v_mul_lo_u32 v3, v3, v2
	v_mul_hi_u32 v3, v2, v3
	s_delay_alu instid0(VALU_DEP_1) | instskip(NEXT) | instid1(VALU_DEP_1)
	v_add_nc_u32_e32 v2, v2, v3
	v_mul_hi_u32 v2, v4, v2
	s_delay_alu instid0(VALU_DEP_1) | instskip(NEXT) | instid1(VALU_DEP_1)
	v_mul_lo_u32 v3, v2, v0
	v_sub_nc_u32_e32 v3, v4, v3
	v_add_nc_u32_e32 v4, 1, v2
	s_delay_alu instid0(VALU_DEP_2) | instskip(SKIP_1) | instid1(VALU_DEP_2)
	v_sub_nc_u32_e32 v5, v3, v0
	v_cmp_ge_u32_e32 vcc_lo, v3, v0
	v_dual_cndmask_b32 v3, v3, v5 :: v_dual_cndmask_b32 v2, v2, v4
	v_ashrrev_i32_e32 v4, 31, v6
	s_delay_alu instid0(VALU_DEP_2) | instskip(NEXT) | instid1(VALU_DEP_3)
	v_cmp_ge_u32_e32 vcc_lo, v3, v0
	v_add_nc_u32_e32 v5, 1, v2
	s_delay_alu instid0(VALU_DEP_3) | instskip(NEXT) | instid1(VALU_DEP_2)
	v_xor_b32_e32 v1, v4, v1
	v_cndmask_b32_e32 v0, v2, v5, vcc_lo
	s_delay_alu instid0(VALU_DEP_1) | instskip(NEXT) | instid1(VALU_DEP_1)
	v_xor_b32_e32 v0, v0, v1
	v_sub_nc_u32_e32 v6, v0, v1
.LBB7_411:                              ;   in Loop: Header=BB7_326 Depth=2
	s_or_b32 exec_lo, exec_lo, s6
	s_delay_alu instid0(SALU_CYCLE_1)
	s_and_not1_b32 s13, s13, exec_lo
	scratch_store_b32 off, v6, s32 offset:48
.LBB7_412:                              ;   in Loop: Header=BB7_326 Depth=2
	s_or_b32 exec_lo, exec_lo, s20
	s_delay_alu instid0(SALU_CYCLE_1) | instskip(SKIP_1) | instid1(SALU_CYCLE_1)
	s_and_not1_b32 s6, s11, exec_lo
	s_and_b32 s11, s13, exec_lo
	s_or_b32 s11, s6, s11
.LBB7_413:                              ;   in Loop: Header=BB7_326 Depth=2
	s_or_b32 exec_lo, exec_lo, s12
	s_delay_alu instid0(SALU_CYCLE_1)
	s_and_b32 s11, s11, exec_lo
                                        ; implicit-def: $vgpr12
                                        ; implicit-def: $vgpr4_vgpr5
                                        ; implicit-def: $vgpr14
                                        ; implicit-def: $vgpr0
                                        ; implicit-def: $vgpr13
.LBB7_414:                              ;   in Loop: Header=BB7_326 Depth=2
	s_and_not1_saveexec_b32 s8, s8
	s_cbranch_execz .LBB7_420
; %bb.415:                              ;   in Loop: Header=BB7_326 Depth=2
	scratch_load_b32 v1, off, s32 offset:60
	v_cmp_eq_u32_e32 vcc_lo, 0, v12
	s_waitcnt vmcnt(0)
	v_cmp_eq_u32_e64 s6, 1, v1
	s_delay_alu instid0(VALU_DEP_1) | instskip(NEXT) | instid1(SALU_CYCLE_1)
	s_and_b32 s12, vcc_lo, s6
	s_and_saveexec_b32 s6, s12
	s_cbranch_execz .LBB7_419
; %bb.416:                              ;   in Loop: Header=BB7_326 Depth=2
	s_clause 0x1
	scratch_load_b32 v3, off, s32 offset:24
	scratch_load_b64 v[1:2], off, s32 offset:8
	s_waitcnt vmcnt(1)
	v_ashrrev_i32_e32 v6, 31, v3
	v_add_co_u32 v3, vcc_lo, v4, v3
	s_delay_alu instid0(VALU_DEP_2) | instskip(SKIP_1) | instid1(VALU_DEP_1)
	v_add_co_ci_u32_e32 v4, vcc_lo, v5, v6, vcc_lo
	s_waitcnt vmcnt(0)
	v_cmp_ge_u64_e32 vcc_lo, v[3:4], v[1:2]
	s_and_b32 exec_lo, exec_lo, vcc_lo
	s_cbranch_execz .LBB7_419
; %bb.417:                              ;   in Loop: Header=BB7_326 Depth=2
	v_sub_nc_u32_e32 v1, 0, v0
	v_add_nc_u32_e32 v3, -1, v14
	v_sub_nc_u32_e32 v4, 1, v14
	s_delay_alu instid0(VALU_DEP_3) | instskip(NEXT) | instid1(VALU_DEP_2)
	v_max_i32_e32 v0, v0, v1
	v_max_i32_e32 v4, v3, v4
	s_delay_alu instid0(VALU_DEP_2) | instskip(SKIP_1) | instid1(VALU_DEP_2)
	v_cvt_f32_u32_e32 v1, v0
	v_sub_nc_u32_e32 v2, 0, v0
	v_rcp_iflag_f32_e32 v1, v1
	s_waitcnt_depctr 0xfff
	v_mul_f32_e32 v1, 0x4f7ffffe, v1
	s_delay_alu instid0(VALU_DEP_1) | instskip(NEXT) | instid1(VALU_DEP_1)
	v_cvt_u32_f32_e32 v1, v1
	v_mul_lo_u32 v2, v2, v1
	s_delay_alu instid0(VALU_DEP_1) | instskip(NEXT) | instid1(VALU_DEP_1)
	v_mul_hi_u32 v2, v1, v2
	v_add_nc_u32_e32 v1, v1, v2
	s_delay_alu instid0(VALU_DEP_1) | instskip(NEXT) | instid1(VALU_DEP_1)
	v_mul_hi_u32 v1, v4, v1
	v_mul_lo_u32 v1, v1, v0
	s_delay_alu instid0(VALU_DEP_1) | instskip(SKIP_1) | instid1(VALU_DEP_2)
	v_sub_nc_u32_e32 v1, v4, v1
	v_ashrrev_i32_e32 v4, 31, v3
	v_sub_nc_u32_e32 v2, v1, v0
	v_cmp_ge_u32_e32 vcc_lo, v1, v0
	s_delay_alu instid0(VALU_DEP_2) | instskip(NEXT) | instid1(VALU_DEP_1)
	v_cndmask_b32_e32 v1, v1, v2, vcc_lo
	v_sub_nc_u32_e32 v2, v1, v0
	v_cmp_ge_u32_e32 vcc_lo, v1, v0
	s_delay_alu instid0(VALU_DEP_2) | instskip(NEXT) | instid1(VALU_DEP_1)
	v_cndmask_b32_e32 v0, v1, v2, vcc_lo
	v_xor_b32_e32 v0, v0, v4
	s_delay_alu instid0(VALU_DEP_1) | instskip(NEXT) | instid1(VALU_DEP_1)
	v_sub_nc_u32_e32 v0, v4, v0
	v_add_nc_u32_e32 v0, v3, v0
	s_delay_alu instid0(VALU_DEP_1)
	v_cmp_ge_i32_e32 vcc_lo, v13, v0
	s_and_b32 exec_lo, exec_lo, vcc_lo
	s_cbranch_execz .LBB7_419
; %bb.418:                              ;   in Loop: Header=BB7_326 Depth=2
	ds_store_b32 v0, v11 offset:32
.LBB7_419:                              ;   in Loop: Header=BB7_326 Depth=2
	s_or_b32 exec_lo, exec_lo, s6
	s_delay_alu instid0(SALU_CYCLE_1)
	s_and_not1_b32 s11, s11, exec_lo
.LBB7_420:                              ;   in Loop: Header=BB7_326 Depth=2
	s_or_b32 exec_lo, exec_lo, s8
	v_cndmask_b32_e64 v0, 1, 3, s7
	s_add_i32 s10, s10, 1
	s_and_b32 s6, exec_lo, s11
	s_delay_alu instid0(SALU_CYCLE_1)
	s_or_b32 s9, s6, s9
	ds_store_b32 v0, v0 offset:36
	s_and_not1_b32 exec_lo, exec_lo, s9
	s_cbranch_execnz .LBB7_326
; %bb.421:                              ;   in Loop: Header=BB7_4 Depth=1
	s_or_b32 exec_lo, exec_lo, s9
.LBB7_422:                              ;   in Loop: Header=BB7_4 Depth=1
	s_delay_alu instid0(SALU_CYCLE_1)
	s_or_b32 exec_lo, exec_lo, s16
	s_cbranch_execnz .LBB7_433
; %bb.423:                              ;   in Loop: Header=BB7_4 Depth=1
	ds_load_b32 v0, v0
	s_add_i32 s18, s18, 1
	s_waitcnt lgkmcnt(0)
	v_cmp_lt_i32_e32 vcc_lo, s18, v0
	s_cbranch_vccnz .LBB7_4
.LBB7_424:
	v_readlane_b32 s30, v40, 1
	v_readlane_b32 s31, v40, 2
	;; [unrolled: 1-line block ×3, first 2 shown]
	s_or_saveexec_b32 s0, -1
	scratch_load_b32 v40, off, s32 offset:344 ; 4-byte Folded Reload
	s_mov_b32 exec_lo, s0
	s_waitcnt vmcnt(0)
	s_setpc_b64 s[30:31]
.LBB7_425:
	s_trap 2
	s_sendmsg_rtn_b32 s0, sendmsg(MSG_RTN_GET_DOORBELL)
	s_mov_b32 ttmp2, m0
	s_waitcnt lgkmcnt(0)
	s_and_b32 s0, s0, 0x3ff
	s_delay_alu instid0(SALU_CYCLE_1) | instskip(NEXT) | instid1(SALU_CYCLE_1)
	s_bitset1_b32 s0, 10
	s_mov_b32 m0, s0
	s_sendmsg sendmsg(MSG_INTERRUPT)
	s_mov_b32 m0, ttmp2
.LBB7_426:                              ; =>This Inner Loop Header: Depth=1
	s_sethalt 5
	s_branch .LBB7_426
.LBB7_427:
	s_trap 2
	s_sendmsg_rtn_b32 s0, sendmsg(MSG_RTN_GET_DOORBELL)
	s_mov_b32 ttmp2, m0
	s_waitcnt lgkmcnt(0)
	s_and_b32 s0, s0, 0x3ff
	s_delay_alu instid0(SALU_CYCLE_1) | instskip(NEXT) | instid1(SALU_CYCLE_1)
	s_bitset1_b32 s0, 10
	s_mov_b32 m0, s0
	s_sendmsg sendmsg(MSG_INTERRUPT)
	s_mov_b32 m0, ttmp2
.LBB7_428:                              ; =>This Inner Loop Header: Depth=1
	s_sethalt 5
	s_branch .LBB7_428
.LBB7_429:
	s_trap 2
	s_sendmsg_rtn_b32 s0, sendmsg(MSG_RTN_GET_DOORBELL)
	s_mov_b32 ttmp2, m0
	s_waitcnt lgkmcnt(0)
	s_and_b32 s0, s0, 0x3ff
	s_delay_alu instid0(SALU_CYCLE_1) | instskip(NEXT) | instid1(SALU_CYCLE_1)
	s_bitset1_b32 s0, 10
	s_mov_b32 m0, s0
	s_sendmsg sendmsg(MSG_INTERRUPT)
	s_mov_b32 m0, ttmp2
.LBB7_430:                              ; =>This Inner Loop Header: Depth=1
	s_sethalt 5
	s_branch .LBB7_430
.LBB7_431:
	s_trap 2
	s_sendmsg_rtn_b32 s0, sendmsg(MSG_RTN_GET_DOORBELL)
	s_mov_b32 ttmp2, m0
	s_waitcnt lgkmcnt(0)
	s_and_b32 s0, s0, 0x3ff
	s_delay_alu instid0(SALU_CYCLE_1) | instskip(NEXT) | instid1(SALU_CYCLE_1)
	s_bitset1_b32 s0, 10
	s_mov_b32 m0, s0
	s_sendmsg sendmsg(MSG_INTERRUPT)
	s_mov_b32 m0, ttmp2
.LBB7_432:                              ; =>This Inner Loop Header: Depth=1
	s_sethalt 5
	s_branch .LBB7_432
.LBB7_433:
	s_trap 2
	s_sendmsg_rtn_b32 s0, sendmsg(MSG_RTN_GET_DOORBELL)
	s_mov_b32 ttmp2, m0
	s_waitcnt lgkmcnt(0)
	s_and_b32 s0, s0, 0x3ff
	s_delay_alu instid0(SALU_CYCLE_1) | instskip(NEXT) | instid1(SALU_CYCLE_1)
	s_bitset1_b32 s0, 10
	s_mov_b32 m0, s0
	s_sendmsg sendmsg(MSG_INTERRUPT)
	s_mov_b32 m0, ttmp2
.LBB7_434:                              ; =>This Inner Loop Header: Depth=1
	s_sethalt 5
	s_branch .LBB7_434
.LBB7_435:
	s_trap 2
	s_sendmsg_rtn_b32 s0, sendmsg(MSG_RTN_GET_DOORBELL)
	s_mov_b32 ttmp2, m0
	s_waitcnt lgkmcnt(0)
	s_and_b32 s0, s0, 0x3ff
	s_delay_alu instid0(SALU_CYCLE_1) | instskip(NEXT) | instid1(SALU_CYCLE_1)
	s_bitset1_b32 s0, 10
	s_mov_b32 m0, s0
	s_sendmsg sendmsg(MSG_INTERRUPT)
	s_mov_b32 m0, ttmp2
.LBB7_436:                              ; =>This Inner Loop Header: Depth=1
	s_sethalt 5
	s_branch .LBB7_436
.LBB7_437:
	s_trap 2
	s_sendmsg_rtn_b32 s0, sendmsg(MSG_RTN_GET_DOORBELL)
	s_mov_b32 ttmp2, m0
	s_waitcnt lgkmcnt(0)
	s_and_b32 s0, s0, 0x3ff
	s_delay_alu instid0(SALU_CYCLE_1) | instskip(NEXT) | instid1(SALU_CYCLE_1)
	s_bitset1_b32 s0, 10
	s_mov_b32 m0, s0
	s_sendmsg sendmsg(MSG_INTERRUPT)
	s_mov_b32 m0, ttmp2
.LBB7_438:                              ; =>This Inner Loop Header: Depth=1
	s_sethalt 5
	s_branch .LBB7_438
.LBB7_439:
	s_trap 2
	s_sendmsg_rtn_b32 s0, sendmsg(MSG_RTN_GET_DOORBELL)
	s_mov_b32 ttmp2, m0
	s_waitcnt lgkmcnt(0)
	s_and_b32 s0, s0, 0x3ff
	s_delay_alu instid0(SALU_CYCLE_1) | instskip(NEXT) | instid1(SALU_CYCLE_1)
	s_bitset1_b32 s0, 10
	s_mov_b32 m0, s0
	s_sendmsg sendmsg(MSG_INTERRUPT)
	s_mov_b32 m0, ttmp2
.LBB7_440:                              ; =>This Inner Loop Header: Depth=1
	s_sethalt 5
	s_branch .LBB7_440
.LBB7_441:
	s_trap 2
	s_sendmsg_rtn_b32 s0, sendmsg(MSG_RTN_GET_DOORBELL)
	s_mov_b32 ttmp2, m0
	s_waitcnt lgkmcnt(0)
	s_and_b32 s0, s0, 0x3ff
	s_delay_alu instid0(SALU_CYCLE_1) | instskip(NEXT) | instid1(SALU_CYCLE_1)
	s_bitset1_b32 s0, 10
	s_mov_b32 m0, s0
	s_sendmsg sendmsg(MSG_INTERRUPT)
	s_mov_b32 m0, ttmp2
.LBB7_442:                              ; =>This Inner Loop Header: Depth=1
	s_sethalt 5
	s_branch .LBB7_442
.LBB7_443:
	s_trap 2
	s_sendmsg_rtn_b32 s0, sendmsg(MSG_RTN_GET_DOORBELL)
	s_mov_b32 ttmp2, m0
	s_waitcnt lgkmcnt(0)
	s_and_b32 s0, s0, 0x3ff
	s_delay_alu instid0(SALU_CYCLE_1) | instskip(NEXT) | instid1(SALU_CYCLE_1)
	s_bitset1_b32 s0, 10
	s_mov_b32 m0, s0
	s_sendmsg sendmsg(MSG_INTERRUPT)
	s_mov_b32 m0, ttmp2
.LBB7_444:                              ; =>This Inner Loop Header: Depth=1
	s_sethalt 5
	s_branch .LBB7_444
.LBB7_445:
	s_trap 2
	s_sendmsg_rtn_b32 s0, sendmsg(MSG_RTN_GET_DOORBELL)
	s_mov_b32 ttmp2, m0
	s_waitcnt lgkmcnt(0)
	s_and_b32 s0, s0, 0x3ff
	s_delay_alu instid0(SALU_CYCLE_1) | instskip(NEXT) | instid1(SALU_CYCLE_1)
	s_bitset1_b32 s0, 10
	s_mov_b32 m0, s0
	s_sendmsg sendmsg(MSG_INTERRUPT)
	s_mov_b32 m0, ttmp2
.LBB7_446:                              ; =>This Inner Loop Header: Depth=1
	s_sethalt 5
	s_branch .LBB7_446
.LBB7_447:
	s_trap 2
	s_sendmsg_rtn_b32 s0, sendmsg(MSG_RTN_GET_DOORBELL)
	s_mov_b32 ttmp2, m0
	s_waitcnt lgkmcnt(0)
	s_and_b32 s0, s0, 0x3ff
	s_delay_alu instid0(SALU_CYCLE_1) | instskip(NEXT) | instid1(SALU_CYCLE_1)
	s_bitset1_b32 s0, 10
	s_mov_b32 m0, s0
	s_sendmsg sendmsg(MSG_INTERRUPT)
	s_mov_b32 m0, ttmp2
.LBB7_448:                              ; =>This Inner Loop Header: Depth=1
	s_sethalt 5
	s_branch .LBB7_448
.LBB7_449:
	s_trap 2
	s_sendmsg_rtn_b32 s0, sendmsg(MSG_RTN_GET_DOORBELL)
	s_mov_b32 ttmp2, m0
	s_waitcnt lgkmcnt(0)
	s_and_b32 s0, s0, 0x3ff
	s_delay_alu instid0(SALU_CYCLE_1) | instskip(NEXT) | instid1(SALU_CYCLE_1)
	s_bitset1_b32 s0, 10
	s_mov_b32 m0, s0
	s_sendmsg sendmsg(MSG_INTERRUPT)
	s_mov_b32 m0, ttmp2
.LBB7_450:                              ; =>This Inner Loop Header: Depth=1
	s_sethalt 5
	s_branch .LBB7_450
.LBB7_451:
	s_trap 2
	s_sendmsg_rtn_b32 s0, sendmsg(MSG_RTN_GET_DOORBELL)
	s_mov_b32 ttmp2, m0
	s_waitcnt lgkmcnt(0)
	s_and_b32 s0, s0, 0x3ff
	s_delay_alu instid0(SALU_CYCLE_1) | instskip(NEXT) | instid1(SALU_CYCLE_1)
	s_bitset1_b32 s0, 10
	s_mov_b32 m0, s0
	s_sendmsg sendmsg(MSG_INTERRUPT)
	s_mov_b32 m0, ttmp2
.LBB7_452:                              ; =>This Inner Loop Header: Depth=1
	s_sethalt 5
	s_branch .LBB7_452
.LBB7_453:
	s_trap 2
	s_sendmsg_rtn_b32 s0, sendmsg(MSG_RTN_GET_DOORBELL)
	s_mov_b32 ttmp2, m0
	s_waitcnt lgkmcnt(0)
	s_and_b32 s0, s0, 0x3ff
	s_delay_alu instid0(SALU_CYCLE_1) | instskip(NEXT) | instid1(SALU_CYCLE_1)
	s_bitset1_b32 s0, 10
	s_mov_b32 m0, s0
	s_sendmsg sendmsg(MSG_INTERRUPT)
	s_mov_b32 m0, ttmp2
.LBB7_454:                              ; =>This Inner Loop Header: Depth=1
	s_sethalt 5
	s_branch .LBB7_454
.LBB7_455:
	s_trap 2
	s_sendmsg_rtn_b32 s0, sendmsg(MSG_RTN_GET_DOORBELL)
	s_mov_b32 ttmp2, m0
	s_waitcnt lgkmcnt(0)
	s_and_b32 s0, s0, 0x3ff
	s_delay_alu instid0(SALU_CYCLE_1) | instskip(NEXT) | instid1(SALU_CYCLE_1)
	s_bitset1_b32 s0, 10
	s_mov_b32 m0, s0
	s_sendmsg sendmsg(MSG_INTERRUPT)
	s_mov_b32 m0, ttmp2
.LBB7_456:                              ; =>This Inner Loop Header: Depth=1
	s_sethalt 5
	s_branch .LBB7_456
.LBB7_457:
	s_trap 2
	s_sendmsg_rtn_b32 s0, sendmsg(MSG_RTN_GET_DOORBELL)
	s_mov_b32 ttmp2, m0
	s_waitcnt lgkmcnt(0)
	s_and_b32 s0, s0, 0x3ff
	s_delay_alu instid0(SALU_CYCLE_1) | instskip(NEXT) | instid1(SALU_CYCLE_1)
	s_bitset1_b32 s0, 10
	s_mov_b32 m0, s0
	s_sendmsg sendmsg(MSG_INTERRUPT)
	s_mov_b32 m0, ttmp2
.LBB7_458:                              ; =>This Inner Loop Header: Depth=1
	s_sethalt 5
	s_branch .LBB7_458
.LBB7_459:
	s_trap 2
	s_sendmsg_rtn_b32 s0, sendmsg(MSG_RTN_GET_DOORBELL)
	s_mov_b32 ttmp2, m0
	s_waitcnt lgkmcnt(0)
	s_and_b32 s0, s0, 0x3ff
	s_delay_alu instid0(SALU_CYCLE_1) | instskip(NEXT) | instid1(SALU_CYCLE_1)
	s_bitset1_b32 s0, 10
	s_mov_b32 m0, s0
	s_sendmsg sendmsg(MSG_INTERRUPT)
	s_mov_b32 m0, ttmp2
.LBB7_460:                              ; =>This Inner Loop Header: Depth=1
	s_sethalt 5
	s_branch .LBB7_460
.LBB7_461:
	s_trap 2
	s_sendmsg_rtn_b32 s0, sendmsg(MSG_RTN_GET_DOORBELL)
	s_mov_b32 ttmp2, m0
	s_waitcnt lgkmcnt(0)
	s_and_b32 s0, s0, 0x3ff
	s_delay_alu instid0(SALU_CYCLE_1) | instskip(NEXT) | instid1(SALU_CYCLE_1)
	s_bitset1_b32 s0, 10
	s_mov_b32 m0, s0
	s_sendmsg sendmsg(MSG_INTERRUPT)
	s_mov_b32 m0, ttmp2
.LBB7_462:                              ; =>This Inner Loop Header: Depth=1
	s_sethalt 5
	s_branch .LBB7_462
.LBB7_463:
	s_trap 2
	s_sendmsg_rtn_b32 s0, sendmsg(MSG_RTN_GET_DOORBELL)
	s_mov_b32 ttmp2, m0
	s_waitcnt lgkmcnt(0)
	s_and_b32 s0, s0, 0x3ff
	s_delay_alu instid0(SALU_CYCLE_1) | instskip(NEXT) | instid1(SALU_CYCLE_1)
	s_bitset1_b32 s0, 10
	s_mov_b32 m0, s0
	s_sendmsg sendmsg(MSG_INTERRUPT)
	s_mov_b32 m0, ttmp2
.LBB7_464:                              ; =>This Inner Loop Header: Depth=1
	s_sethalt 5
	s_branch .LBB7_464
.LBB7_465:
	s_trap 2
	s_sendmsg_rtn_b32 s0, sendmsg(MSG_RTN_GET_DOORBELL)
	s_mov_b32 ttmp2, m0
	s_waitcnt lgkmcnt(0)
	s_and_b32 s0, s0, 0x3ff
	s_delay_alu instid0(SALU_CYCLE_1) | instskip(NEXT) | instid1(SALU_CYCLE_1)
	s_bitset1_b32 s0, 10
	s_mov_b32 m0, s0
	s_sendmsg sendmsg(MSG_INTERRUPT)
	s_mov_b32 m0, ttmp2
.LBB7_466:                              ; =>This Inner Loop Header: Depth=1
	s_sethalt 5
	s_branch .LBB7_466
.LBB7_467:
	s_trap 2
	s_sendmsg_rtn_b32 s0, sendmsg(MSG_RTN_GET_DOORBELL)
	s_mov_b32 ttmp2, m0
	s_waitcnt lgkmcnt(0)
	s_and_b32 s0, s0, 0x3ff
	s_delay_alu instid0(SALU_CYCLE_1) | instskip(NEXT) | instid1(SALU_CYCLE_1)
	s_bitset1_b32 s0, 10
	s_mov_b32 m0, s0
	s_sendmsg sendmsg(MSG_INTERRUPT)
	s_mov_b32 m0, ttmp2
.LBB7_468:                              ; =>This Inner Loop Header: Depth=1
	s_sethalt 5
	s_branch .LBB7_468
.LBB7_469:
	s_trap 2
	s_sendmsg_rtn_b32 s0, sendmsg(MSG_RTN_GET_DOORBELL)
	s_mov_b32 ttmp2, m0
	s_waitcnt lgkmcnt(0)
	s_and_b32 s0, s0, 0x3ff
	s_delay_alu instid0(SALU_CYCLE_1) | instskip(NEXT) | instid1(SALU_CYCLE_1)
	s_bitset1_b32 s0, 10
	s_mov_b32 m0, s0
	s_sendmsg sendmsg(MSG_INTERRUPT)
	s_mov_b32 m0, ttmp2
.LBB7_470:                              ; =>This Inner Loop Header: Depth=1
	s_sethalt 5
	s_branch .LBB7_470
.LBB7_471:
	s_trap 2
	s_sendmsg_rtn_b32 s0, sendmsg(MSG_RTN_GET_DOORBELL)
	s_mov_b32 ttmp2, m0
	s_waitcnt lgkmcnt(0)
	s_and_b32 s0, s0, 0x3ff
	s_delay_alu instid0(SALU_CYCLE_1) | instskip(NEXT) | instid1(SALU_CYCLE_1)
	s_bitset1_b32 s0, 10
	s_mov_b32 m0, s0
	s_sendmsg sendmsg(MSG_INTERRUPT)
	s_mov_b32 m0, ttmp2
.LBB7_472:                              ; =>This Inner Loop Header: Depth=1
	s_sethalt 5
	s_branch .LBB7_472
.LBB7_473:
	s_trap 2
	s_sendmsg_rtn_b32 s0, sendmsg(MSG_RTN_GET_DOORBELL)
	s_mov_b32 ttmp2, m0
	s_waitcnt lgkmcnt(0)
	s_and_b32 s0, s0, 0x3ff
	s_delay_alu instid0(SALU_CYCLE_1) | instskip(NEXT) | instid1(SALU_CYCLE_1)
	s_bitset1_b32 s0, 10
	s_mov_b32 m0, s0
	s_sendmsg sendmsg(MSG_INTERRUPT)
	s_mov_b32 m0, ttmp2
.LBB7_474:                              ; =>This Inner Loop Header: Depth=1
	s_sethalt 5
	s_branch .LBB7_474
.LBB7_475:
	s_trap 2
	s_sendmsg_rtn_b32 s0, sendmsg(MSG_RTN_GET_DOORBELL)
	s_mov_b32 ttmp2, m0
	s_waitcnt lgkmcnt(0)
	s_and_b32 s0, s0, 0x3ff
	s_delay_alu instid0(SALU_CYCLE_1) | instskip(NEXT) | instid1(SALU_CYCLE_1)
	s_bitset1_b32 s0, 10
	s_mov_b32 m0, s0
	s_sendmsg sendmsg(MSG_INTERRUPT)
	s_mov_b32 m0, ttmp2
.LBB7_476:                              ; =>This Inner Loop Header: Depth=1
	s_sethalt 5
	s_branch .LBB7_476
.LBB7_477:
	s_trap 2
	s_sendmsg_rtn_b32 s0, sendmsg(MSG_RTN_GET_DOORBELL)
	s_mov_b32 ttmp2, m0
	s_waitcnt lgkmcnt(0)
	s_and_b32 s0, s0, 0x3ff
	s_delay_alu instid0(SALU_CYCLE_1) | instskip(NEXT) | instid1(SALU_CYCLE_1)
	s_bitset1_b32 s0, 10
	s_mov_b32 m0, s0
	s_sendmsg sendmsg(MSG_INTERRUPT)
	s_mov_b32 m0, ttmp2
.LBB7_478:                              ; =>This Inner Loop Header: Depth=1
	s_sethalt 5
	s_branch .LBB7_478
.LBB7_479:
	s_trap 2
	s_sendmsg_rtn_b32 s0, sendmsg(MSG_RTN_GET_DOORBELL)
	s_mov_b32 ttmp2, m0
	s_waitcnt lgkmcnt(0)
	s_and_b32 s0, s0, 0x3ff
	s_delay_alu instid0(SALU_CYCLE_1) | instskip(NEXT) | instid1(SALU_CYCLE_1)
	s_bitset1_b32 s0, 10
	s_mov_b32 m0, s0
	s_sendmsg sendmsg(MSG_INTERRUPT)
	s_mov_b32 m0, ttmp2
.LBB7_480:                              ; =>This Inner Loop Header: Depth=1
	s_sethalt 5
	s_branch .LBB7_480
.LBB7_481:
	s_trap 2
	s_sendmsg_rtn_b32 s0, sendmsg(MSG_RTN_GET_DOORBELL)
	s_mov_b32 ttmp2, m0
	s_waitcnt lgkmcnt(0)
	s_and_b32 s0, s0, 0x3ff
	s_delay_alu instid0(SALU_CYCLE_1) | instskip(NEXT) | instid1(SALU_CYCLE_1)
	s_bitset1_b32 s0, 10
	s_mov_b32 m0, s0
	s_sendmsg sendmsg(MSG_INTERRUPT)
	s_mov_b32 m0, ttmp2
.LBB7_482:                              ; =>This Inner Loop Header: Depth=1
	s_sethalt 5
	s_branch .LBB7_482
.LBB7_483:
	s_trap 2
	s_sendmsg_rtn_b32 s0, sendmsg(MSG_RTN_GET_DOORBELL)
	s_mov_b32 ttmp2, m0
	s_waitcnt lgkmcnt(0)
	s_and_b32 s0, s0, 0x3ff
	s_delay_alu instid0(SALU_CYCLE_1) | instskip(NEXT) | instid1(SALU_CYCLE_1)
	s_bitset1_b32 s0, 10
	s_mov_b32 m0, s0
	s_sendmsg sendmsg(MSG_INTERRUPT)
	s_mov_b32 m0, ttmp2
.LBB7_484:                              ; =>This Inner Loop Header: Depth=1
	s_sethalt 5
	s_branch .LBB7_484
.LBB7_485:
	s_trap 2
	s_sendmsg_rtn_b32 s0, sendmsg(MSG_RTN_GET_DOORBELL)
	s_mov_b32 ttmp2, m0
	s_waitcnt lgkmcnt(0)
	s_and_b32 s0, s0, 0x3ff
	s_delay_alu instid0(SALU_CYCLE_1) | instskip(NEXT) | instid1(SALU_CYCLE_1)
	s_bitset1_b32 s0, 10
	s_mov_b32 m0, s0
	s_sendmsg sendmsg(MSG_INTERRUPT)
	s_mov_b32 m0, ttmp2
.LBB7_486:                              ; =>This Inner Loop Header: Depth=1
	s_sethalt 5
	s_branch .LBB7_486
.LBB7_487:
	s_trap 2
	s_sendmsg_rtn_b32 s0, sendmsg(MSG_RTN_GET_DOORBELL)
	s_mov_b32 ttmp2, m0
	s_waitcnt lgkmcnt(0)
	s_and_b32 s0, s0, 0x3ff
	s_delay_alu instid0(SALU_CYCLE_1) | instskip(NEXT) | instid1(SALU_CYCLE_1)
	s_bitset1_b32 s0, 10
	s_mov_b32 m0, s0
	s_sendmsg sendmsg(MSG_INTERRUPT)
	s_mov_b32 m0, ttmp2
.LBB7_488:                              ; =>This Inner Loop Header: Depth=1
	s_sethalt 5
	s_branch .LBB7_488
.LBB7_489:
	s_trap 2
	s_sendmsg_rtn_b32 s0, sendmsg(MSG_RTN_GET_DOORBELL)
	s_mov_b32 ttmp2, m0
	s_waitcnt lgkmcnt(0)
	s_and_b32 s0, s0, 0x3ff
	s_delay_alu instid0(SALU_CYCLE_1) | instskip(NEXT) | instid1(SALU_CYCLE_1)
	s_bitset1_b32 s0, 10
	s_mov_b32 m0, s0
	s_sendmsg sendmsg(MSG_INTERRUPT)
	s_mov_b32 m0, ttmp2
.LBB7_490:                              ; =>This Inner Loop Header: Depth=1
	s_sethalt 5
	s_branch .LBB7_490
.LBB7_491:
	s_trap 2
	s_sendmsg_rtn_b32 s0, sendmsg(MSG_RTN_GET_DOORBELL)
	s_mov_b32 ttmp2, m0
	s_waitcnt lgkmcnt(0)
	s_and_b32 s0, s0, 0x3ff
	s_delay_alu instid0(SALU_CYCLE_1) | instskip(NEXT) | instid1(SALU_CYCLE_1)
	s_bitset1_b32 s0, 10
	s_mov_b32 m0, s0
	s_sendmsg sendmsg(MSG_INTERRUPT)
	s_mov_b32 m0, ttmp2
.LBB7_492:                              ; =>This Inner Loop Header: Depth=1
	s_sethalt 5
	s_branch .LBB7_492
.LBB7_493:
	s_trap 2
	s_sendmsg_rtn_b32 s0, sendmsg(MSG_RTN_GET_DOORBELL)
	s_mov_b32 ttmp2, m0
	s_waitcnt lgkmcnt(0)
	s_and_b32 s0, s0, 0x3ff
	s_delay_alu instid0(SALU_CYCLE_1) | instskip(NEXT) | instid1(SALU_CYCLE_1)
	s_bitset1_b32 s0, 10
	s_mov_b32 m0, s0
	s_sendmsg sendmsg(MSG_INTERRUPT)
	s_mov_b32 m0, ttmp2
.LBB7_494:                              ; =>This Inner Loop Header: Depth=1
	s_sethalt 5
	s_branch .LBB7_494
.LBB7_495:
	s_trap 2
	s_sendmsg_rtn_b32 s0, sendmsg(MSG_RTN_GET_DOORBELL)
	s_mov_b32 ttmp2, m0
	s_waitcnt lgkmcnt(0)
	s_and_b32 s0, s0, 0x3ff
	s_delay_alu instid0(SALU_CYCLE_1) | instskip(NEXT) | instid1(SALU_CYCLE_1)
	s_bitset1_b32 s0, 10
	s_mov_b32 m0, s0
	s_sendmsg sendmsg(MSG_INTERRUPT)
	s_mov_b32 m0, ttmp2
.LBB7_496:                              ; =>This Inner Loop Header: Depth=1
	s_sethalt 5
	s_branch .LBB7_496
.LBB7_497:
	s_trap 2
	s_sendmsg_rtn_b32 s0, sendmsg(MSG_RTN_GET_DOORBELL)
	s_mov_b32 ttmp2, m0
	s_waitcnt lgkmcnt(0)
	s_and_b32 s0, s0, 0x3ff
	s_delay_alu instid0(SALU_CYCLE_1) | instskip(NEXT) | instid1(SALU_CYCLE_1)
	s_bitset1_b32 s0, 10
	s_mov_b32 m0, s0
	s_sendmsg sendmsg(MSG_INTERRUPT)
	s_mov_b32 m0, ttmp2
.LBB7_498:                              ; =>This Inner Loop Header: Depth=1
	s_sethalt 5
	s_branch .LBB7_498
.LBB7_499:
	s_trap 2
	s_sendmsg_rtn_b32 s0, sendmsg(MSG_RTN_GET_DOORBELL)
	s_mov_b32 ttmp2, m0
	s_waitcnt lgkmcnt(0)
	s_and_b32 s0, s0, 0x3ff
	s_delay_alu instid0(SALU_CYCLE_1) | instskip(NEXT) | instid1(SALU_CYCLE_1)
	s_bitset1_b32 s0, 10
	s_mov_b32 m0, s0
	s_sendmsg sendmsg(MSG_INTERRUPT)
	s_mov_b32 m0, ttmp2
.LBB7_500:                              ; =>This Inner Loop Header: Depth=1
	s_sethalt 5
	s_branch .LBB7_500
.LBB7_501:
	s_trap 2
	s_sendmsg_rtn_b32 s0, sendmsg(MSG_RTN_GET_DOORBELL)
	s_mov_b32 ttmp2, m0
	s_waitcnt lgkmcnt(0)
	s_and_b32 s0, s0, 0x3ff
	s_delay_alu instid0(SALU_CYCLE_1) | instskip(NEXT) | instid1(SALU_CYCLE_1)
	s_bitset1_b32 s0, 10
	s_mov_b32 m0, s0
	s_sendmsg sendmsg(MSG_INTERRUPT)
	s_mov_b32 m0, ttmp2
.LBB7_502:                              ; =>This Inner Loop Header: Depth=1
	s_sethalt 5
	s_branch .LBB7_502
.LBB7_503:
	s_trap 2
	s_sendmsg_rtn_b32 s0, sendmsg(MSG_RTN_GET_DOORBELL)
	s_mov_b32 ttmp2, m0
	s_waitcnt lgkmcnt(0)
	s_and_b32 s0, s0, 0x3ff
	s_delay_alu instid0(SALU_CYCLE_1) | instskip(NEXT) | instid1(SALU_CYCLE_1)
	s_bitset1_b32 s0, 10
	s_mov_b32 m0, s0
	s_sendmsg sendmsg(MSG_INTERRUPT)
	s_mov_b32 m0, ttmp2
.LBB7_504:                              ; =>This Inner Loop Header: Depth=1
	s_sethalt 5
	s_branch .LBB7_504
.LBB7_505:
	s_trap 2
	s_sendmsg_rtn_b32 s0, sendmsg(MSG_RTN_GET_DOORBELL)
	s_mov_b32 ttmp2, m0
	s_waitcnt lgkmcnt(0)
	s_and_b32 s0, s0, 0x3ff
	s_delay_alu instid0(SALU_CYCLE_1) | instskip(NEXT) | instid1(SALU_CYCLE_1)
	s_bitset1_b32 s0, 10
	s_mov_b32 m0, s0
	s_sendmsg sendmsg(MSG_INTERRUPT)
	s_mov_b32 m0, ttmp2
.LBB7_506:                              ; =>This Inner Loop Header: Depth=1
	s_sethalt 5
	s_branch .LBB7_506
.LBB7_507:
	s_trap 2
	s_sendmsg_rtn_b32 s0, sendmsg(MSG_RTN_GET_DOORBELL)
	s_mov_b32 ttmp2, m0
	s_waitcnt lgkmcnt(0)
	s_and_b32 s0, s0, 0x3ff
	s_delay_alu instid0(SALU_CYCLE_1) | instskip(NEXT) | instid1(SALU_CYCLE_1)
	s_bitset1_b32 s0, 10
	s_mov_b32 m0, s0
	s_sendmsg sendmsg(MSG_INTERRUPT)
	s_mov_b32 m0, ttmp2
.LBB7_508:                              ; =>This Inner Loop Header: Depth=1
	s_sethalt 5
	s_branch .LBB7_508
.LBB7_509:
	s_trap 2
	s_sendmsg_rtn_b32 s0, sendmsg(MSG_RTN_GET_DOORBELL)
	s_mov_b32 ttmp2, m0
	s_waitcnt lgkmcnt(0)
	s_and_b32 s0, s0, 0x3ff
	s_delay_alu instid0(SALU_CYCLE_1) | instskip(NEXT) | instid1(SALU_CYCLE_1)
	s_bitset1_b32 s0, 10
	s_mov_b32 m0, s0
	s_sendmsg sendmsg(MSG_INTERRUPT)
	s_mov_b32 m0, ttmp2
.LBB7_510:                              ; =>This Inner Loop Header: Depth=1
	s_sethalt 5
	s_branch .LBB7_510
.LBB7_511:
	s_trap 2
	s_sendmsg_rtn_b32 s0, sendmsg(MSG_RTN_GET_DOORBELL)
	s_mov_b32 ttmp2, m0
	s_waitcnt lgkmcnt(0)
	s_and_b32 s0, s0, 0x3ff
	s_delay_alu instid0(SALU_CYCLE_1) | instskip(NEXT) | instid1(SALU_CYCLE_1)
	s_bitset1_b32 s0, 10
	s_mov_b32 m0, s0
	s_sendmsg sendmsg(MSG_INTERRUPT)
	s_mov_b32 m0, ttmp2
.LBB7_512:                              ; =>This Inner Loop Header: Depth=1
	s_sethalt 5
	s_branch .LBB7_512
.LBB7_513:
	s_trap 2
	s_sendmsg_rtn_b32 s0, sendmsg(MSG_RTN_GET_DOORBELL)
	s_mov_b32 ttmp2, m0
	s_waitcnt lgkmcnt(0)
	s_and_b32 s0, s0, 0x3ff
	s_delay_alu instid0(SALU_CYCLE_1) | instskip(NEXT) | instid1(SALU_CYCLE_1)
	s_bitset1_b32 s0, 10
	s_mov_b32 m0, s0
	s_sendmsg sendmsg(MSG_INTERRUPT)
	s_mov_b32 m0, ttmp2
.LBB7_514:                              ; =>This Inner Loop Header: Depth=1
	s_sethalt 5
	s_branch .LBB7_514
.LBB7_515:
	s_trap 2
	s_sendmsg_rtn_b32 s0, sendmsg(MSG_RTN_GET_DOORBELL)
	s_mov_b32 ttmp2, m0
	s_waitcnt lgkmcnt(0)
	s_and_b32 s0, s0, 0x3ff
	s_delay_alu instid0(SALU_CYCLE_1) | instskip(NEXT) | instid1(SALU_CYCLE_1)
	s_bitset1_b32 s0, 10
	s_mov_b32 m0, s0
	s_sendmsg sendmsg(MSG_INTERRUPT)
	s_mov_b32 m0, ttmp2
.LBB7_516:                              ; =>This Inner Loop Header: Depth=1
	s_sethalt 5
	s_branch .LBB7_516
.LBB7_517:
	s_trap 2
	s_sendmsg_rtn_b32 s0, sendmsg(MSG_RTN_GET_DOORBELL)
	s_mov_b32 ttmp2, m0
	s_waitcnt lgkmcnt(0)
	s_and_b32 s0, s0, 0x3ff
	s_delay_alu instid0(SALU_CYCLE_1) | instskip(NEXT) | instid1(SALU_CYCLE_1)
	s_bitset1_b32 s0, 10
	s_mov_b32 m0, s0
	s_sendmsg sendmsg(MSG_INTERRUPT)
	s_mov_b32 m0, ttmp2
.LBB7_518:                              ; =>This Inner Loop Header: Depth=1
	s_sethalt 5
	s_branch .LBB7_518
.LBB7_519:
	s_trap 2
	s_sendmsg_rtn_b32 s0, sendmsg(MSG_RTN_GET_DOORBELL)
	s_mov_b32 ttmp2, m0
	s_waitcnt lgkmcnt(0)
	s_and_b32 s0, s0, 0x3ff
	s_delay_alu instid0(SALU_CYCLE_1) | instskip(NEXT) | instid1(SALU_CYCLE_1)
	s_bitset1_b32 s0, 10
	s_mov_b32 m0, s0
	s_sendmsg sendmsg(MSG_INTERRUPT)
	s_mov_b32 m0, ttmp2
.LBB7_520:                              ; =>This Inner Loop Header: Depth=1
	s_sethalt 5
	s_branch .LBB7_520
.LBB7_521:
	s_trap 2
	s_sendmsg_rtn_b32 s0, sendmsg(MSG_RTN_GET_DOORBELL)
	s_mov_b32 ttmp2, m0
	s_waitcnt lgkmcnt(0)
	s_and_b32 s0, s0, 0x3ff
	s_delay_alu instid0(SALU_CYCLE_1) | instskip(NEXT) | instid1(SALU_CYCLE_1)
	s_bitset1_b32 s0, 10
	s_mov_b32 m0, s0
	s_sendmsg sendmsg(MSG_INTERRUPT)
	s_mov_b32 m0, ttmp2
.LBB7_522:                              ; =>This Inner Loop Header: Depth=1
	s_sethalt 5
	s_branch .LBB7_522
.LBB7_523:
	s_trap 2
	s_sendmsg_rtn_b32 s0, sendmsg(MSG_RTN_GET_DOORBELL)
	s_mov_b32 ttmp2, m0
	s_waitcnt lgkmcnt(0)
	s_and_b32 s0, s0, 0x3ff
	s_delay_alu instid0(SALU_CYCLE_1) | instskip(NEXT) | instid1(SALU_CYCLE_1)
	s_bitset1_b32 s0, 10
	s_mov_b32 m0, s0
	s_sendmsg sendmsg(MSG_INTERRUPT)
	s_mov_b32 m0, ttmp2
.LBB7_524:                              ; =>This Inner Loop Header: Depth=1
	s_sethalt 5
	s_branch .LBB7_524
.LBB7_525:
	s_trap 2
	s_sendmsg_rtn_b32 s0, sendmsg(MSG_RTN_GET_DOORBELL)
	s_mov_b32 ttmp2, m0
	s_waitcnt lgkmcnt(0)
	s_and_b32 s0, s0, 0x3ff
	s_delay_alu instid0(SALU_CYCLE_1) | instskip(NEXT) | instid1(SALU_CYCLE_1)
	s_bitset1_b32 s0, 10
	s_mov_b32 m0, s0
	s_sendmsg sendmsg(MSG_INTERRUPT)
	s_mov_b32 m0, ttmp2
.LBB7_526:                              ; =>This Inner Loop Header: Depth=1
	s_sethalt 5
	s_branch .LBB7_526
.LBB7_527:
	s_trap 2
	s_sendmsg_rtn_b32 s0, sendmsg(MSG_RTN_GET_DOORBELL)
	s_mov_b32 ttmp2, m0
	s_waitcnt lgkmcnt(0)
	s_and_b32 s0, s0, 0x3ff
	s_delay_alu instid0(SALU_CYCLE_1) | instskip(NEXT) | instid1(SALU_CYCLE_1)
	s_bitset1_b32 s0, 10
	s_mov_b32 m0, s0
	s_sendmsg sendmsg(MSG_INTERRUPT)
	s_mov_b32 m0, ttmp2
.LBB7_528:                              ; =>This Inner Loop Header: Depth=1
	s_sethalt 5
	s_branch .LBB7_528
.LBB7_529:
	s_trap 2
	s_sendmsg_rtn_b32 s0, sendmsg(MSG_RTN_GET_DOORBELL)
	s_mov_b32 ttmp2, m0
	s_waitcnt lgkmcnt(0)
	s_and_b32 s0, s0, 0x3ff
	s_delay_alu instid0(SALU_CYCLE_1) | instskip(NEXT) | instid1(SALU_CYCLE_1)
	s_bitset1_b32 s0, 10
	s_mov_b32 m0, s0
	s_sendmsg sendmsg(MSG_INTERRUPT)
	s_mov_b32 m0, ttmp2
.LBB7_530:                              ; =>This Inner Loop Header: Depth=1
	s_sethalt 5
	s_branch .LBB7_530
.LBB7_531:
	s_trap 2
	s_sendmsg_rtn_b32 s0, sendmsg(MSG_RTN_GET_DOORBELL)
	s_mov_b32 ttmp2, m0
	s_waitcnt lgkmcnt(0)
	s_and_b32 s0, s0, 0x3ff
	s_delay_alu instid0(SALU_CYCLE_1) | instskip(NEXT) | instid1(SALU_CYCLE_1)
	s_bitset1_b32 s0, 10
	s_mov_b32 m0, s0
	s_sendmsg sendmsg(MSG_INTERRUPT)
	s_mov_b32 m0, ttmp2
.LBB7_532:                              ; =>This Inner Loop Header: Depth=1
	s_sethalt 5
	s_branch .LBB7_532
.LBB7_533:
	s_trap 2
	s_sendmsg_rtn_b32 s0, sendmsg(MSG_RTN_GET_DOORBELL)
	s_mov_b32 ttmp2, m0
	s_waitcnt lgkmcnt(0)
	s_and_b32 s0, s0, 0x3ff
	s_delay_alu instid0(SALU_CYCLE_1) | instskip(NEXT) | instid1(SALU_CYCLE_1)
	s_bitset1_b32 s0, 10
	s_mov_b32 m0, s0
	s_sendmsg sendmsg(MSG_INTERRUPT)
	s_mov_b32 m0, ttmp2
.LBB7_534:                              ; =>This Inner Loop Header: Depth=1
	s_sethalt 5
	s_branch .LBB7_534
.LBB7_535:
	s_trap 2
	s_sendmsg_rtn_b32 s0, sendmsg(MSG_RTN_GET_DOORBELL)
	s_mov_b32 ttmp2, m0
	s_waitcnt lgkmcnt(0)
	s_and_b32 s0, s0, 0x3ff
	s_delay_alu instid0(SALU_CYCLE_1) | instskip(NEXT) | instid1(SALU_CYCLE_1)
	s_bitset1_b32 s0, 10
	s_mov_b32 m0, s0
	s_sendmsg sendmsg(MSG_INTERRUPT)
	s_mov_b32 m0, ttmp2
.LBB7_536:                              ; =>This Inner Loop Header: Depth=1
	s_sethalt 5
	s_branch .LBB7_536
.LBB7_537:
	s_trap 2
	s_sendmsg_rtn_b32 s0, sendmsg(MSG_RTN_GET_DOORBELL)
	s_mov_b32 ttmp2, m0
	s_waitcnt lgkmcnt(0)
	s_and_b32 s0, s0, 0x3ff
	s_delay_alu instid0(SALU_CYCLE_1) | instskip(NEXT) | instid1(SALU_CYCLE_1)
	s_bitset1_b32 s0, 10
	s_mov_b32 m0, s0
	s_sendmsg sendmsg(MSG_INTERRUPT)
	s_mov_b32 m0, ttmp2
.LBB7_538:                              ; =>This Inner Loop Header: Depth=1
	s_sethalt 5
	s_branch .LBB7_538
.LBB7_539:
	s_trap 2
	s_sendmsg_rtn_b32 s0, sendmsg(MSG_RTN_GET_DOORBELL)
	s_mov_b32 ttmp2, m0
	s_waitcnt lgkmcnt(0)
	s_and_b32 s0, s0, 0x3ff
	s_delay_alu instid0(SALU_CYCLE_1) | instskip(NEXT) | instid1(SALU_CYCLE_1)
	s_bitset1_b32 s0, 10
	s_mov_b32 m0, s0
	s_sendmsg sendmsg(MSG_INTERRUPT)
	s_mov_b32 m0, ttmp2
.LBB7_540:                              ; =>This Inner Loop Header: Depth=1
	s_sethalt 5
	s_branch .LBB7_540
.LBB7_541:
	s_trap 2
	s_sendmsg_rtn_b32 s0, sendmsg(MSG_RTN_GET_DOORBELL)
	s_mov_b32 ttmp2, m0
	s_waitcnt lgkmcnt(0)
	s_and_b32 s0, s0, 0x3ff
	s_delay_alu instid0(SALU_CYCLE_1) | instskip(NEXT) | instid1(SALU_CYCLE_1)
	s_bitset1_b32 s0, 10
	s_mov_b32 m0, s0
	s_sendmsg sendmsg(MSG_INTERRUPT)
	s_mov_b32 m0, ttmp2
.LBB7_542:                              ; =>This Inner Loop Header: Depth=1
	s_sethalt 5
	s_branch .LBB7_542
.LBB7_543:
	s_trap 2
	s_sendmsg_rtn_b32 s0, sendmsg(MSG_RTN_GET_DOORBELL)
	s_mov_b32 ttmp2, m0
	s_waitcnt lgkmcnt(0)
	s_and_b32 s0, s0, 0x3ff
	s_delay_alu instid0(SALU_CYCLE_1) | instskip(NEXT) | instid1(SALU_CYCLE_1)
	s_bitset1_b32 s0, 10
	s_mov_b32 m0, s0
	s_sendmsg sendmsg(MSG_INTERRUPT)
	s_mov_b32 m0, ttmp2
.LBB7_544:                              ; =>This Inner Loop Header: Depth=1
	s_sethalt 5
	s_branch .LBB7_544
.LBB7_545:
	s_trap 2
	s_sendmsg_rtn_b32 s0, sendmsg(MSG_RTN_GET_DOORBELL)
	s_mov_b32 ttmp2, m0
	s_waitcnt lgkmcnt(0)
	s_and_b32 s0, s0, 0x3ff
	s_delay_alu instid0(SALU_CYCLE_1) | instskip(NEXT) | instid1(SALU_CYCLE_1)
	s_bitset1_b32 s0, 10
	s_mov_b32 m0, s0
	s_sendmsg sendmsg(MSG_INTERRUPT)
	s_mov_b32 m0, ttmp2
.LBB7_546:                              ; =>This Inner Loop Header: Depth=1
	s_sethalt 5
	s_branch .LBB7_546
.Lfunc_end7:
	.size	_Z45ncclDevFunc_AllGather_PAT_SIMPLE_Sum_i8_0_0_1v, .Lfunc_end7-_Z45ncclDevFunc_AllGather_PAT_SIMPLE_Sum_i8_0_0_1v
                                        ; -- End function
	.section	.AMDGPU.csdata,"",@progbits
; Function info:
; codeLenInByte = 19264
; NumSgprs: 37
; NumVgprs: 104
; ScratchSize: 352
; MemoryBound: 0
	.text
	.p2align	2                               ; -- Begin function _ZN12_GLOBAL__N_17runRingIa7FuncSumIaE7ProtoLLLi0ELi2ELi0ELb0EEEviiP15ncclDevWorkColl
	.type	_ZN12_GLOBAL__N_17runRingIa7FuncSumIaE7ProtoLLLi0ELi2ELi0ELb0EEEviiP15ncclDevWorkColl,@function
_ZN12_GLOBAL__N_17runRingIa7FuncSumIaE7ProtoLLLi0ELi2ELi0ELb0EEEviiP15ncclDevWorkColl: ; @_ZN12_GLOBAL__N_17runRingIa7FuncSumIaE7ProtoLLLi0ELi2ELi0ELb0EEEviiP15ncclDevWorkColl
; %bb.0:
	s_waitcnt vmcnt(0) expcnt(0) lgkmcnt(0)
	s_cbranch_execnz .LBB8_15
; %bb.1:
	v_mov_b32_e32 v4, v0
	s_clause 0x2
	flat_load_b32 v0, v[2:3]
	flat_load_b128 v[5:8], v[2:3] offset:72
	flat_load_b64 v[13:14], v[2:3] offset:88
	s_mov_b32 s0, exec_lo
                                        ; implicit-def: $vgpr27_vgpr28
	s_waitcnt vmcnt(2) lgkmcnt(2)
	v_and_b32_e32 v11, 0xff, v0
	v_bfe_u32 v10, v0, 8, 8
	s_delay_alu instid0(VALU_DEP_2) | instskip(SKIP_3) | instid1(VALU_DEP_1)
	v_not_b32_e32 v0, v11
	ds_load_b32 v9, v0
	ds_load_b64 v[25:26], v0
	v_add_nc_u32_e32 v12, v10, v0
	v_ashrrev_i32_e32 v17, 31, v12
	s_waitcnt vmcnt(1) lgkmcnt(3)
	v_mul_lo_u32 v18, v8, v12
	v_mad_u64_u32 v[15:16], null, v7, v12, 0
	s_delay_alu instid0(VALU_DEP_3) | instskip(NEXT) | instid1(VALU_DEP_1)
	v_mul_lo_u32 v12, v7, v17
	v_add3_u32 v16, v16, v12, v18
	s_waitcnt lgkmcnt(1)
	v_readfirstlane_b32 s10, v9
                                        ; implicit-def: $vgpr17_vgpr18
	v_cmpx_ne_u32_e64 v11, v9
	s_xor_b32 s0, exec_lo, s0
	s_cbranch_execz .LBB8_7
; %bb.2:
	s_mov_b32 s1, exec_lo
                                        ; implicit-def: $vgpr17_vgpr18
                                        ; implicit-def: $vgpr27_vgpr28
	v_cmpx_ne_u32_e64 v10, v9
	s_xor_b32 s1, exec_lo, s1
	s_cbranch_execz .LBB8_4
; %bb.3:
	flat_load_b64 v[10:11], v[2:3] offset:96
	v_add_nc_u32_e32 v0, v9, v0
	s_delay_alu instid0(VALU_DEP_1) | instskip(SKIP_2) | instid1(VALU_DEP_3)
	v_ashrrev_i32_e32 v9, 31, v0
	v_mul_lo_u32 v12, v8, v0
	v_mad_u64_u32 v[27:28], null, v7, v0, v[5:6]
	v_mul_lo_u32 v9, v7, v9
	s_delay_alu instid0(VALU_DEP_1)
	v_add3_u32 v28, v12, v28, v9
	s_waitcnt vmcnt(0) lgkmcnt(0)
	v_lshrrev_b64 v[17:18], 21, v[10:11]
.LBB8_4:
	s_and_not1_saveexec_b32 s1, s1
	s_cbranch_execz .LBB8_6
; %bb.5:
	flat_load_b32 v0, v[2:3] offset:100
	v_add_co_u32 v27, vcc_lo, v15, v5
	v_add_co_ci_u32_e32 v28, vcc_lo, v16, v6, vcc_lo
	s_waitcnt vmcnt(1)
	v_dual_mov_b32 v7, v13 :: v_dual_mov_b32 v8, v14
	s_waitcnt vmcnt(0) lgkmcnt(0)
	v_lshrrev_b32_e32 v17, 10, v0
.LBB8_6:
	s_or_b32 exec_lo, exec_lo, s1
.LBB8_7:
	s_and_not1_saveexec_b32 s0, s0
	s_cbranch_execz .LBB8_9
; %bb.8:
	flat_load_b64 v[17:18], v[2:3] offset:96
	v_dual_mov_b32 v27, 0 :: v_dual_mov_b32 v8, v6
	v_dual_mov_b32 v28, 0 :: v_dual_mov_b32 v7, v5
.LBB8_9:
	s_or_b32 exec_lo, exec_lo, s0
	flat_load_b128 v[9:12], v[2:3] offset:16
	s_waitcnt vmcnt(1)
	v_add_co_u32 v0, vcc_lo, v13, v5
	v_add_co_ci_u32_e32 v5, vcc_lo, v14, v6, vcc_lo
	s_mov_b32 s0, exec_lo
	s_delay_alu instid0(VALU_DEP_2) | instskip(NEXT) | instid1(VALU_DEP_2)
	v_add_co_u32 v0, vcc_lo, v0, v15
	v_add_co_ci_u32_e32 v102, vcc_lo, v5, v16, vcc_lo
	v_cmpx_ge_i32_e64 v4, v1
	s_xor_b32 s1, exec_lo, s0
	s_cbranch_execz .LBB8_44
; %bb.10:
	s_waitcnt lgkmcnt(1)
	flat_load_b32 v5, v[25:26]
	s_mov_b32 s2, exec_lo
	s_waitcnt vmcnt(0) lgkmcnt(0)
	v_ashrrev_i32_e32 v2, 31, v5
	v_mul_lo_u32 v6, v102, v5
	s_delay_alu instid0(VALU_DEP_2) | instskip(SKIP_1) | instid1(VALU_DEP_1)
	v_mul_lo_u32 v13, v0, v2
	v_mad_u64_u32 v[2:3], null, v0, v5, 0
	v_add3_u32 v3, v3, v13, v6
	s_delay_alu instid0(VALU_DEP_2) | instskip(NEXT) | instid1(VALU_DEP_2)
	v_add_co_u32 v5, vcc_lo, v9, v2
	v_add_co_ci_u32_e32 v6, vcc_lo, v10, v3, vcc_lo
	s_delay_alu instid0(VALU_DEP_1)
	v_cmpx_ne_u64_e64 v[11:12], v[5:6]
	s_cbranch_execz .LBB8_43
; %bb.11:
	v_sub_nc_u32_e32 v1, v4, v1
	v_add_co_u32 v16, vcc_lo, v11, v27
	v_add_co_ci_u32_e32 v17, vcc_lo, v12, v28, vcc_lo
	s_delay_alu instid0(VALU_DEP_3) | instskip(SKIP_2) | instid1(VALU_DEP_3)
	v_ashrrev_i32_e32 v0, 31, v1
	v_add_co_u32 v5, vcc_lo, v9, v27
	v_add_co_ci_u32_e32 v6, vcc_lo, v10, v28, vcc_lo
	v_lshrrev_b32_e32 v0, 27, v0
	s_delay_alu instid0(VALU_DEP_3) | instskip(NEXT) | instid1(VALU_DEP_3)
	v_add_co_u32 v18, vcc_lo, v5, v2
	v_add_co_ci_u32_e32 v19, vcc_lo, v6, v3, vcc_lo
	s_delay_alu instid0(VALU_DEP_3) | instskip(SKIP_1) | instid1(VALU_DEP_1)
	v_add_nc_u32_e32 v0, v1, v0
	s_mov_b32 s0, exec_lo
	v_and_b32_e32 v4, 0xffffffe0, v0
	s_delay_alu instid0(VALU_DEP_1) | instskip(SKIP_1) | instid1(VALU_DEP_2)
	v_sub_nc_u32_e32 v20, v1, v4
	v_mov_b32_e32 v1, 0
	v_cmpx_gt_i32_e32 1, v20
; %bb.12:
	v_or_b32_e32 v1, v16, v18
	s_delay_alu instid0(VALU_DEP_1) | instskip(NEXT) | instid1(VALU_DEP_1)
	v_and_b32_e32 v1, 15, v1
	v_cmp_ne_u32_e32 vcc_lo, 0, v1
	v_cndmask_b32_e64 v1, 0, 1, vcc_lo
; %bb.13:
	s_or_b32 exec_lo, exec_lo, s0
	;;#ASMSTART
	;;#ASMEND
	s_delay_alu instid0(VALU_DEP_1)
	v_cmp_ne_u32_e32 vcc_lo, 0, v1
	v_ashrrev_i32_e32 v21, 5, v0
	s_mov_b32 s3, 0
	s_cbranch_vccz .LBB8_17
; %bb.14:
	s_delay_alu instid0(VALU_DEP_1)
	v_dual_mov_b32 v4, 0 :: v_dual_mov_b32 v15, v21
	v_dual_mov_b32 v5, 0 :: v_dual_mov_b32 v6, v20
	s_mov_b32 s5, -1
	s_mov_b32 s0, 0
                                        ; implicit-def: $vgpr2_vgpr3
                                        ; implicit-def: $vgpr0_vgpr1
	s_and_saveexec_b32 s4, s5
	s_cbranch_execnz .LBB8_28
	s_branch .LBB8_37
.LBB8_15:
	s_trap 2
	s_sendmsg_rtn_b32 s0, sendmsg(MSG_RTN_GET_DOORBELL)
	s_mov_b32 ttmp2, m0
	s_waitcnt lgkmcnt(0)
	s_and_b32 s0, s0, 0x3ff
	s_delay_alu instid0(SALU_CYCLE_1) | instskip(NEXT) | instid1(SALU_CYCLE_1)
	s_bitset1_b32 s0, 10
	s_mov_b32 m0, s0
	s_sendmsg sendmsg(MSG_INTERRUPT)
	s_mov_b32 m0, ttmp2
.LBB8_16:                               ; =>This Inner Loop Header: Depth=1
	s_sethalt 5
	s_branch .LBB8_16
.LBB8_17:
	v_ashrrev_i32_e32 v0, 31, v8
	v_mov_b32_e32 v4, 0
	v_mov_b32_e32 v5, 0
	s_mov_b32 s5, 0
	s_mov_b32 s0, -1
	v_lshrrev_b32_e32 v0, 21, v0
	s_mov_b32 s4, exec_lo
                                        ; implicit-def: $vgpr2_vgpr3
                                        ; implicit-def: $vgpr6
                                        ; implicit-def: $vgpr15
	s_delay_alu instid0(VALU_DEP_1) | instskip(SKIP_1) | instid1(VALU_DEP_1)
	v_add_co_u32 v0, vcc_lo, v7, v0
	v_add_co_ci_u32_e32 v1, vcc_lo, 0, v8, vcc_lo
	v_ashrrev_i64 v[9:10], 11, v[0:1]
	v_ashrrev_i32_e32 v0, 31, v21
	s_delay_alu instid0(VALU_DEP_2) | instskip(NEXT) | instid1(VALU_DEP_2)
	v_sub_co_u32 v11, vcc_lo, v9, v21
	v_sub_co_ci_u32_e32 v12, vcc_lo, v10, v0, vcc_lo
                                        ; implicit-def: $vgpr0_vgpr1
	s_delay_alu instid0(VALU_DEP_1)
	v_cmpx_gt_i64_e32 1, v[11:12]
	s_cbranch_execz .LBB8_27
; %bb.18:
	v_lshlrev_b64 v[0:1], 11, v[9:10]
	v_mov_b32_e32 v4, 0
	v_mov_b32_e32 v5, 0
	s_mov_b32 s6, 0
	s_mov_b32 s3, exec_lo
                                        ; implicit-def: $vgpr2_vgpr3
                                        ; implicit-def: $vgpr6
                                        ; implicit-def: $vgpr15
	s_delay_alu instid0(VALU_DEP_3)
	v_cmpx_ne_u64_e64 v[7:8], v[0:1]
	s_cbranch_execz .LBB8_26
; %bb.19:
	v_sub_co_u32 v4, vcc_lo, v7, v0
	v_sub_co_ci_u32_e32 v5, vcc_lo, v8, v1, vcc_lo
	v_mov_b32_e32 v3, 0
	s_delay_alu instid0(VALU_DEP_2) | instskip(NEXT) | instid1(VALU_DEP_1)
	v_ashrrev_i32_e32 v2, 31, v5
	v_lshrrev_b32_e32 v2, 23, v2
	s_delay_alu instid0(VALU_DEP_1) | instskip(SKIP_1) | instid1(VALU_DEP_2)
	v_add_co_u32 v12, vcc_lo, v4, v2
	v_add_co_ci_u32_e32 v13, vcc_lo, 0, v5, vcc_lo
	v_and_b32_e32 v2, 0xfffffe00, v12
	s_delay_alu instid0(VALU_DEP_2) | instskip(NEXT) | instid1(VALU_DEP_2)
	v_ashrrev_i64 v[14:15], 9, v[12:13]
	v_sub_co_u32 v9, vcc_lo, v4, v2
	v_add_co_u32 v12, s0, v2, v0
	v_sub_co_ci_u32_e32 v10, vcc_lo, v5, v13, vcc_lo
	v_add_co_ci_u32_e64 v13, s0, v13, v1, s0
	s_mov_b32 s0, exec_lo
	s_delay_alu instid0(VALU_DEP_2)
	v_cmpx_lt_i64_e32 15, v[9:10]
; %bb.20:
	v_and_b32_e32 v2, 15, v7
	s_delay_alu instid0(VALU_DEP_1) | instskip(SKIP_2) | instid1(VALU_DEP_3)
	v_sub_co_u32 v6, vcc_lo, v9, v2
	v_subrev_co_ci_u32_e32 v7, vcc_lo, 0, v10, vcc_lo
	v_add_co_u32 v14, vcc_lo, v14, 1
	v_add_co_u32 v12, vcc_lo, v6, v12
	s_delay_alu instid0(VALU_DEP_3)
	v_add_co_ci_u32_e32 v13, vcc_lo, v7, v13, vcc_lo
	v_dual_mov_b32 v10, v3 :: v_dual_mov_b32 v9, v2
; %bb.21:
	s_or_b32 exec_lo, exec_lo, s0
	v_lshlrev_b32_e32 v2, 5, v11
	s_mov_b32 s6, -1
                                        ; implicit-def: $vgpr7_vgpr8
                                        ; implicit-def: $vgpr15
	s_delay_alu instid0(VALU_DEP_1) | instskip(NEXT) | instid1(VALU_DEP_1)
	v_sub_nc_u32_e32 v2, v20, v2
	v_ashrrev_i32_e32 v3, 31, v2
	s_delay_alu instid0(VALU_DEP_1) | instskip(NEXT) | instid1(VALU_DEP_1)
	v_lshrrev_b32_e32 v3, 27, v3
	v_add_nc_u32_e32 v3, v2, v3
	s_delay_alu instid0(VALU_DEP_1) | instskip(SKIP_1) | instid1(VALU_DEP_2)
	v_and_b32_e32 v6, 0xffffffe0, v3
	v_ashrrev_i32_e32 v22, 5, v3
	v_sub_nc_u32_e32 v11, v2, v6
                                        ; implicit-def: $vgpr6
	s_delay_alu instid0(VALU_DEP_1) | instskip(NEXT) | instid1(VALU_DEP_1)
	v_lshlrev_b32_e32 v2, 4, v11
	v_lshl_add_u32 v2, v22, 9, v2
	s_delay_alu instid0(VALU_DEP_1) | instskip(SKIP_1) | instid1(VALU_DEP_2)
	v_ashrrev_i32_e32 v3, 31, v2
	v_sub_co_u32 v4, vcc_lo, v4, v2
	v_sub_co_ci_u32_e32 v5, vcc_lo, v5, v3, vcc_lo
	s_delay_alu instid0(VALU_DEP_1)
	v_cmp_gt_i64_e32 vcc_lo, 16, v[4:5]
	v_mov_b32_e32 v4, 0
	v_mov_b32_e32 v5, 0
	s_and_saveexec_b32 s0, vcc_lo
	s_cbranch_execz .LBB8_25
; %bb.22:
	v_mov_b32_e32 v4, 0
	v_mov_b32_e32 v5, 0
	s_mov_b32 s6, exec_lo
                                        ; implicit-def: $vgpr6
                                        ; implicit-def: $vgpr15
	v_cmpx_ne_u64_e32 0, v[9:10]
; %bb.23:
	v_sub_nc_u32_e32 v4, v22, v14
	s_mov_b32 s5, exec_lo
	s_delay_alu instid0(VALU_DEP_1) | instskip(NEXT) | instid1(VALU_DEP_1)
	v_lshl_add_u32 v4, v4, 5, v11
	v_ashrrev_i32_e32 v5, 31, v4
	s_delay_alu instid0(VALU_DEP_1) | instskip(NEXT) | instid1(VALU_DEP_1)
	v_lshrrev_b32_e32 v5, 27, v5
	v_add_nc_u32_e32 v5, v4, v5
	s_delay_alu instid0(VALU_DEP_1) | instskip(SKIP_1) | instid1(VALU_DEP_2)
	v_and_b32_e32 v6, 0xffffffe0, v5
	v_ashrrev_i32_e32 v15, 5, v5
	v_sub_nc_u32_e32 v6, v4, v6
	v_dual_mov_b32 v4, v12 :: v_dual_mov_b32 v5, v13
; %bb.24:
	s_or_b32 exec_lo, exec_lo, s6
	v_dual_mov_b32 v7, v9 :: v_dual_mov_b32 v8, v10
	s_xor_b32 s6, exec_lo, -1
	s_and_b32 s5, s5, exec_lo
.LBB8_25:
	s_or_b32 exec_lo, exec_lo, s0
	s_delay_alu instid0(SALU_CYCLE_1)
	s_and_b32 s6, s6, exec_lo
	s_and_b32 s5, s5, exec_lo
.LBB8_26:
	s_or_b32 exec_lo, exec_lo, s3
	s_delay_alu instid0(SALU_CYCLE_1)
	s_xor_b32 s0, exec_lo, -1
	s_and_b32 s3, s6, exec_lo
	s_and_b32 s5, s5, exec_lo
.LBB8_27:
	s_or_b32 exec_lo, exec_lo, s4
	s_and_saveexec_b32 s4, s5
	s_cbranch_execz .LBB8_37
.LBB8_28:
	v_ashrrev_i32_e32 v9, 31, v8
	s_mov_b32 s5, exec_lo
	s_delay_alu instid0(VALU_DEP_1) | instskip(NEXT) | instid1(VALU_DEP_1)
	v_lshrrev_b32_e32 v9, 23, v9
	v_add_co_u32 v9, vcc_lo, v7, v9
	v_add_co_ci_u32_e32 v10, vcc_lo, 0, v8, vcc_lo
	s_delay_alu instid0(VALU_DEP_1) | instskip(SKIP_1) | instid1(VALU_DEP_2)
	v_ashrrev_i64 v[11:12], 9, v[9:10]
	v_ashrrev_i32_e32 v10, 31, v15
	v_sub_co_u32 v9, vcc_lo, v11, v15
	s_delay_alu instid0(VALU_DEP_2) | instskip(NEXT) | instid1(VALU_DEP_1)
	v_sub_co_ci_u32_e32 v10, vcc_lo, v12, v10, vcc_lo
	v_cmpx_gt_i64_e32 1, v[9:10]
	s_xor_b32 s5, exec_lo, s5
	s_cbranch_execz .LBB8_34
; %bb.29:
	v_lshlrev_b64 v[10:11], 9, v[11:12]
	s_mov_b32 s6, exec_lo
	s_delay_alu instid0(VALU_DEP_1)
	v_cmpx_ne_u64_e64 v[7:8], v[10:11]
	s_cbranch_execz .LBB8_33
; %bb.30:
	v_lshlrev_b32_e32 v9, 5, v9
	v_sub_co_u32 v12, vcc_lo, v7, v10
	v_sub_co_ci_u32_e32 v13, vcc_lo, v8, v11, vcc_lo
	s_delay_alu instid0(VALU_DEP_3) | instskip(NEXT) | instid1(VALU_DEP_1)
	v_sub_nc_u32_e32 v6, v6, v9
	v_ashrrev_i32_e32 v7, 31, v6
	s_delay_alu instid0(VALU_DEP_1)
	v_cmp_gt_i64_e32 vcc_lo, v[12:13], v[6:7]
	s_and_b32 exec_lo, exec_lo, vcc_lo
	s_cbranch_execz .LBB8_33
; %bb.31:
	v_add_co_u32 v4, vcc_lo, v10, v4
	v_add_co_ci_u32_e32 v5, vcc_lo, v11, v5, vcc_lo
	s_delay_alu instid0(VALU_DEP_2) | instskip(NEXT) | instid1(VALU_DEP_2)
	v_add_co_u32 v6, vcc_lo, v4, v6
	v_add_co_ci_u32_e32 v7, vcc_lo, v5, v7, vcc_lo
	s_delay_alu instid0(VALU_DEP_2) | instskip(NEXT) | instid1(VALU_DEP_2)
	v_add_co_u32 v4, vcc_lo, v6, v16
	v_add_co_ci_u32_e32 v5, vcc_lo, v7, v17, vcc_lo
	flat_load_u8 v8, v[4:5]
	v_add_co_u32 v4, vcc_lo, v6, v18
	v_add_co_ci_u32_e32 v5, vcc_lo, v7, v19, vcc_lo
	s_mov_b32 vcc_lo, exec_lo
	s_waitcnt vmcnt(0) lgkmcnt(0)
	flat_store_b8 v[4:5], v8 glc slc dlc
.LBB8_32:                               ; =>This Inner Loop Header: Depth=1
	s_cbranch_vccnz .LBB8_32
.LBB8_33:
	s_or_b32 exec_lo, exec_lo, s6
                                        ; implicit-def: $vgpr15
                                        ; implicit-def: $vgpr6
                                        ; implicit-def: $vgpr4_vgpr5
.LBB8_34:
	s_and_not1_saveexec_b32 s5, s5
	s_cbranch_execz .LBB8_37
; %bb.35:
	v_lshl_add_u32 v6, v15, 9, v6
	s_delay_alu instid0(VALU_DEP_1) | instskip(SKIP_1) | instid1(VALU_DEP_2)
	v_ashrrev_i32_e32 v7, 31, v6
	v_add_co_u32 v6, vcc_lo, v4, v6
	v_add_co_ci_u32_e32 v7, vcc_lo, v5, v7, vcc_lo
	s_delay_alu instid0(VALU_DEP_2) | instskip(NEXT) | instid1(VALU_DEP_2)
	v_add_co_u32 v4, vcc_lo, v6, v18
	v_add_co_ci_u32_e32 v5, vcc_lo, v7, v19, vcc_lo
	v_add_co_u32 v6, vcc_lo, v6, v16
	v_add_co_ci_u32_e32 v7, vcc_lo, v7, v17, vcc_lo
	s_mov_b32 vcc_lo, 0
.LBB8_36:                               ; =>This Inner Loop Header: Depth=1
	s_clause 0xf
	flat_load_u8 v8, v[6:7] slc dlc
	flat_load_u8 v9, v[6:7] offset:32 slc dlc
	flat_load_u8 v10, v[6:7] offset:64 slc dlc
	;; [unrolled: 1-line block ×15, first 2 shown]
	s_waitcnt vmcnt(15) lgkmcnt(15)
	flat_store_b8 v[4:5], v8 glc slc dlc
	s_waitcnt vmcnt(14) lgkmcnt(15)
	flat_store_b8 v[4:5], v9 offset:32 glc slc dlc
	s_waitcnt vmcnt(13) lgkmcnt(15)
	flat_store_b8 v[4:5], v10 offset:64 glc slc dlc
	;; [unrolled: 2-line block ×15, first 2 shown]
	s_cbranch_vccz .LBB8_36
.LBB8_37:
	s_or_b32 exec_lo, exec_lo, s4
	s_and_saveexec_b32 s4, s3
	s_cbranch_execz .LBB8_40
; %bb.38:
	v_add_co_u32 v2, vcc_lo, v0, v2
	v_add_co_ci_u32_e32 v3, vcc_lo, v1, v3, vcc_lo
	s_delay_alu instid0(VALU_DEP_2) | instskip(NEXT) | instid1(VALU_DEP_2)
	v_add_co_u32 v0, vcc_lo, v2, v18
	v_add_co_ci_u32_e32 v1, vcc_lo, v3, v19, vcc_lo
	v_add_co_u32 v2, vcc_lo, v2, v16
	v_add_co_ci_u32_e32 v3, vcc_lo, v3, v17, vcc_lo
	s_mov_b32 vcc_lo, 0
.LBB8_39:                               ; =>This Inner Loop Header: Depth=1
	global_load_b128 v[4:7], v[2:3], off slc dlc
	s_waitcnt vmcnt(0)
	global_store_b128 v[0:1], v[4:7], off glc slc dlc
	s_cbranch_vccz .LBB8_39
.LBB8_40:
	s_or_b32 exec_lo, exec_lo, s4
	s_and_saveexec_b32 s3, s0
	s_delay_alu instid0(SALU_CYCLE_1)
	s_xor_b32 s3, exec_lo, s3
	s_cbranch_execz .LBB8_43
; %bb.41:
	v_lshlrev_b32_e32 v0, 4, v20
	s_delay_alu instid0(VALU_DEP_1) | instskip(NEXT) | instid1(VALU_DEP_1)
	v_lshl_add_u32 v2, v21, 11, v0
	v_ashrrev_i32_e32 v3, 31, v2
	v_add_co_u32 v0, vcc_lo, v18, v2
	s_delay_alu instid0(VALU_DEP_2)
	v_add_co_ci_u32_e32 v1, vcc_lo, v19, v3, vcc_lo
	v_add_co_u32 v2, vcc_lo, v16, v2
	v_add_co_ci_u32_e32 v3, vcc_lo, v17, v3, vcc_lo
	s_mov_b32 vcc_lo, 0
	.p2align	6
.LBB8_42:                               ; =>This Inner Loop Header: Depth=1
	s_clause 0x3
	global_load_b128 v[4:7], v[2:3], off slc dlc
	global_load_b128 v[8:11], v[2:3], off offset:512 slc dlc
	global_load_b128 v[12:15], v[2:3], off offset:1024 slc dlc
	;; [unrolled: 1-line block ×3, first 2 shown]
	s_waitcnt vmcnt(3)
	global_store_b128 v[0:1], v[4:7], off glc slc dlc
	s_waitcnt vmcnt(2)
	global_store_b128 v[0:1], v[8:11], off offset:512 glc slc dlc
	s_waitcnt vmcnt(1)
	global_store_b128 v[0:1], v[12:15], off offset:1024 glc slc dlc
	;; [unrolled: 2-line block ×3, first 2 shown]
	s_cbranch_vccz .LBB8_42
.LBB8_43:
	s_or_b32 exec_lo, exec_lo, s2
                                        ; implicit-def: $vgpr7_vgpr8
                                        ; implicit-def: $vgpr27_vgpr28
                                        ; implicit-def: $vgpr17_vgpr18
                                        ; implicit-def: $vgpr4
                                        ; implicit-def: $vgpr1
                                        ; implicit-def: $vgpr25_vgpr26
                                        ; implicit-def: $vgpr9_vgpr10_vgpr11_vgpr12
                                        ; implicit-def: $vgpr31
                                        ; implicit-def: $vgpr2_vgpr3
                                        ; implicit-def: $vgpr0
                                        ; implicit-def: $vgpr102
.LBB8_44:
	s_and_not1_saveexec_b32 s11, s1
	s_cbranch_execz .LBB8_468
; %bb.45:
	s_load_b32 s0, s[8:9], 0x0
	v_mov_b32_e32 v5, 0
	s_mov_b32 s2, 0
	s_waitcnt lgkmcnt(0)
	s_cmp_lt_u32 s12, s0
	s_cselect_b32 s0, 12, 18
	s_delay_alu instid0(SALU_CYCLE_1)
	s_add_u32 s0, s8, s0
	s_addc_u32 s1, s9, 0
	s_clause 0x1
	flat_load_u16 v14, v[2:3] offset:8
	flat_load_b32 v13, v[2:3] offset:4
	global_load_u16 v6, v5, s[0:1]
	s_cbranch_execnz .LBB8_51
; %bb.46:
	ds_load_b32 v2, v0
	v_ashrrev_i32_e32 v5, 31, v4
	s_waitcnt vmcnt(1) lgkmcnt(1)
	v_lshrrev_b64 v[13:14], 31, v[13:14]
	s_delay_alu instid0(VALU_DEP_2) | instskip(NEXT) | instid1(VALU_DEP_2)
	v_lshrrev_b32_e32 v3, 27, v5
	v_and_b32_e32 v14, 3, v13
	s_delay_alu instid0(VALU_DEP_2) | instskip(NEXT) | instid1(VALU_DEP_1)
	v_add_nc_u32_e32 v3, v4, v3
	v_and_b32_e32 v3, 0xffffffe0, v3
	s_waitcnt lgkmcnt(0)
	v_cmp_gt_i32_e32 vcc_lo, 0, v2
	s_delay_alu instid0(VALU_DEP_2)
	v_sub_nc_u32_e32 v13, v4, v3
	v_readfirstlane_b32 s1, v2
	s_cbranch_vccnz .LBB8_53
; %bb.47:
	s_delay_alu instid0(VALU_DEP_2)
	v_cmp_eq_u32_e32 vcc_lo, 0, v13
	s_cbranch_execnz .LBB8_57
; %bb.48:
	ds_load_b64 v[15:16], v0
	v_dual_mov_b32 v3, 0 :: v_dual_and_b32 v18, 0xffff, v14
	s_mov_b32 s2, 1
	s_delay_alu instid0(VALU_DEP_1) | instskip(SKIP_1) | instid1(VALU_DEP_1)
	v_lshlrev_b64 v[2:3], 3, v[2:3]
	s_waitcnt lgkmcnt(0)
	v_add_co_u32 v2, s0, v15, v2
	s_delay_alu instid0(VALU_DEP_1)
	v_add_co_ci_u32_e64 v3, s0, v16, v3, s0
	flat_load_b64 v[2:3], v[2:3]
	s_waitcnt vmcnt(0) lgkmcnt(0)
	v_mad_u64_u32 v[15:16], null, 0xa8, v18, v[2:3]
	s_clause 0x1
	flat_load_b64 v[32:33], v[15:16] offset:504
	flat_load_b64 v[34:35], v[15:16] offset:608
	v_add_co_u32 v2, s0, 0x1f8, v15
	s_delay_alu instid0(VALU_DEP_1) | instskip(NEXT) | instid1(VALU_DEP_1)
	v_add_co_ci_u32_e64 v3, s0, 0, v16, s0
	v_dual_cndmask_b32 v29, 0, v2 :: v_dual_cndmask_b32 v30, 0, v3
	s_cbranch_execz .LBB8_54
.LBB8_49:
	s_trap 2
	s_sendmsg_rtn_b32 s0, sendmsg(MSG_RTN_GET_DOORBELL)
	s_mov_b32 ttmp2, m0
	s_waitcnt lgkmcnt(0)
	s_and_b32 s0, s0, 0x3ff
	s_delay_alu instid0(SALU_CYCLE_1) | instskip(NEXT) | instid1(SALU_CYCLE_1)
	s_bitset1_b32 s0, 10
	s_mov_b32 m0, s0
	s_sendmsg sendmsg(MSG_INTERRUPT)
	s_mov_b32 m0, ttmp2
.LBB8_50:                               ; =>This Inner Loop Header: Depth=1
	s_sethalt 5
	s_branch .LBB8_50
.LBB8_51:
	s_trap 2
	s_sendmsg_rtn_b32 s0, sendmsg(MSG_RTN_GET_DOORBELL)
	s_mov_b32 ttmp2, m0
	s_waitcnt lgkmcnt(0)
	s_and_b32 s0, s0, 0x3ff
	s_delay_alu instid0(SALU_CYCLE_1) | instskip(NEXT) | instid1(SALU_CYCLE_1)
	s_bitset1_b32 s0, 10
	s_mov_b32 m0, s0
	s_sendmsg sendmsg(MSG_INTERRUPT)
	s_mov_b32 m0, ttmp2
.LBB8_52:                               ; =>This Inner Loop Header: Depth=1
	s_sethalt 5
	s_branch .LBB8_52
.LBB8_53:
	v_mov_b32_e32 v29, 0
	v_mov_b32_e32 v30, 0
                                        ; implicit-def: $vgpr34_vgpr35
                                        ; implicit-def: $vgpr32_vgpr33
	s_cbranch_execnz .LBB8_49
.LBB8_54:
	ds_load_b32 v2, v0
	v_mov_b32_e32 v38, 0
	v_mov_b32_e32 v39, 0
	s_waitcnt lgkmcnt(0)
	v_cmp_gt_i32_e32 vcc_lo, 0, v2
	s_cbranch_vccnz .LBB8_59
; %bb.55:
	s_cbranch_execnz .LBB8_384
; %bb.56:
	ds_load_b64 v[15:16], v0
	v_mov_b32_e32 v3, 0
	s_delay_alu instid0(VALU_DEP_1) | instskip(SKIP_1) | instid1(VALU_DEP_1)
	v_lshlrev_b64 v[2:3], 3, v[2:3]
	s_waitcnt lgkmcnt(0)
	v_add_co_u32 v2, vcc_lo, v15, v2
	s_delay_alu instid0(VALU_DEP_2)
	v_add_co_ci_u32_e32 v3, vcc_lo, v16, v3, vcc_lo
	v_and_b32_e32 v16, 0xffff, v14
	v_cmp_eq_u32_e32 vcc_lo, 0, v13
	flat_load_b64 v[2:3], v[2:3]
	s_waitcnt vmcnt(0) lgkmcnt(0)
	v_mad_u64_u32 v[14:15], null, 0xa8, v16, v[2:3]
	s_clause 0x1
	flat_load_b64 v[48:49], v[14:15]
	flat_load_b64 v[21:22], v[14:15] offset:104
	v_dual_cndmask_b32 v37, 0, v15 :: v_dual_cndmask_b32 v36, 0, v14
	s_branch .LBB8_60
.LBB8_57:
	s_trap 2
	s_sendmsg_rtn_b32 s0, sendmsg(MSG_RTN_GET_DOORBELL)
	s_mov_b32 ttmp2, m0
	s_waitcnt lgkmcnt(0)
	s_and_b32 s0, s0, 0x3ff
	s_delay_alu instid0(SALU_CYCLE_1) | instskip(NEXT) | instid1(SALU_CYCLE_1)
	s_bitset1_b32 s0, 10
	s_mov_b32 m0, s0
	s_sendmsg sendmsg(MSG_INTERRUPT)
	s_mov_b32 m0, ttmp2
.LBB8_58:                               ; =>This Inner Loop Header: Depth=1
	s_sethalt 5
	s_branch .LBB8_58
.LBB8_59:
	s_delay_alu instid0(VALU_DEP_2)
	v_dual_mov_b32 v36, v38 :: v_dual_mov_b32 v37, v39
                                        ; implicit-def: $vgpr21_vgpr22
                                        ; implicit-def: $vgpr48_vgpr49
.LBB8_60:
	v_subrev_nc_u32_e32 v2, 32, v1
	v_cmp_gt_i32_e64 s0, s2, v13
                                        ; implicit-def: $vgpr50_vgpr51
	s_delay_alu instid0(VALU_DEP_2) | instskip(NEXT) | instid1(VALU_DEP_2)
	v_cmp_le_i32_e32 vcc_lo, v2, v4
	s_and_b32 s12, vcc_lo, s0
	s_delay_alu instid0(SALU_CYCLE_1)
	s_and_saveexec_b32 s0, s12
; %bb.61:
	s_clause 0x1
	flat_load_b64 v[38:39], v[29:30] offset:56
	flat_load_b64 v[50:51], v[29:30] offset:104
; %bb.62:
	s_or_b32 exec_lo, exec_lo, s0
	v_mov_b32_e32 v2, 0
	v_mov_b32_e32 v3, 0
	v_cmp_gt_i32_e64 s0, s2, v4
                                        ; implicit-def: $vgpr54_vgpr55
	s_delay_alu instid0(VALU_DEP_2) | instskip(SKIP_1) | instid1(VALU_DEP_3)
	v_dual_mov_b32 v14, v3 :: v_dual_mov_b32 v13, v2
	v_dual_mov_b32 v53, v3 :: v_dual_mov_b32 v52, v2
	s_and_saveexec_b32 s2, s0
	s_cbranch_execz .LBB8_64
; %bb.63:
	flat_load_b64 v[52:53], v[36:37] offset:56
	s_waitcnt vmcnt(0) lgkmcnt(0)
	flat_load_b64 v[54:55], v[52:53] glc dlc
	s_waitcnt vmcnt(0)
	flat_load_b128 v[13:16], v[36:37] offset:96
.LBB8_64:
	s_or_b32 exec_lo, exec_lo, s2
	s_waitcnt vmcnt(0)
	v_and_b32_e32 v103, 0xffff, v6
	s_mov_b32 s13, exec_lo
	v_cmpx_ne_u64_e32 0, v[7:8]
	s_cbranch_execz .LBB8_371
; %bb.65:
	v_cvt_f64_u32_e32 v[2:3], 0
	v_lshlrev_b32_e32 v6, 4, v17
	v_dual_mov_b32 v68, 0 :: v_dual_lshlrev_b32 v117, 3, v1
	v_mov_b32_e32 v69, 0
	s_delay_alu instid0(VALU_DEP_3)
	v_dual_mov_b32 v81, v28 :: v_dual_and_b32 v112, 0x1fffff0, v6
	v_lshlrev_b32_e32 v114, 3, v4
	v_lshlrev_b32_e32 v133, 6, v1
	s_ashr_i32 s2, s1, 31
	v_dual_mov_b32 v145, 0 :: v_dual_and_b32 v20, 31, v31
	v_cvt_f64_u32_e32 v[18:19], v112
	s_lshr_b32 s2, s2, 29
	s_waitcnt lgkmcnt(1)
	v_cmp_ne_u64_e64 s6, 0, v[38:39]
	s_add_i32 s1, s1, s2
	s_waitcnt lgkmcnt(0)
	v_cmp_ne_u64_e64 s2, 0, v[13:14]
	s_ashr_i32 s14, s1, 7
	v_cmp_ne_u64_e64 s1, 0, v[52:53]
	v_cmp_ne_u32_e64 s3, 32, v1
	v_cmp_ne_u32_e64 s4, v103, v1
	v_cmp_eq_u32_e64 s5, 0, v20
	v_ashrrev_i32_e32 v128, 31, v117
	s_cmp_lt_i32 s10, 3
	s_mov_b32 s15, 0
	s_cselect_b32 s16, -1, 0
	s_add_i32 s17, s10, -2
	v_mov_b32_e32 v144, 1
	v_mov_b32_e32 v80, v27
	v_ldexp_f64 v[2:3], v[2:3], 32
	s_delay_alu instid0(VALU_DEP_1) | instskip(SKIP_1) | instid1(VALU_DEP_1)
	v_add_f64 v[18:19], v[2:3], v[18:19]
	v_ashrrev_i32_e32 v2, 31, v1
	v_lshrrev_b32_e32 v3, 27, v2
	v_mov_b32_e32 v6, 0
	v_lshlrev_b64 v[70:71], 4, v[1:2]
	s_delay_alu instid0(VALU_DEP_3) | instskip(NEXT) | instid1(VALU_DEP_1)
	v_add_nc_u32_e32 v3, v1, v3
	v_ashrrev_i32_e32 v113, 5, v3
	v_and_b32_e32 v3, 0x1fffff, v17
	s_delay_alu instid0(VALU_DEP_2) | instskip(NEXT) | instid1(VALU_DEP_2)
	v_ashrrev_i32_e32 v115, 31, v113
	v_lshlrev_b32_e32 v132, 7, v3
	v_dual_mov_b32 v2, v68 :: v_dual_mov_b32 v3, v69
	v_ashrrev_i32_e32 v116, 31, v114
	v_add_co_u32 v118, vcc_lo, v9, v114
	s_delay_alu instid0(VALU_DEP_2) | instskip(SKIP_2) | instid1(VALU_DEP_2)
	v_add_co_ci_u32_e32 v119, vcc_lo, v10, v116, vcc_lo
	v_add_co_u32 v129, vcc_lo, v11, v114
	v_add_co_ci_u32_e32 v130, vcc_lo, v12, v116, vcc_lo
	v_add_co_u32 v66, vcc_lo, v129, v27
	v_max_f64 v[64:65], v[18:19], v[18:19]
	v_lshlrev_b64 v[17:18], 4, v[4:5]
	s_delay_alu instid0(VALU_DEP_4) | instskip(NEXT) | instid1(VALU_DEP_4)
	v_add_co_ci_u32_e32 v67, vcc_lo, v130, v28, vcc_lo
	v_lshlrev_b32_e32 v131, 3, v66
	s_delay_alu instid0(VALU_DEP_3) | instskip(NEXT) | instid1(VALU_DEP_4)
	v_add_co_u32 v134, vcc_lo, v48, v17
	v_add_co_ci_u32_e32 v135, vcc_lo, v49, v18, vcc_lo
.LBB8_66:                               ; =>This Loop Header: Depth=1
                                        ;     Child Loop BB8_74 Depth 2
                                        ;     Child Loop BB8_94 Depth 2
	;; [unrolled: 1-line block ×9, first 2 shown]
                                        ;       Child Loop BB8_202 Depth 3
                                        ;       Child Loop BB8_222 Depth 3
	;; [unrolled: 1-line block ×3, first 2 shown]
                                        ;         Child Loop BB8_242 Depth 4
                                        ;       Child Loop BB8_284 Depth 3
                                        ;       Child Loop BB8_301 Depth 3
                                        ;     Child Loop BB8_308 Depth 2
                                        ;       Child Loop BB8_312 Depth 3
                                        ;     Child Loop BB8_354 Depth 2
	flat_load_b32 v5, v[25:26]
	s_waitcnt vmcnt(1) lgkmcnt(1)
	v_sub_co_u32 v19, vcc_lo, v7, v68
	v_sub_co_ci_u32_e32 v17, vcc_lo, v8, v69, vcc_lo
	v_add_co_u32 v146, vcc_lo, v68, v27
	s_delay_alu instid0(VALU_DEP_3) | instskip(NEXT) | instid1(VALU_DEP_3)
	v_cvt_f64_u32_e32 v[19:20], v19
	v_cvt_f64_u32_e32 v[17:18], v17
	v_add_co_ci_u32_e32 v147, vcc_lo, v69, v28, vcc_lo
	s_mov_b32 s7, exec_lo
	s_delay_alu instid0(VALU_DEP_2) | instskip(NEXT) | instid1(VALU_DEP_1)
	v_ldexp_f64 v[17:18], v[17:18], 32
	v_add_f64 v[17:18], v[17:18], v[19:20]
	s_delay_alu instid0(VALU_DEP_1) | instskip(NEXT) | instid1(VALU_DEP_1)
	v_min_f64 v[17:18], v[64:65], v[17:18]
	v_cvt_i32_f64_e32 v17, v[17:18]
	s_delay_alu instid0(VALU_DEP_1) | instskip(NEXT) | instid1(VALU_DEP_1)
	v_max_i32_e32 v96, 0, v17
	v_add_nc_u32_e32 v82, 7, v96
	s_waitcnt vmcnt(0) lgkmcnt(0)
	v_ashrrev_i32_e32 v19, 31, v5
	v_mul_lo_u32 v20, v102, v5
	v_mad_u64_u32 v[17:18], null, v0, v5, 0
	s_delay_alu instid0(VALU_DEP_3) | instskip(NEXT) | instid1(VALU_DEP_2)
	v_mul_lo_u32 v5, v0, v19
	v_add_co_u32 v23, vcc_lo, v17, v146
	s_delay_alu instid0(VALU_DEP_2) | instskip(SKIP_1) | instid1(VALU_DEP_2)
	v_add3_u32 v18, v18, v5, v20
	v_ashrrev_i32_e32 v5, 31, v82
	v_add_co_ci_u32_e32 v24, vcc_lo, v18, v147, vcc_lo
	s_delay_alu instid0(VALU_DEP_2) | instskip(SKIP_2) | instid1(VALU_DEP_3)
	v_lshrrev_b32_e32 v5, 29, v5
	v_add_co_u32 v19, vcc_lo, v11, v146
	v_add_co_ci_u32_e32 v20, vcc_lo, v12, v147, vcc_lo
	v_add_nc_u32_e32 v5, v82, v5
	v_add_co_u32 v23, vcc_lo, v9, v23
	v_add_co_ci_u32_e32 v24, vcc_lo, v10, v24, vcc_lo
	s_delay_alu instid0(VALU_DEP_3) | instskip(NEXT) | instid1(VALU_DEP_2)
	v_ashrrev_i32_e32 v148, 3, v5
	v_cmpx_ne_u64_e64 v[19:20], v[23:24]
	s_xor_b32 s9, exec_lo, s7
	s_cbranch_execz .LBB8_137
; %bb.67:                               ;   in Loop: Header=BB8_66 Depth=1
	s_and_saveexec_b32 s7, s1
	s_cbranch_execz .LBB8_85
; %bb.68:                               ;   in Loop: Header=BB8_66 Depth=1
	v_add_co_u32 v19, vcc_lo, v15, 1
	v_add_co_ci_u32_e32 v20, vcc_lo, 0, v16, vcc_lo
	v_add_co_u32 v23, vcc_lo, v54, 8
	v_add_co_ci_u32_e32 v24, vcc_lo, 0, v55, vcc_lo
	s_mov_b32 s8, exec_lo
	s_delay_alu instid0(VALU_DEP_1)
	v_cmpx_lt_u64_e64 v[23:24], v[19:20]
	s_cbranch_execz .LBB8_82
; %bb.69:                               ;   in Loop: Header=BB8_66 Depth=1
	s_sleep 1
	flat_load_b64 v[54:55], v[52:53] glc
	v_cmp_eq_u32_e32 vcc_lo, 0, v145
	s_and_saveexec_b32 s18, vcc_lo
	s_cbranch_execz .LBB8_81
; %bb.70:                               ;   in Loop: Header=BB8_66 Depth=1
	v_cndmask_b32_e64 v5, 0, 1, vcc_lo
	s_mov_b32 s19, 0
                                        ; implicit-def: $sgpr20
	s_branch .LBB8_74
.LBB8_71:                               ;   in Loop: Header=BB8_74 Depth=2
	s_or_b32 exec_lo, exec_lo, s23
	s_delay_alu instid0(SALU_CYCLE_1)
	s_or_not1_b32 s23, s24, exec_lo
.LBB8_72:                               ;   in Loop: Header=BB8_74 Depth=2
	s_or_b32 exec_lo, exec_lo, s22
	s_xor_b32 s22, s23, -1
	s_and_not1_b32 s20, s20, exec_lo
	s_and_b32 s22, s22, exec_lo
	s_delay_alu instid0(SALU_CYCLE_1)
	s_or_b32 s20, s20, s22
.LBB8_73:                               ;   in Loop: Header=BB8_74 Depth=2
	s_or_b32 exec_lo, exec_lo, s21
	s_delay_alu instid0(SALU_CYCLE_1) | instskip(NEXT) | instid1(SALU_CYCLE_1)
	s_and_b32 s21, exec_lo, s20
	s_or_b32 s19, s21, s19
	s_delay_alu instid0(SALU_CYCLE_1)
	s_and_not1_b32 exec_lo, exec_lo, s19
	s_cbranch_execz .LBB8_80
.LBB8_74:                               ;   Parent Loop BB8_66 Depth=1
                                        ; =>  This Inner Loop Header: Depth=2
	s_waitcnt vmcnt(0) lgkmcnt(0)
	v_add_co_u32 v23, vcc_lo, v54, 8
	v_add_co_ci_u32_e32 v24, vcc_lo, 0, v55, vcc_lo
	v_mov_b32_e32 v145, 0
	s_or_b32 s20, s20, exec_lo
	s_mov_b32 s21, exec_lo
	s_delay_alu instid0(VALU_DEP_2)
	v_cmpx_lt_u64_e64 v[23:24], v[19:20]
	s_cbranch_execz .LBB8_73
; %bb.75:                               ;   in Loop: Header=BB8_74 Depth=2
	s_sleep 1
	flat_load_b64 v[54:55], v[52:53] glc
	v_add_nc_u32_e32 v5, 1, v5
	v_mov_b32_e32 v145, 0
	s_mov_b32 s23, -1
	s_mov_b32 s22, exec_lo
	s_delay_alu instid0(VALU_DEP_2)
	v_cmpx_eq_u32_e32 0x2710, v5
	s_cbranch_execz .LBB8_72
; %bb.76:                               ;   in Loop: Header=BB8_74 Depth=2
	s_cbranch_execnz .LBB8_394
; %bb.77:                               ;   in Loop: Header=BB8_74 Depth=2
	ds_load_b64 v[23:24], v0
	v_mov_b32_e32 v5, 0
	v_mov_b32_e32 v145, 0
	s_mov_b32 s24, -1
	s_mov_b32 s23, exec_lo
	s_waitcnt vmcnt(0) lgkmcnt(0)
	s_waitcnt_vscnt null, 0x0
	flat_load_b32 v16, v[23:24] glc
	s_waitcnt vmcnt(0) lgkmcnt(0)
	buffer_gl1_inv
	buffer_gl0_inv
	v_cmpx_ne_u32_e32 0, v16
	s_cbranch_execz .LBB8_71
; %bb.78:                               ;   in Loop: Header=BB8_74 Depth=2
	ds_store_b32 v0, v16
	s_cbranch_execnz .LBB8_427
; %bb.79:                               ;   in Loop: Header=BB8_74 Depth=2
	v_mov_b32_e32 v145, 1
	s_xor_b32 s24, exec_lo, -1
	s_branch .LBB8_71
.LBB8_80:                               ;   in Loop: Header=BB8_66 Depth=1
	s_or_b32 exec_lo, exec_lo, s19
.LBB8_81:                               ;   in Loop: Header=BB8_66 Depth=1
	s_delay_alu instid0(SALU_CYCLE_1)
	s_or_b32 exec_lo, exec_lo, s18
.LBB8_82:                               ;   in Loop: Header=BB8_66 Depth=1
	s_delay_alu instid0(SALU_CYCLE_1)
	s_or_b32 exec_lo, exec_lo, s8
	s_and_saveexec_b32 s8, s2
	s_cbranch_execz .LBB8_84
; %bb.83:                               ;   in Loop: Header=BB8_66 Depth=1
	v_and_b32_e32 v5, 0x7ffffff8, v15
	v_and_b32_e32 v16, 7, v15
	s_delay_alu instid0(VALU_DEP_2) | instskip(NEXT) | instid1(VALU_DEP_2)
	v_cmp_eq_u64_e32 vcc_lo, 0x7ffffff8, v[5:6]
	v_mad_u64_u32 v[23:24], null, v16, 24, v[13:14]
	v_cndmask_b32_e64 v5, v148, s14, vcc_lo
	s_delay_alu instid0(VALU_DEP_1) | instskip(NEXT) | instid1(VALU_DEP_1)
	v_lshlrev_b32_e32 v15, 4, v5
	v_ashrrev_i32_e32 v16, 31, v15
	flat_store_b64 v[23:24], v[15:16] offset:8 dlc
	s_waitcnt_vscnt null, 0x0
.LBB8_84:                               ;   in Loop: Header=BB8_66 Depth=1
	s_or_b32 exec_lo, exec_lo, s8
	v_dual_mov_b32 v15, v19 :: v_dual_mov_b32 v16, v20
.LBB8_85:                               ;   in Loop: Header=BB8_66 Depth=1
	s_or_b32 exec_lo, exec_lo, s7
	s_and_saveexec_b32 s7, s3
	s_cbranch_execz .LBB8_107
; %bb.86:                               ;   in Loop: Header=BB8_66 Depth=1
	s_and_saveexec_b32 s8, s4
	s_delay_alu instid0(SALU_CYCLE_1)
	s_xor_b32 s8, exec_lo, s8
	s_cbranch_execz .LBB8_104
; %bb.87:                               ;   in Loop: Header=BB8_66 Depth=1
	s_and_saveexec_b32 s18, s5
	s_cbranch_execz .LBB8_103
; %bb.88:                               ;   in Loop: Header=BB8_66 Depth=1
	s_mov_b32 s20, exec_lo
	s_mov_b32 s19, exec_lo
	v_mbcnt_lo_u32_b32 v5, s20, 0
	s_waitcnt vmcnt(0) lgkmcnt(0)
	s_waitcnt_vscnt null, 0x0
	buffer_gl1_inv
	buffer_gl0_inv
	v_cmpx_eq_u32_e32 0, v5
	s_cbranch_execz .LBB8_90
; %bb.89:                               ;   in Loop: Header=BB8_66 Depth=1
	s_bcnt1_i32_b32 s20, s20
	s_delay_alu instid0(SALU_CYCLE_1)
	v_mov_b32_e32 v5, s20
	ds_add_u64 v0, v[5:6]
	s_cbranch_execnz .LBB8_421
.LBB8_90:                               ;   in Loop: Header=BB8_66 Depth=1
	s_or_b32 exec_lo, exec_lo, s19
	s_cbranch_execnz .LBB8_413
; %bb.91:                               ;   in Loop: Header=BB8_66 Depth=1
	ds_load_b64 v[19:20], v0
	v_add_co_u32 v2, vcc_lo, v2, v113
	v_add_co_ci_u32_e32 v3, vcc_lo, v3, v115, vcc_lo
	s_mov_b32 s19, exec_lo
	s_waitcnt lgkmcnt(0)
	s_delay_alu instid0(VALU_DEP_1)
	v_cmpx_lt_u64_e64 v[19:20], v[2:3]
	s_cbranch_execz .LBB8_102
; %bb.92:                               ;   in Loop: Header=BB8_66 Depth=1
	s_mov_b32 s20, 0
	s_mov_b32 s23, 0
                                        ; implicit-def: $sgpr21
                                        ; implicit-def: $sgpr22
	s_branch .LBB8_94
.LBB8_93:                               ;   in Loop: Header=BB8_94 Depth=2
	s_or_b32 exec_lo, exec_lo, s26
	s_delay_alu instid0(SALU_CYCLE_1) | instskip(NEXT) | instid1(SALU_CYCLE_1)
	s_and_b32 s24, exec_lo, s25
	s_or_b32 s20, s24, s20
	s_and_not1_b32 s21, s21, exec_lo
	s_and_b32 s24, s22, exec_lo
	s_delay_alu instid0(SALU_CYCLE_1)
	s_or_b32 s21, s21, s24
	s_and_not1_b32 exec_lo, exec_lo, s20
	s_cbranch_execz .LBB8_100
.LBB8_94:                               ;   Parent Loop BB8_66 Depth=1
                                        ; =>  This Inner Loop Header: Depth=2
	s_add_i32 s23, s23, 1
                                        ; implicit-def: $sgpr25
	s_delay_alu instid0(SALU_CYCLE_1) | instskip(SKIP_1) | instid1(SALU_CYCLE_1)
	s_cmpk_lg_i32 s23, 0x2710
	s_cselect_b32 s24, -1, 0
	s_and_b32 vcc_lo, exec_lo, s24
	s_cbranch_vccz .LBB8_98
.LBB8_95:                               ;   in Loop: Header=BB8_94 Depth=2
	s_and_not1_b32 s22, s22, exec_lo
	s_and_b32 s26, s25, exec_lo
	s_mov_b32 s25, -1
	s_or_b32 s22, s22, s26
	s_and_saveexec_b32 s26, s24
	s_cbranch_execz .LBB8_93
; %bb.96:                               ;   in Loop: Header=BB8_94 Depth=2
	s_sleep 1
	s_cbranch_execnz .LBB8_445
; %bb.97:                               ;   in Loop: Header=BB8_94 Depth=2
	ds_load_b64 v[19:20], v0
	s_and_not1_b32 s22, s22, exec_lo
	s_waitcnt lgkmcnt(0)
	v_cmp_ge_u64_e32 vcc_lo, v[19:20], v[2:3]
	s_or_not1_b32 s25, vcc_lo, exec_lo
	s_branch .LBB8_93
.LBB8_98:                               ;   in Loop: Header=BB8_94 Depth=2
	s_cbranch_execnz .LBB8_449
; %bb.99:                               ;   in Loop: Header=BB8_94 Depth=2
	ds_load_b64 v[19:20], v0
	s_and_not1_b32 s24, s24, exec_lo
	s_mov_b32 s23, 0
	s_mov_b32 s25, -1
	s_waitcnt lgkmcnt(0)
	flat_load_b32 v5, v[19:20] glc
	s_waitcnt vmcnt(0) lgkmcnt(0)
	buffer_gl1_inv
	buffer_gl0_inv
	v_cmp_eq_u32_e32 vcc_lo, 0, v5
	s_and_b32 s26, vcc_lo, exec_lo
	s_delay_alu instid0(SALU_CYCLE_1)
	s_or_b32 s24, s24, s26
	s_branch .LBB8_95
.LBB8_100:                              ;   in Loop: Header=BB8_66 Depth=1
	s_or_b32 exec_lo, exec_lo, s20
	s_and_saveexec_b32 s20, s21
	s_delay_alu instid0(SALU_CYCLE_1)
	s_xor_b32 s20, exec_lo, s20
	s_cbranch_execz .LBB8_102
; %bb.101:                              ;   in Loop: Header=BB8_66 Depth=1
	ds_store_b32 v0, v144
	s_cbranch_execnz .LBB8_473
.LBB8_102:                              ;   in Loop: Header=BB8_66 Depth=1
	s_or_b32 exec_lo, exec_lo, s19
	;;#ASMSTART
	s_wakeup
	;;#ASMEND
.LBB8_103:                              ;   in Loop: Header=BB8_66 Depth=1
	s_or_b32 exec_lo, exec_lo, s18
.LBB8_104:                              ;   in Loop: Header=BB8_66 Depth=1
	s_and_not1_saveexec_b32 s8, s8
	s_cbranch_execz .LBB8_106
; %bb.105:                              ;   in Loop: Header=BB8_66 Depth=1
	s_waitcnt vmcnt(0) lgkmcnt(0)
	s_waitcnt_vscnt null, 0x0
	buffer_gl1_inv
	buffer_gl0_inv
	s_barrier
.LBB8_106:                              ;   in Loop: Header=BB8_66 Depth=1
	s_or_b32 exec_lo, exec_lo, s8
.LBB8_107:                              ;   in Loop: Header=BB8_66 Depth=1
	s_delay_alu instid0(SALU_CYCLE_1) | instskip(SKIP_3) | instid1(VALU_DEP_2)
	s_or_b32 exec_lo, exec_lo, s7
	v_sub_nc_u32_e32 v5, v96, v114
	v_mov_b32_e32 v23, v4
	s_mov_b32 s18, exec_lo
	v_cmpx_lt_i32_e32 0, v5
	s_cbranch_execz .LBB8_133
; %bb.108:                              ;   in Loop: Header=BB8_66 Depth=1
	v_dual_mov_b32 v98, v131 :: v_dual_and_b32 v19, 7, v21
	v_mov_b32_e32 v23, v21
	v_add_co_u32 v24, vcc_lo, v118, v17
	s_delay_alu instid0(VALU_DEP_3)
	v_mul_lo_u32 v19, v19, s14
	v_add_co_ci_u32_e32 v97, vcc_lo, v119, v18, vcc_lo
	v_add_co_u32 v99, vcc_lo, 0, 0
	v_dual_mov_b32 v83, v81 :: v_dual_mov_b32 v82, v80
	v_add_co_ci_u32_e32 v18, vcc_lo, 1, v23, vcc_lo
	v_ashrrev_i32_e32 v20, 31, v19
	v_mov_b32_e32 v23, v4
	s_mov_b32 s19, 0
	s_delay_alu instid0(VALU_DEP_2) | instskip(NEXT) | instid1(VALU_DEP_1)
	v_lshlrev_b64 v[19:20], 4, v[19:20]
	v_add_co_u32 v84, vcc_lo, v134, v19
	s_delay_alu instid0(VALU_DEP_2)
	v_add_co_ci_u32_e32 v85, vcc_lo, v135, v20, vcc_lo
	s_branch .LBB8_110
.LBB8_109:                              ;   in Loop: Header=BB8_110 Depth=2
	v_sub_nc_u32_e32 v5, v5, v117
	v_add_co_u32 v82, vcc_lo, v82, v117
	v_add_co_ci_u32_e32 v83, vcc_lo, v83, v128, vcc_lo
	s_delay_alu instid0(VALU_DEP_3)
	v_cmp_gt_i32_e32 vcc_lo, 1, v5
	v_add_co_u32 v84, s7, v84, v70
	v_add_nc_u32_e32 v23, v23, v1
	v_add_nc_u32_e32 v98, v98, v133
	v_add_co_ci_u32_e64 v85, s7, v85, v71, s7
	s_or_b32 s19, vcc_lo, s19
	s_delay_alu instid0(SALU_CYCLE_1)
	s_and_not1_b32 exec_lo, exec_lo, s19
	s_cbranch_execz .LBB8_132
.LBB8_110:                              ;   Parent Loop BB8_66 Depth=1
                                        ; =>  This Inner Loop Header: Depth=2
	v_add_co_u32 v86, vcc_lo, v129, v82
	v_add_co_ci_u32_e32 v20, vcc_lo, v130, v83, vcc_lo
	v_min_u32_e32 v87, 8, v5
	s_delay_alu instid0(VALU_DEP_3) | instskip(SKIP_3) | instid1(VALU_DEP_1)
	v_dual_mov_b32 v100, 0 :: v_dual_and_b32 v19, -4, v86
	v_dual_mov_b32 v101, 0 :: v_dual_and_b32 v86, 3, v86
	flat_load_b32 v17, v[19:20] glc
	v_add_co_u32 v86, s7, v86, v87
	v_add_co_ci_u32_e64 v87, null, 0, 0, s7
	s_mov_b32 s7, exec_lo
	s_delay_alu instid0(VALU_DEP_1)
	v_cmpx_lt_u64_e32 4, v[86:87]
	s_cbranch_execz .LBB8_112
; %bb.111:                              ;   in Loop: Header=BB8_110 Depth=2
	flat_load_b32 v101, v[19:20] offset:4 glc
.LBB8_112:                              ;   in Loop: Header=BB8_110 Depth=2
	s_or_b32 exec_lo, exec_lo, s7
	s_delay_alu instid0(SALU_CYCLE_1)
	s_mov_b32 s7, exec_lo
	v_cmpx_lt_u64_e32 8, v[86:87]
	s_cbranch_execz .LBB8_114
; %bb.113:                              ;   in Loop: Header=BB8_110 Depth=2
	flat_load_b32 v100, v[19:20] offset:8 glc
.LBB8_114:                              ;   in Loop: Header=BB8_110 Depth=2
	s_or_b32 exec_lo, exec_lo, s7
	s_waitcnt vmcnt(0) lgkmcnt(0)
	v_alignbit_b32 v86, v101, v17, v98
	v_alignbit_b32 v87, v100, v101, v98
	v_cmp_lt_u32_e32 vcc_lo, 7, v5
	v_mov_b32_e32 v20, v18
	s_delay_alu instid0(VALU_DEP_4) | instskip(NEXT) | instid1(VALU_DEP_4)
	v_or_b32_e32 v17, v99, v86
	v_or_b32_e32 v19, v99, v87
	v_cndmask_b32_e64 v100, 0, 1, vcc_lo
	global_store_b128 v[84:85], v[17:20], off
	;;#ASMSTART
	;;#ASMEND
	v_cmp_ne_u32_e64 s7, 0, v100
	v_add_co_u32 v19, s8, v24, v82
	s_delay_alu instid0(VALU_DEP_1) | instskip(NEXT) | instid1(VALU_DEP_3)
	v_add_co_ci_u32_e64 v20, s8, v97, v83, s8
	s_cmp_lg_u32 s7, exec_lo
	s_mov_b32 s7, -1
	s_cbranch_scc0 .LBB8_130
; %bb.115:                              ;   in Loop: Header=BB8_110 Depth=2
	s_mov_b32 s8, exec_lo
	flat_store_b8 v[19:20], v86
	v_cmpx_ne_u32_e32 1, v5
	s_cbranch_execz .LBB8_117
; %bb.116:                              ;   in Loop: Header=BB8_110 Depth=2
	v_lshrrev_b32_e32 v17, 8, v86
	flat_store_b8 v[19:20], v17 offset:1
.LBB8_117:                              ;   in Loop: Header=BB8_110 Depth=2
	s_or_b32 exec_lo, exec_lo, s8
	s_delay_alu instid0(SALU_CYCLE_1)
	s_mov_b32 s8, exec_lo
	v_cmpx_lt_u32_e32 2, v5
	s_cbranch_execz .LBB8_119
; %bb.118:                              ;   in Loop: Header=BB8_110 Depth=2
	flat_store_d16_hi_b8 v[19:20], v86 offset:2
.LBB8_119:                              ;   in Loop: Header=BB8_110 Depth=2
	s_or_b32 exec_lo, exec_lo, s8
	s_delay_alu instid0(SALU_CYCLE_1)
	s_mov_b32 s8, exec_lo
	v_cmpx_lt_u32_e32 3, v5
	s_cbranch_execz .LBB8_121
; %bb.120:                              ;   in Loop: Header=BB8_110 Depth=2
	v_lshrrev_b32_e32 v17, 24, v86
	flat_store_b8 v[19:20], v17 offset:3
.LBB8_121:                              ;   in Loop: Header=BB8_110 Depth=2
	s_or_b32 exec_lo, exec_lo, s8
	s_delay_alu instid0(SALU_CYCLE_1)
	s_mov_b32 s8, exec_lo
	v_cmpx_lt_u32_e32 4, v5
	s_cbranch_execz .LBB8_123
; %bb.122:                              ;   in Loop: Header=BB8_110 Depth=2
	flat_store_b8 v[19:20], v87 offset:4
.LBB8_123:                              ;   in Loop: Header=BB8_110 Depth=2
	s_or_b32 exec_lo, exec_lo, s8
	s_delay_alu instid0(SALU_CYCLE_1)
	s_mov_b32 s8, exec_lo
	v_cmpx_lt_u32_e32 5, v5
	s_cbranch_execz .LBB8_125
; %bb.124:                              ;   in Loop: Header=BB8_110 Depth=2
	v_lshrrev_b32_e32 v17, 8, v87
	flat_store_b8 v[19:20], v17 offset:5
.LBB8_125:                              ;   in Loop: Header=BB8_110 Depth=2
	s_or_b32 exec_lo, exec_lo, s8
	s_delay_alu instid0(SALU_CYCLE_1)
	s_mov_b32 s8, exec_lo
	v_cmpx_lt_u32_e32 6, v5
	s_cbranch_execz .LBB8_127
; %bb.126:                              ;   in Loop: Header=BB8_110 Depth=2
	flat_store_d16_hi_b8 v[19:20], v87 offset:6
.LBB8_127:                              ;   in Loop: Header=BB8_110 Depth=2
	s_or_b32 exec_lo, exec_lo, s8
	s_and_saveexec_b32 s7, vcc_lo
	s_cbranch_execz .LBB8_129
; %bb.128:                              ;   in Loop: Header=BB8_110 Depth=2
	v_lshrrev_b32_e32 v17, 24, v87
	flat_store_b8 v[19:20], v17 offset:7
.LBB8_129:                              ;   in Loop: Header=BB8_110 Depth=2
	s_or_b32 exec_lo, exec_lo, s7
	s_mov_b32 s7, 0
.LBB8_130:                              ;   in Loop: Header=BB8_110 Depth=2
	s_delay_alu instid0(SALU_CYCLE_1)
	s_and_b32 vcc_lo, exec_lo, s7
	s_cbranch_vccz .LBB8_109
; %bb.131:                              ;   in Loop: Header=BB8_110 Depth=2
	global_store_b64 v[19:20], v[86:87], off
	s_branch .LBB8_109
.LBB8_132:                              ;   in Loop: Header=BB8_66 Depth=1
	s_or_b32 exec_lo, exec_lo, s19
.LBB8_133:                              ;   in Loop: Header=BB8_66 Depth=1
	s_delay_alu instid0(SALU_CYCLE_1) | instskip(SKIP_2) | instid1(VALU_DEP_2)
	s_or_b32 exec_lo, exec_lo, s18
	v_and_b32_e32 v5, 0x7ffffff8, v21
	v_cmp_gt_i32_e64 s7, s14, v23
	v_cmp_eq_u64_e32 vcc_lo, 0x7ffffff8, v[5:6]
	s_delay_alu instid0(VALU_DEP_2) | instskip(NEXT) | instid1(SALU_CYCLE_1)
	s_and_b32 s7, vcc_lo, s7
	s_and_saveexec_b32 s8, s7
	s_cbranch_execz .LBB8_136
; %bb.134:                              ;   in Loop: Header=BB8_66 Depth=1
	v_and_b32_e32 v5, 7, v21
	v_ashrrev_i32_e32 v24, 31, v23
	s_mov_b32 s18, 0
	s_delay_alu instid0(VALU_DEP_2) | instskip(NEXT) | instid1(VALU_DEP_2)
	v_mul_lo_u32 v17, v5, s14
	v_lshlrev_b64 v[19:20], 4, v[23:24]
	v_mov_b32_e32 v5, v21
	s_delay_alu instid0(VALU_DEP_3) | instskip(NEXT) | instid1(VALU_DEP_1)
	v_ashrrev_i32_e32 v18, 31, v17
	v_lshlrev_b64 v[17:18], 4, v[17:18]
	s_delay_alu instid0(VALU_DEP_1) | instskip(NEXT) | instid1(VALU_DEP_2)
	v_add_co_u32 v19, vcc_lo, v19, v17
	v_add_co_ci_u32_e32 v20, vcc_lo, v20, v18, vcc_lo
	v_add_co_u32 v17, vcc_lo, 0, 0
	v_add_co_ci_u32_e32 v18, vcc_lo, 1, v5, vcc_lo
	s_delay_alu instid0(VALU_DEP_4) | instskip(NEXT) | instid1(VALU_DEP_4)
	v_add_co_u32 v82, vcc_lo, v48, v19
	v_add_co_ci_u32_e32 v83, vcc_lo, v49, v20, vcc_lo
.LBB8_135:                              ;   Parent Loop BB8_66 Depth=1
                                        ; =>  This Inner Loop Header: Depth=2
	s_delay_alu instid0(VALU_DEP_3) | instskip(SKIP_4) | instid1(VALU_DEP_1)
	v_dual_mov_b32 v19, v17 :: v_dual_mov_b32 v20, v18
	v_add_nc_u32_e32 v23, v23, v1
	global_store_b128 v[82:83], v[17:20], off
	v_cmp_le_i32_e32 vcc_lo, s14, v23
	v_add_co_u32 v82, s7, v82, v70
	v_add_co_ci_u32_e64 v83, s7, v83, v71, s7
	s_or_b32 s18, vcc_lo, s18
	s_delay_alu instid0(SALU_CYCLE_1)
	s_and_not1_b32 exec_lo, exec_lo, s18
	s_cbranch_execnz .LBB8_135
.LBB8_136:                              ;   in Loop: Header=BB8_66 Depth=1
	s_or_b32 exec_lo, exec_lo, s8
.LBB8_137:                              ;   in Loop: Header=BB8_66 Depth=1
	s_and_not1_saveexec_b32 s8, s9
	s_cbranch_execz .LBB8_190
; %bb.138:                              ;   in Loop: Header=BB8_66 Depth=1
	s_and_saveexec_b32 s7, s1
	s_cbranch_execz .LBB8_156
; %bb.139:                              ;   in Loop: Header=BB8_66 Depth=1
	v_add_co_u32 v17, vcc_lo, v15, 1
	v_add_co_ci_u32_e32 v18, vcc_lo, 0, v16, vcc_lo
	s_waitcnt vmcnt(0) lgkmcnt(0)
	v_add_co_u32 v19, vcc_lo, v54, 8
	v_add_co_ci_u32_e32 v20, vcc_lo, 0, v55, vcc_lo
	s_mov_b32 s9, exec_lo
	s_delay_alu instid0(VALU_DEP_1)
	v_cmpx_lt_u64_e64 v[19:20], v[17:18]
	s_cbranch_execz .LBB8_153
; %bb.140:                              ;   in Loop: Header=BB8_66 Depth=1
	s_sleep 1
	flat_load_b64 v[54:55], v[52:53] glc
	v_cmp_eq_u32_e32 vcc_lo, 0, v145
	s_and_saveexec_b32 s18, vcc_lo
	s_cbranch_execz .LBB8_152
; %bb.141:                              ;   in Loop: Header=BB8_66 Depth=1
	v_cndmask_b32_e64 v5, 0, 1, vcc_lo
	s_mov_b32 s19, 0
                                        ; implicit-def: $sgpr20
	s_branch .LBB8_145
.LBB8_142:                              ;   in Loop: Header=BB8_145 Depth=2
	s_or_b32 exec_lo, exec_lo, s23
	s_delay_alu instid0(SALU_CYCLE_1)
	s_or_not1_b32 s23, s24, exec_lo
.LBB8_143:                              ;   in Loop: Header=BB8_145 Depth=2
	s_or_b32 exec_lo, exec_lo, s22
	s_xor_b32 s22, s23, -1
	s_and_not1_b32 s20, s20, exec_lo
	s_and_b32 s22, s22, exec_lo
	s_delay_alu instid0(SALU_CYCLE_1)
	s_or_b32 s20, s20, s22
.LBB8_144:                              ;   in Loop: Header=BB8_145 Depth=2
	s_or_b32 exec_lo, exec_lo, s21
	s_delay_alu instid0(SALU_CYCLE_1) | instskip(NEXT) | instid1(SALU_CYCLE_1)
	s_and_b32 s21, exec_lo, s20
	s_or_b32 s19, s21, s19
	s_delay_alu instid0(SALU_CYCLE_1)
	s_and_not1_b32 exec_lo, exec_lo, s19
	s_cbranch_execz .LBB8_151
.LBB8_145:                              ;   Parent Loop BB8_66 Depth=1
                                        ; =>  This Inner Loop Header: Depth=2
	s_waitcnt vmcnt(0) lgkmcnt(0)
	v_add_co_u32 v19, vcc_lo, v54, 8
	v_add_co_ci_u32_e32 v20, vcc_lo, 0, v55, vcc_lo
	v_mov_b32_e32 v145, 0
	s_or_b32 s20, s20, exec_lo
	s_mov_b32 s21, exec_lo
	s_delay_alu instid0(VALU_DEP_2)
	v_cmpx_lt_u64_e64 v[19:20], v[17:18]
	s_cbranch_execz .LBB8_144
; %bb.146:                              ;   in Loop: Header=BB8_145 Depth=2
	s_sleep 1
	flat_load_b64 v[54:55], v[52:53] glc
	v_add_nc_u32_e32 v5, 1, v5
	v_mov_b32_e32 v145, 0
	s_mov_b32 s23, -1
	s_mov_b32 s22, exec_lo
	s_delay_alu instid0(VALU_DEP_2)
	v_cmpx_eq_u32_e32 0x2710, v5
	s_cbranch_execz .LBB8_143
; %bb.147:                              ;   in Loop: Header=BB8_145 Depth=2
	s_cbranch_execnz .LBB8_396
; %bb.148:                              ;   in Loop: Header=BB8_145 Depth=2
	ds_load_b64 v[19:20], v0
	v_mov_b32_e32 v5, 0
	v_mov_b32_e32 v145, 0
	s_mov_b32 s24, -1
	s_mov_b32 s23, exec_lo
	s_waitcnt vmcnt(0) lgkmcnt(0)
	s_waitcnt_vscnt null, 0x0
	flat_load_b32 v16, v[19:20] glc
	s_waitcnt vmcnt(0) lgkmcnt(0)
	buffer_gl1_inv
	buffer_gl0_inv
	v_cmpx_ne_u32_e32 0, v16
	s_cbranch_execz .LBB8_142
; %bb.149:                              ;   in Loop: Header=BB8_145 Depth=2
	ds_store_b32 v0, v16
	s_cbranch_execnz .LBB8_433
; %bb.150:                              ;   in Loop: Header=BB8_145 Depth=2
	v_mov_b32_e32 v145, 1
	s_xor_b32 s24, exec_lo, -1
	s_branch .LBB8_142
.LBB8_151:                              ;   in Loop: Header=BB8_66 Depth=1
	s_or_b32 exec_lo, exec_lo, s19
.LBB8_152:                              ;   in Loop: Header=BB8_66 Depth=1
	s_delay_alu instid0(SALU_CYCLE_1)
	s_or_b32 exec_lo, exec_lo, s18
.LBB8_153:                              ;   in Loop: Header=BB8_66 Depth=1
	s_delay_alu instid0(SALU_CYCLE_1)
	s_or_b32 exec_lo, exec_lo, s9
	s_and_saveexec_b32 s9, s2
	s_cbranch_execz .LBB8_155
; %bb.154:                              ;   in Loop: Header=BB8_66 Depth=1
	v_and_b32_e32 v5, 0x7ffffff8, v15
	v_and_b32_e32 v16, 7, v15
	s_delay_alu instid0(VALU_DEP_2) | instskip(NEXT) | instid1(VALU_DEP_2)
	v_cmp_eq_u64_e32 vcc_lo, 0x7ffffff8, v[5:6]
	v_mad_u64_u32 v[19:20], null, v16, 24, v[13:14]
	v_cndmask_b32_e64 v5, v148, s14, vcc_lo
	s_delay_alu instid0(VALU_DEP_1) | instskip(NEXT) | instid1(VALU_DEP_1)
	v_lshlrev_b32_e32 v15, 4, v5
	v_ashrrev_i32_e32 v16, 31, v15
	flat_store_b64 v[19:20], v[15:16] offset:8 dlc
	s_waitcnt_vscnt null, 0x0
.LBB8_155:                              ;   in Loop: Header=BB8_66 Depth=1
	s_or_b32 exec_lo, exec_lo, s9
	v_dual_mov_b32 v15, v17 :: v_dual_mov_b32 v16, v18
.LBB8_156:                              ;   in Loop: Header=BB8_66 Depth=1
	s_or_b32 exec_lo, exec_lo, s7
	s_and_saveexec_b32 s7, s3
	s_cbranch_execz .LBB8_178
; %bb.157:                              ;   in Loop: Header=BB8_66 Depth=1
	s_and_saveexec_b32 s9, s4
	s_delay_alu instid0(SALU_CYCLE_1)
	s_xor_b32 s9, exec_lo, s9
	s_cbranch_execz .LBB8_175
; %bb.158:                              ;   in Loop: Header=BB8_66 Depth=1
	s_and_saveexec_b32 s18, s5
	s_cbranch_execz .LBB8_174
; %bb.159:                              ;   in Loop: Header=BB8_66 Depth=1
	s_mov_b32 s20, exec_lo
	s_mov_b32 s19, exec_lo
	v_mbcnt_lo_u32_b32 v5, s20, 0
	s_waitcnt vmcnt(0) lgkmcnt(0)
	s_waitcnt_vscnt null, 0x0
	buffer_gl1_inv
	buffer_gl0_inv
	v_cmpx_eq_u32_e32 0, v5
	s_cbranch_execz .LBB8_161
; %bb.160:                              ;   in Loop: Header=BB8_66 Depth=1
	s_bcnt1_i32_b32 s20, s20
	s_delay_alu instid0(SALU_CYCLE_1)
	v_mov_b32_e32 v5, s20
	ds_add_u64 v0, v[5:6]
	s_cbranch_execnz .LBB8_425
.LBB8_161:                              ;   in Loop: Header=BB8_66 Depth=1
	s_or_b32 exec_lo, exec_lo, s19
	s_cbranch_execnz .LBB8_415
; %bb.162:                              ;   in Loop: Header=BB8_66 Depth=1
	ds_load_b64 v[17:18], v0
	v_add_co_u32 v2, vcc_lo, v2, v113
	v_add_co_ci_u32_e32 v3, vcc_lo, v3, v115, vcc_lo
	s_mov_b32 s19, exec_lo
	s_waitcnt lgkmcnt(0)
	s_delay_alu instid0(VALU_DEP_1)
	v_cmpx_lt_u64_e64 v[17:18], v[2:3]
	s_cbranch_execz .LBB8_173
; %bb.163:                              ;   in Loop: Header=BB8_66 Depth=1
	s_mov_b32 s20, 0
	s_mov_b32 s23, 0
                                        ; implicit-def: $sgpr21
                                        ; implicit-def: $sgpr22
	s_branch .LBB8_165
.LBB8_164:                              ;   in Loop: Header=BB8_165 Depth=2
	s_or_b32 exec_lo, exec_lo, s26
	s_delay_alu instid0(SALU_CYCLE_1) | instskip(NEXT) | instid1(SALU_CYCLE_1)
	s_and_b32 s24, exec_lo, s25
	s_or_b32 s20, s24, s20
	s_and_not1_b32 s21, s21, exec_lo
	s_and_b32 s24, s22, exec_lo
	s_delay_alu instid0(SALU_CYCLE_1)
	s_or_b32 s21, s21, s24
	s_and_not1_b32 exec_lo, exec_lo, s20
	s_cbranch_execz .LBB8_171
.LBB8_165:                              ;   Parent Loop BB8_66 Depth=1
                                        ; =>  This Inner Loop Header: Depth=2
	s_add_i32 s23, s23, 1
                                        ; implicit-def: $sgpr25
	s_delay_alu instid0(SALU_CYCLE_1) | instskip(SKIP_1) | instid1(SALU_CYCLE_1)
	s_cmpk_lg_i32 s23, 0x2710
	s_cselect_b32 s24, -1, 0
	s_and_b32 vcc_lo, exec_lo, s24
	s_cbranch_vccz .LBB8_169
.LBB8_166:                              ;   in Loop: Header=BB8_165 Depth=2
	s_and_not1_b32 s22, s22, exec_lo
	s_and_b32 s26, s25, exec_lo
	s_mov_b32 s25, -1
	s_or_b32 s22, s22, s26
	s_and_saveexec_b32 s26, s24
	s_cbranch_execz .LBB8_164
; %bb.167:                              ;   in Loop: Header=BB8_165 Depth=2
	s_sleep 1
	s_cbranch_execnz .LBB8_447
; %bb.168:                              ;   in Loop: Header=BB8_165 Depth=2
	ds_load_b64 v[17:18], v0
	s_and_not1_b32 s22, s22, exec_lo
	s_waitcnt lgkmcnt(0)
	v_cmp_ge_u64_e32 vcc_lo, v[17:18], v[2:3]
	s_or_not1_b32 s25, vcc_lo, exec_lo
	s_branch .LBB8_164
.LBB8_169:                              ;   in Loop: Header=BB8_165 Depth=2
	s_cbranch_execnz .LBB8_451
; %bb.170:                              ;   in Loop: Header=BB8_165 Depth=2
	ds_load_b64 v[17:18], v0
	s_and_not1_b32 s24, s24, exec_lo
	s_mov_b32 s23, 0
	s_mov_b32 s25, -1
	s_waitcnt lgkmcnt(0)
	flat_load_b32 v5, v[17:18] glc
	s_waitcnt vmcnt(0) lgkmcnt(0)
	buffer_gl1_inv
	buffer_gl0_inv
	v_cmp_eq_u32_e32 vcc_lo, 0, v5
	s_and_b32 s26, vcc_lo, exec_lo
	s_delay_alu instid0(SALU_CYCLE_1)
	s_or_b32 s24, s24, s26
	s_branch .LBB8_166
.LBB8_171:                              ;   in Loop: Header=BB8_66 Depth=1
	s_or_b32 exec_lo, exec_lo, s20
	s_and_saveexec_b32 s20, s21
	s_delay_alu instid0(SALU_CYCLE_1)
	s_xor_b32 s20, exec_lo, s20
	s_cbranch_execz .LBB8_173
; %bb.172:                              ;   in Loop: Header=BB8_66 Depth=1
	ds_store_b32 v0, v144
	s_cbranch_execnz .LBB8_475
.LBB8_173:                              ;   in Loop: Header=BB8_66 Depth=1
	s_or_b32 exec_lo, exec_lo, s19
	;;#ASMSTART
	s_wakeup
	;;#ASMEND
.LBB8_174:                              ;   in Loop: Header=BB8_66 Depth=1
	s_or_b32 exec_lo, exec_lo, s18
.LBB8_175:                              ;   in Loop: Header=BB8_66 Depth=1
	s_and_not1_saveexec_b32 s9, s9
	s_cbranch_execz .LBB8_177
; %bb.176:                              ;   in Loop: Header=BB8_66 Depth=1
	s_waitcnt vmcnt(0) lgkmcnt(0)
	s_waitcnt_vscnt null, 0x0
	buffer_gl1_inv
	buffer_gl0_inv
	s_barrier
.LBB8_177:                              ;   in Loop: Header=BB8_66 Depth=1
	s_or_b32 exec_lo, exec_lo, s9
.LBB8_178:                              ;   in Loop: Header=BB8_66 Depth=1
	s_delay_alu instid0(SALU_CYCLE_1) | instskip(SKIP_3) | instid1(VALU_DEP_2)
	s_or_b32 exec_lo, exec_lo, s7
	v_sub_nc_u32_e32 v5, v96, v114
	v_mov_b32_e32 v23, v4
	s_mov_b32 s9, exec_lo
	v_cmpx_lt_i32_e32 0, v5
	s_cbranch_execz .LBB8_186
; %bb.179:                              ;   in Loop: Header=BB8_66 Depth=1
	v_dual_mov_b32 v24, v131 :: v_dual_and_b32 v17, 7, v21
	v_mov_b32_e32 v23, v21
	v_add_co_u32 v97, vcc_lo, 0, 0
	s_delay_alu instid0(VALU_DEP_3) | instskip(SKIP_2) | instid1(VALU_DEP_2)
	v_mul_lo_u32 v17, v17, s14
	v_dual_mov_b32 v83, v67 :: v_dual_mov_b32 v82, v66
	s_mov_b32 s18, 0
	v_ashrrev_i32_e32 v18, 31, v17
	s_delay_alu instid0(VALU_DEP_1) | instskip(SKIP_2) | instid1(VALU_DEP_3)
	v_lshlrev_b64 v[19:20], 4, v[17:18]
	v_add_co_ci_u32_e32 v18, vcc_lo, 1, v23, vcc_lo
	v_mov_b32_e32 v23, v4
	v_add_co_u32 v84, vcc_lo, v134, v19
	s_delay_alu instid0(VALU_DEP_4)
	v_add_co_ci_u32_e32 v85, vcc_lo, v135, v20, vcc_lo
	s_set_inst_prefetch_distance 0x1
	s_branch .LBB8_181
.LBB8_180:                              ;   in Loop: Header=BB8_181 Depth=2
	s_or_b32 exec_lo, exec_lo, s7
	s_waitcnt vmcnt(0) lgkmcnt(0)
	v_alignbit_b32 v17, v99, v17, v24
	v_alignbit_b32 v19, v98, v99, v24
	v_dual_mov_b32 v20, v18 :: v_dual_add_nc_u32 v23, v23, v1
	v_sub_nc_u32_e32 v5, v5, v117
	s_delay_alu instid0(VALU_DEP_4) | instskip(NEXT) | instid1(VALU_DEP_4)
	v_or_b32_e32 v17, v97, v17
	v_or_b32_e32 v19, v97, v19
	v_add_co_u32 v82, vcc_lo, v82, v117
	v_add_co_ci_u32_e32 v83, vcc_lo, v83, v128, vcc_lo
	global_store_b128 v[84:85], v[17:20], off
	v_cmp_gt_i32_e32 vcc_lo, 1, v5
	v_add_co_u32 v84, s7, v84, v70
	v_add_nc_u32_e32 v24, v24, v133
	v_add_co_ci_u32_e64 v85, s7, v85, v71, s7
	s_or_b32 s18, vcc_lo, s18
	s_delay_alu instid0(SALU_CYCLE_1)
	s_and_not1_b32 exec_lo, exec_lo, s18
	s_cbranch_execz .LBB8_185
.LBB8_181:                              ;   Parent Loop BB8_66 Depth=1
                                        ; =>  This Inner Loop Header: Depth=2
	v_dual_mov_b32 v20, v83 :: v_dual_and_b32 v19, -4, v82
	v_min_u32_e32 v86, 8, v5
	v_dual_mov_b32 v98, 0 :: v_dual_and_b32 v87, 3, v82
	v_mov_b32_e32 v99, 0
	flat_load_b32 v17, v[19:20] glc
	v_add_co_u32 v86, s7, v87, v86
	s_delay_alu instid0(VALU_DEP_1) | instskip(SKIP_1) | instid1(VALU_DEP_1)
	v_add_co_ci_u32_e64 v87, null, 0, 0, s7
	s_mov_b32 s7, exec_lo
	v_cmpx_lt_u64_e32 4, v[86:87]
	s_cbranch_execz .LBB8_183
; %bb.182:                              ;   in Loop: Header=BB8_181 Depth=2
	flat_load_b32 v99, v[19:20] offset:4 glc
.LBB8_183:                              ;   in Loop: Header=BB8_181 Depth=2
	s_or_b32 exec_lo, exec_lo, s7
	s_delay_alu instid0(SALU_CYCLE_1)
	s_mov_b32 s7, exec_lo
	v_cmpx_lt_u64_e32 8, v[86:87]
	s_cbranch_execz .LBB8_180
; %bb.184:                              ;   in Loop: Header=BB8_181 Depth=2
	flat_load_b32 v98, v[19:20] offset:8 glc
	s_branch .LBB8_180
.LBB8_185:                              ;   in Loop: Header=BB8_66 Depth=1
	s_set_inst_prefetch_distance 0x2
	s_or_b32 exec_lo, exec_lo, s18
.LBB8_186:                              ;   in Loop: Header=BB8_66 Depth=1
	s_delay_alu instid0(SALU_CYCLE_1) | instskip(SKIP_2) | instid1(VALU_DEP_2)
	s_or_b32 exec_lo, exec_lo, s9
	v_and_b32_e32 v5, 0x7ffffff8, v21
	v_cmp_gt_i32_e64 s7, s14, v23
	v_cmp_eq_u64_e32 vcc_lo, 0x7ffffff8, v[5:6]
	s_delay_alu instid0(VALU_DEP_2) | instskip(NEXT) | instid1(SALU_CYCLE_1)
	s_and_b32 s7, vcc_lo, s7
	s_and_saveexec_b32 s9, s7
	s_cbranch_execz .LBB8_189
; %bb.187:                              ;   in Loop: Header=BB8_66 Depth=1
	v_and_b32_e32 v5, 7, v21
	v_ashrrev_i32_e32 v24, 31, v23
	s_mov_b32 s18, 0
	s_delay_alu instid0(VALU_DEP_2) | instskip(NEXT) | instid1(VALU_DEP_2)
	v_mul_lo_u32 v17, v5, s14
	v_lshlrev_b64 v[19:20], 4, v[23:24]
	v_mov_b32_e32 v5, v21
	s_delay_alu instid0(VALU_DEP_3) | instskip(NEXT) | instid1(VALU_DEP_1)
	v_ashrrev_i32_e32 v18, 31, v17
	v_lshlrev_b64 v[17:18], 4, v[17:18]
	s_delay_alu instid0(VALU_DEP_1) | instskip(NEXT) | instid1(VALU_DEP_2)
	v_add_co_u32 v19, vcc_lo, v19, v17
	v_add_co_ci_u32_e32 v20, vcc_lo, v20, v18, vcc_lo
	v_add_co_u32 v17, vcc_lo, 0, 0
	v_add_co_ci_u32_e32 v18, vcc_lo, 1, v5, vcc_lo
	s_delay_alu instid0(VALU_DEP_4) | instskip(NEXT) | instid1(VALU_DEP_4)
	v_add_co_u32 v82, vcc_lo, v48, v19
	v_add_co_ci_u32_e32 v83, vcc_lo, v49, v20, vcc_lo
.LBB8_188:                              ;   Parent Loop BB8_66 Depth=1
                                        ; =>  This Inner Loop Header: Depth=2
	s_delay_alu instid0(VALU_DEP_3) | instskip(SKIP_4) | instid1(VALU_DEP_1)
	v_dual_mov_b32 v19, v17 :: v_dual_mov_b32 v20, v18
	v_add_nc_u32_e32 v23, v23, v1
	global_store_b128 v[82:83], v[17:20], off
	v_cmp_le_i32_e32 vcc_lo, s14, v23
	v_add_co_u32 v82, s7, v82, v70
	v_add_co_ci_u32_e64 v83, s7, v83, v71, s7
	s_or_b32 s18, vcc_lo, s18
	s_delay_alu instid0(SALU_CYCLE_1)
	s_and_not1_b32 exec_lo, exec_lo, s18
	s_cbranch_execnz .LBB8_188
.LBB8_189:                              ;   in Loop: Header=BB8_66 Depth=1
	s_or_b32 exec_lo, exec_lo, s9
.LBB8_190:                              ;   in Loop: Header=BB8_66 Depth=1
	s_delay_alu instid0(SALU_CYCLE_1)
	s_or_b32 exec_lo, exec_lo, s8
	v_add_co_u32 v82, vcc_lo, v21, 1
	v_add_co_ci_u32_e32 v83, vcc_lo, 0, v22, vcc_lo
	v_sub_nc_u32_e32 v149, v96, v114
	s_and_not1_b32 vcc_lo, exec_lo, s16
	s_cbranch_vccnz .LBB8_192
; %bb.191:                              ;   in Loop: Header=BB8_66 Depth=1
	v_sub_nc_u32_e32 v5, v96, v114
	s_mov_b32 s7, 0
	s_branch .LBB8_193
.LBB8_192:                              ;   in Loop: Header=BB8_66 Depth=1
	s_mov_b32 s7, -1
                                        ; implicit-def: $vgpr5
.LBB8_193:                              ;   in Loop: Header=BB8_66 Depth=1
	s_delay_alu instid0(SALU_CYCLE_1)
	s_and_not1_b32 vcc_lo, exec_lo, s7
	s_cbranch_vccnz .LBB8_305
; %bb.194:                              ;   in Loop: Header=BB8_66 Depth=1
	v_add_co_u32 v84, vcc_lo, v118, v146
	v_cmp_lt_i32_e64 s7, 0, v149
	v_add_co_ci_u32_e32 v85, vcc_lo, v119, v147, vcc_lo
	v_add_nc_u16 v150, v21, 1
	s_mov_b32 s18, 1
.LBB8_195:                              ;   Parent Loop BB8_66 Depth=1
                                        ; =>  This Loop Header: Depth=2
                                        ;       Child Loop BB8_202 Depth 3
                                        ;       Child Loop BB8_222 Depth 3
	;; [unrolled: 1-line block ×3, first 2 shown]
                                        ;         Child Loop BB8_242 Depth 4
                                        ;       Child Loop BB8_284 Depth 3
                                        ;       Child Loop BB8_301 Depth 3
	s_delay_alu instid0(SALU_CYCLE_1) | instskip(NEXT) | instid1(SALU_CYCLE_1)
	s_sub_i32 s8, s10, s18
	s_ashr_i32 s9, s8, 31
	s_delay_alu instid0(SALU_CYCLE_1) | instskip(NEXT) | instid1(SALU_CYCLE_1)
	s_lshl_b64 s[8:9], s[8:9], 2
	v_add_co_u32 v17, vcc_lo, v25, s8
	v_add_co_ci_u32_e32 v18, vcc_lo, s9, v26, vcc_lo
	s_waitcnt vmcnt(0) lgkmcnt(0)
	flat_load_b32 v19, v[17:18]
	s_and_saveexec_b32 s8, s1
	s_cbranch_execz .LBB8_213
; %bb.196:                              ;   in Loop: Header=BB8_195 Depth=2
	v_add_co_u32 v17, vcc_lo, v15, 1
	v_add_co_ci_u32_e32 v18, vcc_lo, 0, v16, vcc_lo
	s_waitcnt vmcnt(1) lgkmcnt(1)
	v_add_co_u32 v20, vcc_lo, v54, 8
	v_add_co_ci_u32_e32 v21, vcc_lo, 0, v55, vcc_lo
	s_mov_b32 s9, exec_lo
	s_delay_alu instid0(VALU_DEP_1)
	v_cmpx_lt_u64_e64 v[20:21], v[17:18]
	s_cbranch_execz .LBB8_210
; %bb.197:                              ;   in Loop: Header=BB8_195 Depth=2
	s_sleep 1
	flat_load_b64 v[54:55], v[52:53] glc
	v_cmp_eq_u32_e32 vcc_lo, 0, v145
	s_and_saveexec_b32 s19, vcc_lo
	s_cbranch_execz .LBB8_209
; %bb.198:                              ;   in Loop: Header=BB8_195 Depth=2
	v_cndmask_b32_e64 v5, 0, 1, vcc_lo
	s_mov_b32 s20, 0
                                        ; implicit-def: $sgpr21
	s_branch .LBB8_202
.LBB8_199:                              ;   in Loop: Header=BB8_202 Depth=3
	s_or_b32 exec_lo, exec_lo, s24
	s_delay_alu instid0(SALU_CYCLE_1)
	s_or_not1_b32 s24, s25, exec_lo
.LBB8_200:                              ;   in Loop: Header=BB8_202 Depth=3
	s_or_b32 exec_lo, exec_lo, s23
	s_xor_b32 s23, s24, -1
	s_and_not1_b32 s21, s21, exec_lo
	s_and_b32 s23, s23, exec_lo
	s_delay_alu instid0(SALU_CYCLE_1)
	s_or_b32 s21, s21, s23
.LBB8_201:                              ;   in Loop: Header=BB8_202 Depth=3
	s_or_b32 exec_lo, exec_lo, s22
	s_delay_alu instid0(SALU_CYCLE_1) | instskip(NEXT) | instid1(SALU_CYCLE_1)
	s_and_b32 s22, exec_lo, s21
	s_or_b32 s20, s22, s20
	s_delay_alu instid0(SALU_CYCLE_1)
	s_and_not1_b32 exec_lo, exec_lo, s20
	s_cbranch_execz .LBB8_208
.LBB8_202:                              ;   Parent Loop BB8_66 Depth=1
                                        ;     Parent Loop BB8_195 Depth=2
                                        ; =>    This Inner Loop Header: Depth=3
	s_waitcnt vmcnt(0) lgkmcnt(0)
	v_add_co_u32 v20, vcc_lo, v54, 8
	v_add_co_ci_u32_e32 v21, vcc_lo, 0, v55, vcc_lo
	v_mov_b32_e32 v145, 0
	s_or_b32 s21, s21, exec_lo
	s_mov_b32 s22, exec_lo
	s_delay_alu instid0(VALU_DEP_2)
	v_cmpx_lt_u64_e64 v[20:21], v[17:18]
	s_cbranch_execz .LBB8_201
; %bb.203:                              ;   in Loop: Header=BB8_202 Depth=3
	s_sleep 1
	flat_load_b64 v[54:55], v[52:53] glc
	v_add_nc_u32_e32 v5, 1, v5
	v_mov_b32_e32 v145, 0
	s_mov_b32 s24, -1
	s_mov_b32 s23, exec_lo
	s_delay_alu instid0(VALU_DEP_2)
	v_cmpx_eq_u32_e32 0x2710, v5
	s_cbranch_execz .LBB8_200
; %bb.204:                              ;   in Loop: Header=BB8_202 Depth=3
	s_cbranch_execnz .LBB8_390
; %bb.205:                              ;   in Loop: Header=BB8_202 Depth=3
	ds_load_b64 v[20:21], v0
	v_mov_b32_e32 v5, 0
	v_mov_b32_e32 v145, 0
	s_mov_b32 s25, -1
	s_mov_b32 s24, exec_lo
	s_waitcnt vmcnt(0) lgkmcnt(0)
	s_waitcnt_vscnt null, 0x0
	flat_load_b32 v16, v[20:21] glc
	s_waitcnt vmcnt(0) lgkmcnt(0)
	buffer_gl1_inv
	buffer_gl0_inv
	v_cmpx_ne_u32_e32 0, v16
	s_cbranch_execz .LBB8_199
; %bb.206:                              ;   in Loop: Header=BB8_202 Depth=3
	ds_store_b32 v0, v16
	s_cbranch_execnz .LBB8_419
; %bb.207:                              ;   in Loop: Header=BB8_202 Depth=3
	v_mov_b32_e32 v145, 1
	s_xor_b32 s25, exec_lo, -1
	s_branch .LBB8_199
.LBB8_208:                              ;   in Loop: Header=BB8_195 Depth=2
	s_or_b32 exec_lo, exec_lo, s20
.LBB8_209:                              ;   in Loop: Header=BB8_195 Depth=2
	s_delay_alu instid0(SALU_CYCLE_1)
	s_or_b32 exec_lo, exec_lo, s19
.LBB8_210:                              ;   in Loop: Header=BB8_195 Depth=2
	s_delay_alu instid0(SALU_CYCLE_1)
	s_or_b32 exec_lo, exec_lo, s9
	s_and_saveexec_b32 s9, s2
	s_cbranch_execz .LBB8_212
; %bb.211:                              ;   in Loop: Header=BB8_195 Depth=2
	v_and_b32_e32 v5, 0x7ffffff8, v15
	v_and_b32_e32 v16, 7, v15
	s_delay_alu instid0(VALU_DEP_2) | instskip(NEXT) | instid1(VALU_DEP_2)
	v_cmp_eq_u64_e32 vcc_lo, 0x7ffffff8, v[5:6]
	v_mad_u64_u32 v[20:21], null, v16, 24, v[13:14]
	v_cndmask_b32_e64 v5, v148, s14, vcc_lo
	s_delay_alu instid0(VALU_DEP_1) | instskip(NEXT) | instid1(VALU_DEP_1)
	v_lshlrev_b32_e32 v15, 4, v5
	v_ashrrev_i32_e32 v16, 31, v15
	flat_store_b64 v[20:21], v[15:16] offset:8 dlc
	s_waitcnt_vscnt null, 0x0
.LBB8_212:                              ;   in Loop: Header=BB8_195 Depth=2
	s_or_b32 exec_lo, exec_lo, s9
	v_dual_mov_b32 v15, v17 :: v_dual_mov_b32 v16, v18
.LBB8_213:                              ;   in Loop: Header=BB8_195 Depth=2
	s_or_b32 exec_lo, exec_lo, s8
	s_and_saveexec_b32 s8, s3
	s_cbranch_execz .LBB8_235
; %bb.214:                              ;   in Loop: Header=BB8_195 Depth=2
	s_and_saveexec_b32 s9, s4
	s_delay_alu instid0(SALU_CYCLE_1)
	s_xor_b32 s9, exec_lo, s9
	s_cbranch_execz .LBB8_232
; %bb.215:                              ;   in Loop: Header=BB8_195 Depth=2
	s_and_saveexec_b32 s19, s5
	s_cbranch_execz .LBB8_231
; %bb.216:                              ;   in Loop: Header=BB8_195 Depth=2
	s_mov_b32 s21, exec_lo
	s_mov_b32 s20, exec_lo
	v_mbcnt_lo_u32_b32 v5, s21, 0
	s_waitcnt vmcnt(0) lgkmcnt(0)
	s_waitcnt_vscnt null, 0x0
	buffer_gl1_inv
	buffer_gl0_inv
	v_cmpx_eq_u32_e32 0, v5
	s_cbranch_execz .LBB8_218
; %bb.217:                              ;   in Loop: Header=BB8_195 Depth=2
	s_bcnt1_i32_b32 s21, s21
	s_delay_alu instid0(SALU_CYCLE_1)
	v_mov_b32_e32 v5, s21
	ds_add_u64 v0, v[5:6]
	s_cbranch_execnz .LBB8_417
.LBB8_218:                              ;   in Loop: Header=BB8_195 Depth=2
	s_or_b32 exec_lo, exec_lo, s20
	s_cbranch_execnz .LBB8_409
; %bb.219:                              ;   in Loop: Header=BB8_195 Depth=2
	ds_load_b64 v[17:18], v0
	v_add_co_u32 v2, vcc_lo, v2, v113
	v_add_co_ci_u32_e32 v3, vcc_lo, v3, v115, vcc_lo
	s_mov_b32 s20, exec_lo
	s_waitcnt lgkmcnt(0)
	s_delay_alu instid0(VALU_DEP_1)
	v_cmpx_lt_u64_e64 v[17:18], v[2:3]
	s_cbranch_execz .LBB8_230
; %bb.220:                              ;   in Loop: Header=BB8_195 Depth=2
	s_mov_b32 s21, 0
	s_mov_b32 s24, 0
                                        ; implicit-def: $sgpr22
                                        ; implicit-def: $sgpr23
	s_branch .LBB8_222
.LBB8_221:                              ;   in Loop: Header=BB8_222 Depth=3
	s_or_b32 exec_lo, exec_lo, s27
	s_delay_alu instid0(SALU_CYCLE_1) | instskip(NEXT) | instid1(SALU_CYCLE_1)
	s_and_b32 s25, exec_lo, s26
	s_or_b32 s21, s25, s21
	s_and_not1_b32 s22, s22, exec_lo
	s_and_b32 s25, s23, exec_lo
	s_delay_alu instid0(SALU_CYCLE_1)
	s_or_b32 s22, s22, s25
	s_and_not1_b32 exec_lo, exec_lo, s21
	s_cbranch_execz .LBB8_228
.LBB8_222:                              ;   Parent Loop BB8_66 Depth=1
                                        ;     Parent Loop BB8_195 Depth=2
                                        ; =>    This Inner Loop Header: Depth=3
	s_add_i32 s24, s24, 1
                                        ; implicit-def: $sgpr26
	s_delay_alu instid0(SALU_CYCLE_1) | instskip(SKIP_1) | instid1(SALU_CYCLE_1)
	s_cmpk_lg_i32 s24, 0x2710
	s_cselect_b32 s25, -1, 0
	s_and_b32 vcc_lo, exec_lo, s25
	s_cbranch_vccz .LBB8_226
.LBB8_223:                              ;   in Loop: Header=BB8_222 Depth=3
	s_and_not1_b32 s23, s23, exec_lo
	s_and_b32 s27, s26, exec_lo
	s_mov_b32 s26, -1
	s_or_b32 s23, s23, s27
	s_and_saveexec_b32 s27, s25
	s_cbranch_execz .LBB8_221
; %bb.224:                              ;   in Loop: Header=BB8_222 Depth=3
	s_sleep 1
	s_cbranch_execnz .LBB8_439
; %bb.225:                              ;   in Loop: Header=BB8_222 Depth=3
	ds_load_b64 v[17:18], v0
	s_and_not1_b32 s23, s23, exec_lo
	s_waitcnt lgkmcnt(0)
	v_cmp_ge_u64_e32 vcc_lo, v[17:18], v[2:3]
	s_or_not1_b32 s26, vcc_lo, exec_lo
	s_branch .LBB8_221
.LBB8_226:                              ;   in Loop: Header=BB8_222 Depth=3
	s_cbranch_execnz .LBB8_443
; %bb.227:                              ;   in Loop: Header=BB8_222 Depth=3
	ds_load_b64 v[17:18], v0
	s_and_not1_b32 s25, s25, exec_lo
	s_mov_b32 s24, 0
	s_mov_b32 s26, -1
	s_waitcnt lgkmcnt(0)
	flat_load_b32 v5, v[17:18] glc
	s_waitcnt vmcnt(0) lgkmcnt(0)
	buffer_gl1_inv
	buffer_gl0_inv
	v_cmp_eq_u32_e32 vcc_lo, 0, v5
	s_and_b32 s27, vcc_lo, exec_lo
	s_delay_alu instid0(SALU_CYCLE_1)
	s_or_b32 s25, s25, s27
	s_branch .LBB8_223
.LBB8_228:                              ;   in Loop: Header=BB8_195 Depth=2
	s_or_b32 exec_lo, exec_lo, s21
	s_and_saveexec_b32 s21, s22
	s_delay_alu instid0(SALU_CYCLE_1)
	s_xor_b32 s21, exec_lo, s21
	s_cbranch_execz .LBB8_230
; %bb.229:                              ;   in Loop: Header=BB8_195 Depth=2
	ds_store_b32 v0, v144
	s_cbranch_execnz .LBB8_471
.LBB8_230:                              ;   in Loop: Header=BB8_195 Depth=2
	s_or_b32 exec_lo, exec_lo, s20
	;;#ASMSTART
	s_wakeup
	;;#ASMEND
.LBB8_231:                              ;   in Loop: Header=BB8_195 Depth=2
	s_or_b32 exec_lo, exec_lo, s19
.LBB8_232:                              ;   in Loop: Header=BB8_195 Depth=2
	s_and_not1_saveexec_b32 s9, s9
	s_cbranch_execz .LBB8_234
; %bb.233:                              ;   in Loop: Header=BB8_195 Depth=2
	s_waitcnt vmcnt(0) lgkmcnt(0)
	s_waitcnt_vscnt null, 0x0
	buffer_gl1_inv
	buffer_gl0_inv
	s_barrier
.LBB8_234:                              ;   in Loop: Header=BB8_195 Depth=2
	s_or_b32 exec_lo, exec_lo, s9
.LBB8_235:                              ;   in Loop: Header=BB8_195 Depth=2
	s_delay_alu instid0(SALU_CYCLE_1)
	s_or_b32 exec_lo, exec_lo, s8
	v_mov_b32_e32 v86, v4
	s_and_saveexec_b32 s19, s7
	s_cbranch_execz .LBB8_275
; %bb.236:                              ;   in Loop: Header=BB8_195 Depth=2
	v_dual_mov_b32 v164, v149 :: v_dual_and_b32 v5, 7, v34
	v_dual_mov_b32 v23, v82 :: v_dual_and_b32 v18, 7, v82
	s_waitcnt vmcnt(0) lgkmcnt(0)
	v_mad_u64_u32 v[96:97], null, v0, v19, v[84:85]
	s_delay_alu instid0(VALU_DEP_3)
	v_mul_lo_u32 v17, v5, s14
	v_ashrrev_i32_e32 v5, 31, v19
	v_mul_lo_u32 v20, v18, s14
	v_mul_lo_u32 v19, v102, v19
	v_mov_b32_e32 v86, v4
	s_mov_b32 s20, 0
	v_mul_lo_u32 v22, v0, v5
	v_add_nc_u32_e32 v5, 1, v34
	v_ashrrev_i32_e32 v18, 31, v17
	v_ashrrev_i32_e32 v21, 31, v20
	s_delay_alu instid0(VALU_DEP_2) | instskip(SKIP_1) | instid1(VALU_DEP_3)
	v_lshlrev_b64 v[17:18], 4, v[17:18]
	v_add3_u32 v97, v19, v97, v22
	v_lshlrev_b64 v[19:20], 4, v[20:21]
	s_delay_alu instid0(VALU_DEP_3) | instskip(NEXT) | instid1(VALU_DEP_4)
	v_add_co_u32 v151, vcc_lo, v32, v17
	v_add_co_ci_u32_e32 v160, vcc_lo, v33, v18, vcc_lo
	s_delay_alu instid0(VALU_DEP_3) | instskip(NEXT) | instid1(VALU_DEP_4)
	v_add_co_u32 v161, vcc_lo, v48, v19
	v_add_co_ci_u32_e32 v162, vcc_lo, v49, v20, vcc_lo
	v_add_co_u32 v163, vcc_lo, 0, 0
	v_add_co_ci_u32_e32 v18, vcc_lo, 1, v23, vcc_lo
	s_branch .LBB8_238
.LBB8_237:                              ;   in Loop: Header=BB8_238 Depth=3
	v_sub_nc_u32_e32 v164, v164, v117
	v_add_co_u32 v96, s8, v96, v117
	s_delay_alu instid0(VALU_DEP_1) | instskip(NEXT) | instid1(VALU_DEP_3)
	v_add_co_ci_u32_e64 v97, s8, v97, v128, s8
	v_cmp_gt_i32_e32 vcc_lo, 1, v164
	v_add_nc_u32_e32 v86, v86, v1
	s_or_b32 s20, vcc_lo, s20
	s_delay_alu instid0(SALU_CYCLE_1)
	s_and_not1_b32 exec_lo, exec_lo, s20
	s_cbranch_execz .LBB8_274
.LBB8_238:                              ;   Parent Loop BB8_66 Depth=1
                                        ;     Parent Loop BB8_195 Depth=2
                                        ; =>    This Loop Header: Depth=3
                                        ;         Child Loop BB8_242 Depth 4
	s_delay_alu instid0(VALU_DEP_1) | instskip(NEXT) | instid1(VALU_DEP_1)
	v_ashrrev_i32_e32 v87, 31, v86
	v_lshlrev_b64 v[19:20], 4, v[86:87]
	s_delay_alu instid0(VALU_DEP_1) | instskip(NEXT) | instid1(VALU_DEP_2)
	v_add_co_u32 v100, vcc_lo, v151, v19
	v_add_co_ci_u32_e32 v101, vcc_lo, v160, v20, vcc_lo
	;;#ASMSTART
	global_load_b128 v[21:24], v[100:101], off glc slc dlc
s_waitcnt vmcnt(0)

	;;#ASMEND
	v_lshrrev_b64 v[98:99], 24, v[21:22]
	v_cmp_eq_u32_e32 vcc_lo, 0, v145
	v_lshrrev_b32_e32 v87, 8, v21
	v_lshrrev_b32_e32 v99, 16, v21
	s_and_saveexec_b32 s21, vcc_lo
	s_cbranch_execz .LBB8_256
; %bb.239:                              ;   in Loop: Header=BB8_238 Depth=3
	v_cmp_ne_u32_e64 s8, v5, v22
	v_cmp_ne_u32_e64 s9, v5, v24
	v_mov_b32_e32 v145, 0
	s_delay_alu instid0(VALU_DEP_2) | instskip(NEXT) | instid1(SALU_CYCLE_1)
	s_or_b32 s8, s8, s9
	s_and_saveexec_b32 s9, s8
	s_cbranch_execz .LBB8_255
; %bb.240:                              ;   in Loop: Header=BB8_238 Depth=3
	v_cndmask_b32_e64 v17, 0, 1, vcc_lo
	s_mov_b32 s22, 0
                                        ; implicit-def: $sgpr23
                                        ; implicit-def: $sgpr24
	s_branch .LBB8_242
.LBB8_241:                              ;   in Loop: Header=BB8_242 Depth=4
	s_or_b32 exec_lo, exec_lo, s25
	s_delay_alu instid0(SALU_CYCLE_1) | instskip(NEXT) | instid1(SALU_CYCLE_1)
	s_and_b32 s8, exec_lo, s8
	s_or_b32 s22, s8, s22
	s_and_not1_b32 s8, s23, exec_lo
	s_and_b32 s23, s24, exec_lo
	s_delay_alu instid0(SALU_CYCLE_1)
	s_or_b32 s23, s8, s23
	s_and_not1_b32 exec_lo, exec_lo, s22
	s_cbranch_execz .LBB8_250
.LBB8_242:                              ;   Parent Loop BB8_66 Depth=1
                                        ;     Parent Loop BB8_195 Depth=2
                                        ;       Parent Loop BB8_238 Depth=3
                                        ; =>      This Inner Loop Header: Depth=4
	s_delay_alu instid0(VALU_DEP_1)
	v_add_nc_u32_e32 v17, 1, v17
	v_mov_b32_e32 v145, 0
	s_mov_b32 s8, -1
	s_mov_b32 s26, -1
	s_mov_b32 s25, exec_lo
	;;#ASMSTART
	global_load_b128 v[21:24], v[100:101], off glc slc dlc
s_waitcnt vmcnt(0)

	;;#ASMEND
	v_cmpx_eq_u32_e32 0x2710, v17
	s_cbranch_execz .LBB8_248
; %bb.243:                              ;   in Loop: Header=BB8_242 Depth=4
	s_cbranch_execnz .LBB8_386
; %bb.244:                              ;   in Loop: Header=BB8_242 Depth=4
	ds_load_b64 v[98:99], v0
	v_mov_b32_e32 v17, 0
	v_mov_b32_e32 v145, 0
	s_mov_b32 s27, -1
	s_mov_b32 s26, exec_lo
	s_waitcnt lgkmcnt(0)
	s_waitcnt_vscnt null, 0x0
	flat_load_b32 v87, v[98:99] glc
	s_waitcnt vmcnt(0) lgkmcnt(0)
	buffer_gl1_inv
	buffer_gl0_inv
	v_cmpx_ne_u32_e32 0, v87
	s_cbranch_execz .LBB8_247
; %bb.245:                              ;   in Loop: Header=BB8_242 Depth=4
	ds_store_b32 v0, v87
	s_cbranch_execnz .LBB8_392
; %bb.246:                              ;   in Loop: Header=BB8_242 Depth=4
	v_mov_b32_e32 v145, 1
	s_xor_b32 s27, exec_lo, -1
.LBB8_247:                              ;   in Loop: Header=BB8_242 Depth=4
	s_or_b32 exec_lo, exec_lo, s26
	s_delay_alu instid0(SALU_CYCLE_1)
	s_or_not1_b32 s26, s27, exec_lo
.LBB8_248:                              ;   in Loop: Header=BB8_242 Depth=4
	s_or_b32 exec_lo, exec_lo, s25
	s_delay_alu instid0(SALU_CYCLE_1)
	s_or_b32 s24, s24, exec_lo
	s_and_saveexec_b32 s25, s26
	s_cbranch_execz .LBB8_241
; %bb.249:                              ;   in Loop: Header=BB8_242 Depth=4
	v_cmp_eq_u32_e32 vcc_lo, v5, v22
	v_cmp_eq_u32_e64 s8, v5, v24
	s_and_not1_b32 s24, s24, exec_lo
	s_delay_alu instid0(VALU_DEP_1) | instskip(NEXT) | instid1(SALU_CYCLE_1)
	s_and_b32 s8, vcc_lo, s8
	s_or_not1_b32 s8, s8, exec_lo
	s_branch .LBB8_241
.LBB8_250:                              ;   in Loop: Header=BB8_238 Depth=3
	s_or_b32 exec_lo, exec_lo, s22
	s_xor_b32 s8, s23, -1
                                        ; implicit-def: $vgpr98
                                        ; implicit-def: $vgpr99
                                        ; implicit-def: $vgpr87
	s_delay_alu instid0(SALU_CYCLE_1) | instskip(NEXT) | instid1(SALU_CYCLE_1)
	s_and_saveexec_b32 s22, s8
	s_xor_b32 s8, exec_lo, s22
; %bb.251:                              ;   in Loop: Header=BB8_238 Depth=3
	v_lshrrev_b64 v[98:99], 24, v[21:22]
	v_lshrrev_b32_e32 v87, 8, v21
	v_lshrrev_b32_e32 v99, 16, v21
; %bb.252:                              ;   in Loop: Header=BB8_238 Depth=3
	s_and_not1_saveexec_b32 s8, s8
; %bb.253:                              ;   in Loop: Header=BB8_238 Depth=3
	v_lshrrev_b64 v[98:99], 24, v[21:22]
	v_lshrrev_b32_e32 v87, 8, v21
	v_lshrrev_b32_e32 v99, 16, v21
; %bb.254:                              ;   in Loop: Header=BB8_238 Depth=3
	s_or_b32 exec_lo, exec_lo, s8
.LBB8_255:                              ;   in Loop: Header=BB8_238 Depth=3
	s_delay_alu instid0(SALU_CYCLE_1)
	s_or_b32 exec_lo, exec_lo, s9
.LBB8_256:                              ;   in Loop: Header=BB8_238 Depth=3
	s_delay_alu instid0(SALU_CYCLE_1)
	s_or_b32 exec_lo, exec_lo, s21
	v_add_co_u32 v100, vcc_lo, v161, v19
	v_add_co_ci_u32_e32 v101, vcc_lo, v162, v20, vcc_lo
	v_cmp_lt_u32_e32 vcc_lo, 7, v164
	v_or_b32_e32 v17, v21, v163
	v_or_b32_e32 v19, v23, v163
	v_mov_b32_e32 v20, v18
	v_cndmask_b32_e64 v22, 0, 1, vcc_lo
	global_store_b128 v[100:101], v[17:20], off
	;;#ASMSTART
	;;#ASMEND
	v_cmp_ne_u32_e64 s8, 0, v22
	s_delay_alu instid0(VALU_DEP_1)
	s_cmp_lg_u32 s8, exec_lo
	s_mov_b32 s8, -1
	s_cbranch_scc0 .LBB8_272
; %bb.257:                              ;   in Loop: Header=BB8_238 Depth=3
	s_mov_b32 s9, exec_lo
	flat_store_b8 v[96:97], v21
	v_cmpx_ne_u32_e32 1, v164
	s_cbranch_execz .LBB8_259
; %bb.258:                              ;   in Loop: Header=BB8_238 Depth=3
	flat_store_b8 v[96:97], v87 offset:1
.LBB8_259:                              ;   in Loop: Header=BB8_238 Depth=3
	s_or_b32 exec_lo, exec_lo, s9
	s_delay_alu instid0(SALU_CYCLE_1)
	s_mov_b32 s9, exec_lo
	v_cmpx_lt_u32_e32 2, v164
	s_cbranch_execz .LBB8_261
; %bb.260:                              ;   in Loop: Header=BB8_238 Depth=3
	flat_store_b8 v[96:97], v99 offset:2
.LBB8_261:                              ;   in Loop: Header=BB8_238 Depth=3
	s_or_b32 exec_lo, exec_lo, s9
	s_delay_alu instid0(SALU_CYCLE_1)
	s_mov_b32 s9, exec_lo
	v_cmpx_lt_u32_e32 3, v164
	;; [unrolled: 8-line block ×4, first 2 shown]
	s_cbranch_execz .LBB8_267
; %bb.266:                              ;   in Loop: Header=BB8_238 Depth=3
	v_lshrrev_b32_e32 v17, 8, v23
	flat_store_b8 v[96:97], v17 offset:5
.LBB8_267:                              ;   in Loop: Header=BB8_238 Depth=3
	s_or_b32 exec_lo, exec_lo, s9
	s_delay_alu instid0(SALU_CYCLE_1)
	s_mov_b32 s9, exec_lo
	v_cmpx_lt_u32_e32 6, v164
	s_cbranch_execz .LBB8_269
; %bb.268:                              ;   in Loop: Header=BB8_238 Depth=3
	flat_store_d16_hi_b8 v[96:97], v23 offset:6
.LBB8_269:                              ;   in Loop: Header=BB8_238 Depth=3
	s_or_b32 exec_lo, exec_lo, s9
	s_and_saveexec_b32 s8, vcc_lo
	s_cbranch_execz .LBB8_271
; %bb.270:                              ;   in Loop: Header=BB8_238 Depth=3
	v_lshrrev_b32_e32 v17, 24, v23
	flat_store_b8 v[96:97], v17 offset:7
.LBB8_271:                              ;   in Loop: Header=BB8_238 Depth=3
	s_or_b32 exec_lo, exec_lo, s8
	s_mov_b32 s8, 0
.LBB8_272:                              ;   in Loop: Header=BB8_238 Depth=3
	s_delay_alu instid0(SALU_CYCLE_1)
	s_and_b32 vcc_lo, exec_lo, s8
	s_cbranch_vccz .LBB8_237
; %bb.273:                              ;   in Loop: Header=BB8_238 Depth=3
	v_or_b32_e32 v22, 0, v23
	global_store_b64 v[96:97], v[21:22], off
	s_branch .LBB8_237
.LBB8_274:                              ;   in Loop: Header=BB8_195 Depth=2
	s_or_b32 exec_lo, exec_lo, s20
.LBB8_275:                              ;   in Loop: Header=BB8_195 Depth=2
	s_delay_alu instid0(SALU_CYCLE_1)
	s_or_b32 exec_lo, exec_lo, s19
	s_and_saveexec_b32 s8, s3
	s_cbranch_execz .LBB8_297
; %bb.276:                              ;   in Loop: Header=BB8_195 Depth=2
	s_and_saveexec_b32 s9, s4
	s_delay_alu instid0(SALU_CYCLE_1)
	s_xor_b32 s9, exec_lo, s9
	s_cbranch_execz .LBB8_294
; %bb.277:                              ;   in Loop: Header=BB8_195 Depth=2
	s_and_saveexec_b32 s19, s5
	s_cbranch_execz .LBB8_293
; %bb.278:                              ;   in Loop: Header=BB8_195 Depth=2
	s_mov_b32 s21, exec_lo
	s_mov_b32 s20, exec_lo
	v_mbcnt_lo_u32_b32 v5, s21, 0
	s_waitcnt vmcnt(0) lgkmcnt(0)
	s_waitcnt_vscnt null, 0x0
	buffer_gl1_inv
	buffer_gl0_inv
	v_cmpx_eq_u32_e32 0, v5
	s_cbranch_execz .LBB8_280
; %bb.279:                              ;   in Loop: Header=BB8_195 Depth=2
	s_bcnt1_i32_b32 s21, s21
	s_delay_alu instid0(SALU_CYCLE_1)
	v_mov_b32_e32 v5, s21
	ds_add_u64 v0, v[5:6]
	s_cbranch_execnz .LBB8_435
.LBB8_280:                              ;   in Loop: Header=BB8_195 Depth=2
	s_or_b32 exec_lo, exec_lo, s20
	s_cbranch_execnz .LBB8_423
; %bb.281:                              ;   in Loop: Header=BB8_195 Depth=2
	ds_load_b64 v[17:18], v0
	v_add_co_u32 v2, vcc_lo, v2, v113
	v_add_co_ci_u32_e32 v3, vcc_lo, v3, v115, vcc_lo
	s_mov_b32 s20, exec_lo
	s_waitcnt lgkmcnt(0)
	s_delay_alu instid0(VALU_DEP_1)
	v_cmpx_lt_u64_e64 v[17:18], v[2:3]
	s_cbranch_execz .LBB8_292
; %bb.282:                              ;   in Loop: Header=BB8_195 Depth=2
	s_mov_b32 s21, 0
	s_mov_b32 s24, 0
                                        ; implicit-def: $sgpr22
                                        ; implicit-def: $sgpr23
	s_branch .LBB8_284
.LBB8_283:                              ;   in Loop: Header=BB8_284 Depth=3
	s_or_b32 exec_lo, exec_lo, s27
	s_delay_alu instid0(SALU_CYCLE_1) | instskip(NEXT) | instid1(SALU_CYCLE_1)
	s_and_b32 s25, exec_lo, s26
	s_or_b32 s21, s25, s21
	s_and_not1_b32 s22, s22, exec_lo
	s_and_b32 s25, s23, exec_lo
	s_delay_alu instid0(SALU_CYCLE_1)
	s_or_b32 s22, s22, s25
	s_and_not1_b32 exec_lo, exec_lo, s21
	s_cbranch_execz .LBB8_290
.LBB8_284:                              ;   Parent Loop BB8_66 Depth=1
                                        ;     Parent Loop BB8_195 Depth=2
                                        ; =>    This Inner Loop Header: Depth=3
	s_add_i32 s24, s24, 1
                                        ; implicit-def: $sgpr26
	s_delay_alu instid0(SALU_CYCLE_1) | instskip(SKIP_1) | instid1(SALU_CYCLE_1)
	s_cmpk_lg_i32 s24, 0x2710
	s_cselect_b32 s25, -1, 0
	s_and_b32 vcc_lo, exec_lo, s25
	s_cbranch_vccz .LBB8_288
.LBB8_285:                              ;   in Loop: Header=BB8_284 Depth=3
	s_and_not1_b32 s23, s23, exec_lo
	s_and_b32 s27, s26, exec_lo
	s_mov_b32 s26, -1
	s_or_b32 s23, s23, s27
	s_and_saveexec_b32 s27, s25
	s_cbranch_execz .LBB8_283
; %bb.286:                              ;   in Loop: Header=BB8_284 Depth=3
	s_sleep 1
	s_cbranch_execnz .LBB8_453
; %bb.287:                              ;   in Loop: Header=BB8_284 Depth=3
	ds_load_b64 v[17:18], v0
	s_and_not1_b32 s23, s23, exec_lo
	s_waitcnt lgkmcnt(0)
	v_cmp_ge_u64_e32 vcc_lo, v[17:18], v[2:3]
	s_or_not1_b32 s26, vcc_lo, exec_lo
	s_branch .LBB8_283
.LBB8_288:                              ;   in Loop: Header=BB8_284 Depth=3
	s_cbranch_execnz .LBB8_455
; %bb.289:                              ;   in Loop: Header=BB8_284 Depth=3
	ds_load_b64 v[17:18], v0
	s_and_not1_b32 s25, s25, exec_lo
	s_mov_b32 s24, 0
	s_mov_b32 s26, -1
	s_waitcnt lgkmcnt(0)
	flat_load_b32 v5, v[17:18] glc
	s_waitcnt vmcnt(0) lgkmcnt(0)
	buffer_gl1_inv
	buffer_gl0_inv
	v_cmp_eq_u32_e32 vcc_lo, 0, v5
	s_and_b32 s27, vcc_lo, exec_lo
	s_delay_alu instid0(SALU_CYCLE_1)
	s_or_b32 s25, s25, s27
	s_branch .LBB8_285
.LBB8_290:                              ;   in Loop: Header=BB8_195 Depth=2
	s_or_b32 exec_lo, exec_lo, s21
	s_and_saveexec_b32 s21, s22
	s_delay_alu instid0(SALU_CYCLE_1)
	s_xor_b32 s21, exec_lo, s21
	s_cbranch_execz .LBB8_292
; %bb.291:                              ;   in Loop: Header=BB8_195 Depth=2
	ds_store_b32 v0, v144
	s_cbranch_execnz .LBB8_477
.LBB8_292:                              ;   in Loop: Header=BB8_195 Depth=2
	s_or_b32 exec_lo, exec_lo, s20
	;;#ASMSTART
	s_wakeup
	;;#ASMEND
.LBB8_293:                              ;   in Loop: Header=BB8_195 Depth=2
	s_or_b32 exec_lo, exec_lo, s19
.LBB8_294:                              ;   in Loop: Header=BB8_195 Depth=2
	s_and_not1_saveexec_b32 s9, s9
	s_cbranch_execz .LBB8_296
; %bb.295:                              ;   in Loop: Header=BB8_195 Depth=2
	s_waitcnt vmcnt(0) lgkmcnt(0)
	s_waitcnt_vscnt null, 0x0
	buffer_gl1_inv
	buffer_gl0_inv
	s_barrier
.LBB8_296:                              ;   in Loop: Header=BB8_195 Depth=2
	s_or_b32 exec_lo, exec_lo, s9
.LBB8_297:                              ;   in Loop: Header=BB8_195 Depth=2
	s_delay_alu instid0(SALU_CYCLE_1)
	s_or_b32 exec_lo, exec_lo, s8
	s_and_saveexec_b32 s8, s6
	s_cbranch_execz .LBB8_299
; %bb.298:                              ;   in Loop: Header=BB8_195 Depth=2
	v_add_co_u32 v50, vcc_lo, v50, 1
	v_add_co_ci_u32_e32 v51, vcc_lo, 0, v51, vcc_lo
	s_waitcnt vmcnt(0) lgkmcnt(0)
	s_waitcnt_vscnt null, 0x0
	flat_store_b64 v[38:39], v[50:51]
.LBB8_299:                              ;   in Loop: Header=BB8_195 Depth=2
	s_or_b32 exec_lo, exec_lo, s8
	v_and_b32_e32 v5, 0x7ffffff8, v82
	v_cmp_gt_i32_e64 s8, s14, v86
	s_delay_alu instid0(VALU_DEP_2) | instskip(NEXT) | instid1(VALU_DEP_2)
	v_cmp_eq_u64_e32 vcc_lo, 0x7ffffff8, v[5:6]
	s_and_b32 s8, vcc_lo, s8
	s_delay_alu instid0(SALU_CYCLE_1)
	s_and_saveexec_b32 s9, s8
	s_cbranch_execz .LBB8_302
; %bb.300:                              ;   in Loop: Header=BB8_195 Depth=2
	v_and_b32_e32 v5, 7, v150
	v_ashrrev_i32_e32 v87, 31, v86
	s_mov_b32 s19, 0
	s_delay_alu instid0(VALU_DEP_2) | instskip(SKIP_1) | instid1(VALU_DEP_2)
	v_mul_lo_u32 v17, s14, v5
	s_waitcnt vmcnt(0) lgkmcnt(0)
	v_lshlrev_b64 v[19:20], 4, v[86:87]
	v_mov_b32_e32 v5, v82
	s_delay_alu instid0(VALU_DEP_3) | instskip(NEXT) | instid1(VALU_DEP_1)
	v_ashrrev_i32_e32 v18, 31, v17
	v_lshlrev_b64 v[17:18], 4, v[17:18]
	s_delay_alu instid0(VALU_DEP_1) | instskip(NEXT) | instid1(VALU_DEP_2)
	v_add_co_u32 v19, vcc_lo, v19, v17
	v_add_co_ci_u32_e32 v20, vcc_lo, v20, v18, vcc_lo
	v_add_co_u32 v17, vcc_lo, 0, 0
	v_add_co_ci_u32_e32 v18, vcc_lo, 1, v5, vcc_lo
	s_delay_alu instid0(VALU_DEP_4) | instskip(NEXT) | instid1(VALU_DEP_4)
	v_add_co_u32 v21, vcc_lo, v48, v19
	v_add_co_ci_u32_e32 v22, vcc_lo, v49, v20, vcc_lo
.LBB8_301:                              ;   Parent Loop BB8_66 Depth=1
                                        ;     Parent Loop BB8_195 Depth=2
                                        ; =>    This Inner Loop Header: Depth=3
	s_delay_alu instid0(VALU_DEP_4) | instskip(NEXT) | instid1(VALU_DEP_4)
	v_dual_mov_b32 v19, v17 :: v_dual_add_nc_u32 v86, v86, v1
	v_mov_b32_e32 v20, v18
	s_delay_alu instid0(VALU_DEP_2) | instskip(SKIP_2) | instid1(VALU_DEP_1)
	v_cmp_le_i32_e32 vcc_lo, s14, v86
	global_store_b128 v[21:22], v[17:20], off
	v_add_co_u32 v21, s8, v21, v70
	v_add_co_ci_u32_e64 v22, s8, v22, v71, s8
	s_or_b32 s19, vcc_lo, s19
	s_delay_alu instid0(SALU_CYCLE_1)
	s_and_not1_b32 exec_lo, exec_lo, s19
	s_cbranch_execnz .LBB8_301
.LBB8_302:                              ;   in Loop: Header=BB8_195 Depth=2
	s_or_b32 exec_lo, exec_lo, s9
	v_add_co_u32 v34, vcc_lo, v34, 1
	v_add_co_ci_u32_e32 v35, vcc_lo, 0, v35, vcc_lo
	v_add_co_u32 v82, vcc_lo, v82, 1
	v_add_co_ci_u32_e32 v83, vcc_lo, 0, v83, vcc_lo
	v_add_nc_u16 v150, v150, 1
	s_add_i32 s8, s18, 1
	s_cmp_eq_u32 s18, s17
	s_cbranch_scc1 .LBB8_304
; %bb.303:                              ;   in Loop: Header=BB8_195 Depth=2
	s_mov_b32 s18, s8
	s_branch .LBB8_195
.LBB8_304:                              ;   in Loop: Header=BB8_66 Depth=1
	v_mov_b32_e32 v5, v149
.LBB8_305:                              ;   in Loop: Header=BB8_66 Depth=1
	v_dual_mov_b32 v21, v82 :: v_dual_mov_b32 v22, v83
	s_mov_b32 s9, exec_lo
	s_delay_alu instid0(VALU_DEP_2)
	v_cmpx_lt_i32_e32 0, v5
	s_cbranch_execz .LBB8_345
; %bb.306:                              ;   in Loop: Header=BB8_66 Depth=1
	flat_load_b32 v82, v[25:26] offset:4
	s_waitcnt vmcnt(1) lgkmcnt(1)
	v_add_co_u32 v19, vcc_lo, v9, v146
	v_and_b32_e32 v17, 7, v34
	v_add_co_ci_u32_e32 v20, vcc_lo, v10, v147, vcc_lo
	v_add_nc_u32_e32 v87, 1, v34
	s_mov_b32 s18, 0
	s_waitcnt vmcnt(0) lgkmcnt(0)
	v_ashrrev_i32_e32 v83, 31, v82
	v_mul_lo_u32 v84, v102, v82
	v_mad_u64_u32 v[23:24], null, v0, v82, v[19:20]
	v_mov_b32_e32 v82, v4
	v_mul_lo_u32 v17, v17, s14
	v_mul_lo_u32 v19, v0, v83
	s_delay_alu instid0(VALU_DEP_2) | instskip(NEXT) | instid1(VALU_DEP_2)
	v_ashrrev_i32_e32 v18, 31, v17
	v_add3_u32 v19, v84, v24, v19
	s_delay_alu instid0(VALU_DEP_2) | instskip(NEXT) | instid1(VALU_DEP_1)
	v_lshlrev_b64 v[17:18], 4, v[17:18]
	v_add_co_u32 v96, vcc_lo, v32, v17
	s_delay_alu instid0(VALU_DEP_2)
	v_add_co_ci_u32_e32 v97, vcc_lo, v33, v18, vcc_lo
	v_add_co_u32 v23, vcc_lo, v23, v114
	v_add_co_ci_u32_e32 v24, vcc_lo, v19, v116, vcc_lo
	s_branch .LBB8_308
.LBB8_307:                              ;   in Loop: Header=BB8_308 Depth=2
	v_sub_nc_u32_e32 v5, v5, v117
	v_add_co_u32 v23, s7, v23, v117
	s_delay_alu instid0(VALU_DEP_1) | instskip(NEXT) | instid1(VALU_DEP_3)
	v_add_co_ci_u32_e64 v24, s7, v24, v128, s7
	v_cmp_gt_i32_e32 vcc_lo, 1, v5
	v_add_nc_u32_e32 v82, v82, v1
	s_or_b32 s18, vcc_lo, s18
	s_delay_alu instid0(SALU_CYCLE_1)
	s_and_not1_b32 exec_lo, exec_lo, s18
	s_cbranch_execz .LBB8_344
.LBB8_308:                              ;   Parent Loop BB8_66 Depth=1
                                        ; =>  This Loop Header: Depth=2
                                        ;       Child Loop BB8_312 Depth 3
	s_delay_alu instid0(VALU_DEP_1) | instskip(NEXT) | instid1(VALU_DEP_1)
	v_ashrrev_i32_e32 v83, 31, v82
	v_lshlrev_b64 v[17:18], 4, v[82:83]
	s_delay_alu instid0(VALU_DEP_1) | instskip(NEXT) | instid1(VALU_DEP_2)
	v_add_co_u32 v85, vcc_lo, v96, v17
	v_add_co_ci_u32_e32 v86, vcc_lo, v97, v18, vcc_lo
	;;#ASMSTART
	global_load_b128 v[17:20], v[85:86], off glc slc dlc
s_waitcnt vmcnt(0)

	;;#ASMEND
	v_lshrrev_b64 v[83:84], 24, v[17:18]
	v_cmp_eq_u32_e32 vcc_lo, 0, v145
	v_lshrrev_b32_e32 v98, 8, v17
	v_lshrrev_b32_e32 v84, 16, v17
	s_and_saveexec_b32 s19, vcc_lo
	s_cbranch_execz .LBB8_326
; %bb.309:                              ;   in Loop: Header=BB8_308 Depth=2
	v_cmp_ne_u32_e64 s7, v87, v18
	v_cmp_ne_u32_e64 s8, v87, v20
	v_mov_b32_e32 v145, 0
	s_delay_alu instid0(VALU_DEP_2) | instskip(NEXT) | instid1(SALU_CYCLE_1)
	s_or_b32 s7, s7, s8
	s_and_saveexec_b32 s8, s7
	s_cbranch_execz .LBB8_325
; %bb.310:                              ;   in Loop: Header=BB8_308 Depth=2
	v_cndmask_b32_e64 v83, 0, 1, vcc_lo
	s_mov_b32 s20, 0
                                        ; implicit-def: $sgpr21
                                        ; implicit-def: $sgpr22
	s_branch .LBB8_312
.LBB8_311:                              ;   in Loop: Header=BB8_312 Depth=3
	s_or_b32 exec_lo, exec_lo, s23
	s_delay_alu instid0(SALU_CYCLE_1) | instskip(NEXT) | instid1(SALU_CYCLE_1)
	s_and_b32 s7, exec_lo, s7
	s_or_b32 s20, s7, s20
	s_and_not1_b32 s7, s21, exec_lo
	s_and_b32 s21, s22, exec_lo
	s_delay_alu instid0(SALU_CYCLE_1)
	s_or_b32 s21, s7, s21
	s_and_not1_b32 exec_lo, exec_lo, s20
	s_cbranch_execz .LBB8_320
.LBB8_312:                              ;   Parent Loop BB8_66 Depth=1
                                        ;     Parent Loop BB8_308 Depth=2
                                        ; =>    This Inner Loop Header: Depth=3
	s_delay_alu instid0(VALU_DEP_1)
	v_add_nc_u32_e32 v83, 1, v83
	v_mov_b32_e32 v145, 0
	s_mov_b32 s7, -1
	s_mov_b32 s24, -1
	s_mov_b32 s23, exec_lo
	;;#ASMSTART
	global_load_b128 v[17:20], v[85:86], off glc slc dlc
s_waitcnt vmcnt(0)

	;;#ASMEND
	v_cmpx_eq_u32_e32 0x2710, v83
	s_cbranch_execz .LBB8_318
; %bb.313:                              ;   in Loop: Header=BB8_312 Depth=3
	s_cbranch_execnz .LBB8_388
; %bb.314:                              ;   in Loop: Header=BB8_312 Depth=3
	ds_load_b64 v[83:84], v0
	v_mov_b32_e32 v145, 0
	s_mov_b32 s25, -1
	s_mov_b32 s24, exec_lo
	s_waitcnt lgkmcnt(0)
	s_waitcnt_vscnt null, 0x0
	flat_load_b32 v84, v[83:84] glc
	s_waitcnt vmcnt(0) lgkmcnt(0)
	buffer_gl1_inv
	buffer_gl0_inv
	v_mov_b32_e32 v83, 0
	v_cmpx_ne_u32_e32 0, v84
	s_cbranch_execz .LBB8_317
; %bb.315:                              ;   in Loop: Header=BB8_312 Depth=3
	ds_store_b32 v0, v84
	s_cbranch_execnz .LBB8_400
; %bb.316:                              ;   in Loop: Header=BB8_312 Depth=3
	v_mov_b32_e32 v145, 1
	s_xor_b32 s25, exec_lo, -1
.LBB8_317:                              ;   in Loop: Header=BB8_312 Depth=3
	s_or_b32 exec_lo, exec_lo, s24
	s_delay_alu instid0(SALU_CYCLE_1)
	s_or_not1_b32 s24, s25, exec_lo
.LBB8_318:                              ;   in Loop: Header=BB8_312 Depth=3
	s_or_b32 exec_lo, exec_lo, s23
	s_delay_alu instid0(SALU_CYCLE_1)
	s_or_b32 s22, s22, exec_lo
	s_and_saveexec_b32 s23, s24
	s_cbranch_execz .LBB8_311
; %bb.319:                              ;   in Loop: Header=BB8_312 Depth=3
	v_cmp_eq_u32_e32 vcc_lo, v87, v18
	v_cmp_eq_u32_e64 s7, v87, v20
	s_and_not1_b32 s22, s22, exec_lo
	s_delay_alu instid0(VALU_DEP_1) | instskip(NEXT) | instid1(SALU_CYCLE_1)
	s_and_b32 s7, vcc_lo, s7
	s_or_not1_b32 s7, s7, exec_lo
	s_branch .LBB8_311
.LBB8_320:                              ;   in Loop: Header=BB8_308 Depth=2
	s_or_b32 exec_lo, exec_lo, s20
	s_xor_b32 s7, s21, -1
                                        ; implicit-def: $vgpr83
                                        ; implicit-def: $vgpr84
                                        ; implicit-def: $vgpr98
	s_delay_alu instid0(SALU_CYCLE_1) | instskip(NEXT) | instid1(SALU_CYCLE_1)
	s_and_saveexec_b32 s20, s7
	s_xor_b32 s7, exec_lo, s20
; %bb.321:                              ;   in Loop: Header=BB8_308 Depth=2
	v_lshrrev_b64 v[83:84], 24, v[17:18]
	v_lshrrev_b32_e32 v98, 8, v17
	v_lshrrev_b32_e32 v84, 16, v17
; %bb.322:                              ;   in Loop: Header=BB8_308 Depth=2
	s_and_not1_saveexec_b32 s7, s7
; %bb.323:                              ;   in Loop: Header=BB8_308 Depth=2
	v_lshrrev_b64 v[83:84], 24, v[17:18]
	v_lshrrev_b32_e32 v98, 8, v17
	v_lshrrev_b32_e32 v84, 16, v17
; %bb.324:                              ;   in Loop: Header=BB8_308 Depth=2
	s_or_b32 exec_lo, exec_lo, s7
.LBB8_325:                              ;   in Loop: Header=BB8_308 Depth=2
	s_delay_alu instid0(SALU_CYCLE_1)
	s_or_b32 exec_lo, exec_lo, s8
.LBB8_326:                              ;   in Loop: Header=BB8_308 Depth=2
	s_delay_alu instid0(SALU_CYCLE_1) | instskip(SKIP_3) | instid1(VALU_DEP_1)
	s_or_b32 exec_lo, exec_lo, s19
	v_cmp_lt_u32_e32 vcc_lo, 7, v5
	v_cndmask_b32_e64 v18, 0, 1, vcc_lo
	;;#ASMSTART
	;;#ASMEND
	v_cmp_ne_u32_e64 s7, 0, v18
	s_delay_alu instid0(VALU_DEP_1)
	s_cmp_lg_u32 s7, exec_lo
	s_mov_b32 s7, -1
	s_cbranch_scc0 .LBB8_342
; %bb.327:                              ;   in Loop: Header=BB8_308 Depth=2
	s_mov_b32 s8, exec_lo
	flat_store_b8 v[23:24], v17
	v_cmpx_ne_u32_e32 1, v5
	s_cbranch_execz .LBB8_329
; %bb.328:                              ;   in Loop: Header=BB8_308 Depth=2
	flat_store_b8 v[23:24], v98 offset:1
.LBB8_329:                              ;   in Loop: Header=BB8_308 Depth=2
	s_or_b32 exec_lo, exec_lo, s8
	s_delay_alu instid0(SALU_CYCLE_1)
	s_mov_b32 s8, exec_lo
	v_cmpx_lt_u32_e32 2, v5
	s_cbranch_execz .LBB8_331
; %bb.330:                              ;   in Loop: Header=BB8_308 Depth=2
	flat_store_b8 v[23:24], v84 offset:2
.LBB8_331:                              ;   in Loop: Header=BB8_308 Depth=2
	s_or_b32 exec_lo, exec_lo, s8
	s_delay_alu instid0(SALU_CYCLE_1)
	s_mov_b32 s8, exec_lo
	v_cmpx_lt_u32_e32 3, v5
	;; [unrolled: 8-line block ×4, first 2 shown]
	s_cbranch_execz .LBB8_337
; %bb.336:                              ;   in Loop: Header=BB8_308 Depth=2
	v_lshrrev_b32_e32 v18, 8, v19
	flat_store_b8 v[23:24], v18 offset:5
.LBB8_337:                              ;   in Loop: Header=BB8_308 Depth=2
	s_or_b32 exec_lo, exec_lo, s8
	s_delay_alu instid0(SALU_CYCLE_1)
	s_mov_b32 s8, exec_lo
	v_cmpx_lt_u32_e32 6, v5
	s_cbranch_execz .LBB8_339
; %bb.338:                              ;   in Loop: Header=BB8_308 Depth=2
	flat_store_d16_hi_b8 v[23:24], v19 offset:6
.LBB8_339:                              ;   in Loop: Header=BB8_308 Depth=2
	s_or_b32 exec_lo, exec_lo, s8
	s_and_saveexec_b32 s7, vcc_lo
	s_cbranch_execz .LBB8_341
; %bb.340:                              ;   in Loop: Header=BB8_308 Depth=2
	v_lshrrev_b32_e32 v18, 24, v19
	flat_store_b8 v[23:24], v18 offset:7
.LBB8_341:                              ;   in Loop: Header=BB8_308 Depth=2
	s_or_b32 exec_lo, exec_lo, s7
	s_mov_b32 s7, 0
.LBB8_342:                              ;   in Loop: Header=BB8_308 Depth=2
	s_delay_alu instid0(SALU_CYCLE_1)
	s_and_b32 vcc_lo, exec_lo, s7
	s_cbranch_vccz .LBB8_307
; %bb.343:                              ;   in Loop: Header=BB8_308 Depth=2
	v_mov_b32_e32 v18, v19
	global_store_b64 v[23:24], v[17:18], off
	s_branch .LBB8_307
.LBB8_344:                              ;   in Loop: Header=BB8_66 Depth=1
	s_or_b32 exec_lo, exec_lo, s18
.LBB8_345:                              ;   in Loop: Header=BB8_66 Depth=1
	s_delay_alu instid0(SALU_CYCLE_1)
	s_or_b32 exec_lo, exec_lo, s9
	s_and_saveexec_b32 s7, s3
	s_cbranch_execz .LBB8_367
; %bb.346:                              ;   in Loop: Header=BB8_66 Depth=1
	s_and_saveexec_b32 s8, s4
	s_delay_alu instid0(SALU_CYCLE_1)
	s_xor_b32 s8, exec_lo, s8
	s_cbranch_execz .LBB8_364
; %bb.347:                              ;   in Loop: Header=BB8_66 Depth=1
	s_and_saveexec_b32 s9, s5
	s_cbranch_execz .LBB8_363
; %bb.348:                              ;   in Loop: Header=BB8_66 Depth=1
	s_mov_b32 s19, exec_lo
	s_mov_b32 s18, exec_lo
	v_mbcnt_lo_u32_b32 v5, s19, 0
	s_waitcnt vmcnt(0) lgkmcnt(0)
	s_waitcnt_vscnt null, 0x0
	buffer_gl1_inv
	buffer_gl0_inv
	v_cmpx_eq_u32_e32 0, v5
	s_cbranch_execz .LBB8_350
; %bb.349:                              ;   in Loop: Header=BB8_66 Depth=1
	s_bcnt1_i32_b32 s19, s19
	s_delay_alu instid0(SALU_CYCLE_1)
	v_mov_b32_e32 v5, s19
	ds_add_u64 v0, v[5:6]
	s_cbranch_execnz .LBB8_441
.LBB8_350:                              ;   in Loop: Header=BB8_66 Depth=1
	s_or_b32 exec_lo, exec_lo, s18
	s_cbranch_execnz .LBB8_429
; %bb.351:                              ;   in Loop: Header=BB8_66 Depth=1
	ds_load_b64 v[17:18], v0
	v_add_co_u32 v2, vcc_lo, v2, v113
	v_add_co_ci_u32_e32 v3, vcc_lo, v3, v115, vcc_lo
	s_mov_b32 s18, exec_lo
	s_waitcnt lgkmcnt(0)
	s_delay_alu instid0(VALU_DEP_1)
	v_cmpx_lt_u64_e64 v[17:18], v[2:3]
	s_cbranch_execz .LBB8_362
; %bb.352:                              ;   in Loop: Header=BB8_66 Depth=1
	s_mov_b32 s19, 0
	s_mov_b32 s22, 0
                                        ; implicit-def: $sgpr20
                                        ; implicit-def: $sgpr21
	s_branch .LBB8_354
.LBB8_353:                              ;   in Loop: Header=BB8_354 Depth=2
	s_or_b32 exec_lo, exec_lo, s25
	s_delay_alu instid0(SALU_CYCLE_1) | instskip(NEXT) | instid1(SALU_CYCLE_1)
	s_and_b32 s23, exec_lo, s24
	s_or_b32 s19, s23, s19
	s_and_not1_b32 s20, s20, exec_lo
	s_and_b32 s23, s21, exec_lo
	s_delay_alu instid0(SALU_CYCLE_1)
	s_or_b32 s20, s20, s23
	s_and_not1_b32 exec_lo, exec_lo, s19
	s_cbranch_execz .LBB8_360
.LBB8_354:                              ;   Parent Loop BB8_66 Depth=1
                                        ; =>  This Inner Loop Header: Depth=2
	s_add_i32 s22, s22, 1
                                        ; implicit-def: $sgpr24
	s_delay_alu instid0(SALU_CYCLE_1) | instskip(SKIP_1) | instid1(SALU_CYCLE_1)
	s_cmpk_lg_i32 s22, 0x2710
	s_cselect_b32 s23, -1, 0
	s_and_b32 vcc_lo, exec_lo, s23
	s_cbranch_vccz .LBB8_358
.LBB8_355:                              ;   in Loop: Header=BB8_354 Depth=2
	s_and_not1_b32 s21, s21, exec_lo
	s_and_b32 s25, s24, exec_lo
	s_mov_b32 s24, -1
	s_or_b32 s21, s21, s25
	s_and_saveexec_b32 s25, s23
	s_cbranch_execz .LBB8_353
; %bb.356:                              ;   in Loop: Header=BB8_354 Depth=2
	s_sleep 1
	s_cbranch_execnz .LBB8_457
; %bb.357:                              ;   in Loop: Header=BB8_354 Depth=2
	ds_load_b64 v[17:18], v0
	s_and_not1_b32 s21, s21, exec_lo
	s_waitcnt lgkmcnt(0)
	v_cmp_ge_u64_e32 vcc_lo, v[17:18], v[2:3]
	s_or_not1_b32 s24, vcc_lo, exec_lo
	s_branch .LBB8_353
.LBB8_358:                              ;   in Loop: Header=BB8_354 Depth=2
	s_cbranch_execnz .LBB8_459
; %bb.359:                              ;   in Loop: Header=BB8_354 Depth=2
	ds_load_b64 v[17:18], v0
	s_and_not1_b32 s23, s23, exec_lo
	s_mov_b32 s22, 0
	s_mov_b32 s24, -1
	s_waitcnt lgkmcnt(0)
	flat_load_b32 v5, v[17:18] glc
	s_waitcnt vmcnt(0) lgkmcnt(0)
	buffer_gl1_inv
	buffer_gl0_inv
	v_cmp_eq_u32_e32 vcc_lo, 0, v5
	s_and_b32 s25, vcc_lo, exec_lo
	s_delay_alu instid0(SALU_CYCLE_1)
	s_or_b32 s23, s23, s25
	s_branch .LBB8_355
.LBB8_360:                              ;   in Loop: Header=BB8_66 Depth=1
	s_or_b32 exec_lo, exec_lo, s19
	s_and_saveexec_b32 s19, s20
	s_delay_alu instid0(SALU_CYCLE_1)
	s_xor_b32 s19, exec_lo, s19
	s_cbranch_execz .LBB8_362
; %bb.361:                              ;   in Loop: Header=BB8_66 Depth=1
	ds_store_b32 v0, v144
	s_cbranch_execnz .LBB8_479
.LBB8_362:                              ;   in Loop: Header=BB8_66 Depth=1
	s_or_b32 exec_lo, exec_lo, s18
	;;#ASMSTART
	s_wakeup
	;;#ASMEND
.LBB8_363:                              ;   in Loop: Header=BB8_66 Depth=1
	s_or_b32 exec_lo, exec_lo, s9
.LBB8_364:                              ;   in Loop: Header=BB8_66 Depth=1
	s_and_not1_saveexec_b32 s8, s8
	s_cbranch_execz .LBB8_366
; %bb.365:                              ;   in Loop: Header=BB8_66 Depth=1
	s_waitcnt vmcnt(0) lgkmcnt(0)
	s_waitcnt_vscnt null, 0x0
	buffer_gl1_inv
	buffer_gl0_inv
	s_barrier
.LBB8_366:                              ;   in Loop: Header=BB8_66 Depth=1
	s_or_b32 exec_lo, exec_lo, s8
.LBB8_367:                              ;   in Loop: Header=BB8_66 Depth=1
	s_delay_alu instid0(SALU_CYCLE_1)
	s_or_b32 exec_lo, exec_lo, s7
	s_and_saveexec_b32 s7, s6
	s_cbranch_execz .LBB8_369
; %bb.368:                              ;   in Loop: Header=BB8_66 Depth=1
	v_add_co_u32 v50, vcc_lo, v50, 1
	v_add_co_ci_u32_e32 v51, vcc_lo, 0, v51, vcc_lo
	s_waitcnt vmcnt(0) lgkmcnt(0)
	s_waitcnt_vscnt null, 0x0
	flat_store_b64 v[38:39], v[50:51]
.LBB8_369:                              ;   in Loop: Header=BB8_66 Depth=1
	s_or_b32 exec_lo, exec_lo, s7
	v_add_co_u32 v34, vcc_lo, v34, 1
	v_add_co_ci_u32_e32 v35, vcc_lo, 0, v35, vcc_lo
	v_add_co_u32 v68, vcc_lo, v68, v112
	v_add_co_ci_u32_e32 v69, vcc_lo, 0, v69, vcc_lo
	;; [unrolled: 2-line block ×3, first 2 shown]
	s_delay_alu instid0(VALU_DEP_3) | instskip(SKIP_4) | instid1(SALU_CYCLE_1)
	v_cmp_ge_u64_e32 vcc_lo, v[68:69], v[7:8]
	v_add_co_u32 v66, s7, v66, v112
	v_add_nc_u32_e32 v131, v131, v132
	v_add_co_ci_u32_e64 v67, s7, 0, v67, s7
	s_or_b32 s15, vcc_lo, s15
	s_and_not1_b32 exec_lo, exec_lo, s15
	s_cbranch_execnz .LBB8_66
; %bb.370:
	s_or_b32 exec_lo, exec_lo, s15
.LBB8_371:
	s_delay_alu instid0(SALU_CYCLE_1)
	s_or_b32 exec_lo, exec_lo, s13
; %bb.372:
	s_and_saveexec_b32 s1, s12
	s_cbranch_execz .LBB8_374
; %bb.373:
	s_waitcnt lgkmcnt(0)
	flat_store_b64 v[29:30], v[50:51] offset:104
.LBB8_374:
	s_or_b32 exec_lo, exec_lo, s1
	s_and_saveexec_b32 s1, s0
	s_cbranch_execz .LBB8_376
; %bb.375:
	s_waitcnt lgkmcnt(0)
	flat_store_b64 v[36:37], v[15:16] offset:104
.LBB8_376:
	s_or_b32 exec_lo, exec_lo, s1
	s_delay_alu instid0(SALU_CYCLE_1)
	s_mov_b32 s0, exec_lo
	v_cmpx_ne_u32_e32 32, v1
	s_cbranch_execz .LBB8_467
; %bb.377:
	s_mov_b32 s1, exec_lo
	v_cmpx_ne_u32_e64 v103, v1
	s_xor_b32 s1, exec_lo, s1
	s_cbranch_execz .LBB8_465
; %bb.378:
	v_and_b32_e32 v0, 31, v31
	s_mov_b32 s2, exec_lo
	s_delay_alu instid0(VALU_DEP_1)
	v_cmpx_eq_u32_e32 0, v0
	s_cbranch_execz .LBB8_464
; %bb.379:
	s_mov_b32 s4, exec_lo
	s_mov_b32 s3, exec_lo
	v_mbcnt_lo_u32_b32 v0, s4, 0
	s_waitcnt vmcnt(0) lgkmcnt(0)
	s_waitcnt_vscnt null, 0x0
	buffer_gl1_inv
	buffer_gl0_inv
	v_cmpx_eq_u32_e32 0, v0
	s_cbranch_execz .LBB8_381
; %bb.380:
	s_bcnt1_i32_b32 s4, s4
	s_delay_alu instid0(SALU_CYCLE_1)
	v_dual_mov_b32 v5, 0 :: v_dual_mov_b32 v4, s4
	ds_add_u64 v0, v[4:5]
	s_cbranch_execnz .LBB8_411
.LBB8_381:
	s_or_b32 exec_lo, exec_lo, s3
	s_cbranch_execnz .LBB8_398
; %bb.382:
	v_ashrrev_i32_e32 v0, 31, v1
	s_mov_b32 s3, exec_lo
	s_delay_alu instid0(VALU_DEP_1) | instskip(NEXT) | instid1(VALU_DEP_1)
	v_lshrrev_b32_e32 v0, 27, v0
	v_add_nc_u32_e32 v0, v1, v0
	ds_load_b64 v[4:5], v0
	v_ashrrev_i32_e32 v0, 5, v0
	s_delay_alu instid0(VALU_DEP_1) | instskip(SKIP_1) | instid1(VALU_DEP_2)
	v_ashrrev_i32_e32 v1, 31, v0
	v_add_co_u32 v0, vcc_lo, v2, v0
	v_add_co_ci_u32_e32 v1, vcc_lo, v3, v1, vcc_lo
	s_waitcnt lgkmcnt(0)
	s_delay_alu instid0(VALU_DEP_1)
	v_cmpx_lt_u64_e64 v[4:5], v[0:1]
	s_cbranch_execz .LBB8_463
; %bb.383:
	s_mov_b32 s4, 0
	s_mov_b32 s7, 0
                                        ; implicit-def: $sgpr5
                                        ; implicit-def: $sgpr6
	s_branch .LBB8_403
.LBB8_384:
	s_trap 2
	s_sendmsg_rtn_b32 s0, sendmsg(MSG_RTN_GET_DOORBELL)
	s_mov_b32 ttmp2, m0
	s_waitcnt lgkmcnt(0)
	s_and_b32 s0, s0, 0x3ff
	s_delay_alu instid0(SALU_CYCLE_1) | instskip(NEXT) | instid1(SALU_CYCLE_1)
	s_bitset1_b32 s0, 10
	s_mov_b32 m0, s0
	s_sendmsg sendmsg(MSG_INTERRUPT)
	s_mov_b32 m0, ttmp2
.LBB8_385:                              ; =>This Inner Loop Header: Depth=1
	s_sethalt 5
	s_branch .LBB8_385
.LBB8_386:
	s_trap 2
	s_sendmsg_rtn_b32 s0, sendmsg(MSG_RTN_GET_DOORBELL)
	s_mov_b32 ttmp2, m0
	s_waitcnt lgkmcnt(0)
	s_and_b32 s0, s0, 0x3ff
	s_delay_alu instid0(SALU_CYCLE_1) | instskip(NEXT) | instid1(SALU_CYCLE_1)
	s_bitset1_b32 s0, 10
	s_mov_b32 m0, s0
	s_sendmsg sendmsg(MSG_INTERRUPT)
	s_mov_b32 m0, ttmp2
.LBB8_387:                              ; =>This Inner Loop Header: Depth=1
	s_sethalt 5
	s_branch .LBB8_387
.LBB8_388:
	s_trap 2
	s_sendmsg_rtn_b32 s0, sendmsg(MSG_RTN_GET_DOORBELL)
	s_mov_b32 ttmp2, m0
	s_waitcnt lgkmcnt(0)
	s_and_b32 s0, s0, 0x3ff
	s_delay_alu instid0(SALU_CYCLE_1) | instskip(NEXT) | instid1(SALU_CYCLE_1)
	s_bitset1_b32 s0, 10
	s_mov_b32 m0, s0
	s_sendmsg sendmsg(MSG_INTERRUPT)
	s_mov_b32 m0, ttmp2
.LBB8_389:                              ; =>This Inner Loop Header: Depth=1
	s_sethalt 5
	s_branch .LBB8_389
.LBB8_390:
	s_trap 2
	s_sendmsg_rtn_b32 s0, sendmsg(MSG_RTN_GET_DOORBELL)
	s_mov_b32 ttmp2, m0
	s_waitcnt lgkmcnt(0)
	s_and_b32 s0, s0, 0x3ff
	s_delay_alu instid0(SALU_CYCLE_1) | instskip(NEXT) | instid1(SALU_CYCLE_1)
	s_bitset1_b32 s0, 10
	s_mov_b32 m0, s0
	s_sendmsg sendmsg(MSG_INTERRUPT)
	s_mov_b32 m0, ttmp2
.LBB8_391:                              ; =>This Inner Loop Header: Depth=1
	s_sethalt 5
	s_branch .LBB8_391
.LBB8_392:
	s_trap 2
	s_sendmsg_rtn_b32 s0, sendmsg(MSG_RTN_GET_DOORBELL)
	s_mov_b32 ttmp2, m0
	s_waitcnt lgkmcnt(0)
	s_and_b32 s0, s0, 0x3ff
	s_delay_alu instid0(SALU_CYCLE_1) | instskip(NEXT) | instid1(SALU_CYCLE_1)
	s_bitset1_b32 s0, 10
	s_mov_b32 m0, s0
	s_sendmsg sendmsg(MSG_INTERRUPT)
	s_mov_b32 m0, ttmp2
.LBB8_393:                              ; =>This Inner Loop Header: Depth=1
	s_sethalt 5
	s_branch .LBB8_393
.LBB8_394:
	s_trap 2
	s_sendmsg_rtn_b32 s0, sendmsg(MSG_RTN_GET_DOORBELL)
	s_mov_b32 ttmp2, m0
	s_waitcnt lgkmcnt(0)
	s_and_b32 s0, s0, 0x3ff
	s_delay_alu instid0(SALU_CYCLE_1) | instskip(NEXT) | instid1(SALU_CYCLE_1)
	s_bitset1_b32 s0, 10
	s_mov_b32 m0, s0
	s_sendmsg sendmsg(MSG_INTERRUPT)
	s_mov_b32 m0, ttmp2
.LBB8_395:                              ; =>This Inner Loop Header: Depth=1
	s_sethalt 5
	s_branch .LBB8_395
.LBB8_396:
	s_trap 2
	s_sendmsg_rtn_b32 s0, sendmsg(MSG_RTN_GET_DOORBELL)
	s_mov_b32 ttmp2, m0
	s_waitcnt lgkmcnt(0)
	s_and_b32 s0, s0, 0x3ff
	s_delay_alu instid0(SALU_CYCLE_1) | instskip(NEXT) | instid1(SALU_CYCLE_1)
	s_bitset1_b32 s0, 10
	s_mov_b32 m0, s0
	s_sendmsg sendmsg(MSG_INTERRUPT)
	s_mov_b32 m0, ttmp2
.LBB8_397:                              ; =>This Inner Loop Header: Depth=1
	s_sethalt 5
	s_branch .LBB8_397
.LBB8_398:
	s_trap 2
	s_sendmsg_rtn_b32 s0, sendmsg(MSG_RTN_GET_DOORBELL)
	s_mov_b32 ttmp2, m0
	s_waitcnt lgkmcnt(0)
	s_and_b32 s0, s0, 0x3ff
	s_delay_alu instid0(SALU_CYCLE_1) | instskip(NEXT) | instid1(SALU_CYCLE_1)
	s_bitset1_b32 s0, 10
	s_mov_b32 m0, s0
	s_sendmsg sendmsg(MSG_INTERRUPT)
	s_mov_b32 m0, ttmp2
.LBB8_399:                              ; =>This Inner Loop Header: Depth=1
	s_sethalt 5
	s_branch .LBB8_399
.LBB8_400:
	s_trap 2
	s_sendmsg_rtn_b32 s0, sendmsg(MSG_RTN_GET_DOORBELL)
	s_mov_b32 ttmp2, m0
	s_waitcnt lgkmcnt(0)
	s_and_b32 s0, s0, 0x3ff
	s_delay_alu instid0(SALU_CYCLE_1) | instskip(NEXT) | instid1(SALU_CYCLE_1)
	s_bitset1_b32 s0, 10
	s_mov_b32 m0, s0
	s_sendmsg sendmsg(MSG_INTERRUPT)
	s_mov_b32 m0, ttmp2
.LBB8_401:                              ; =>This Inner Loop Header: Depth=1
	s_sethalt 5
	s_branch .LBB8_401
.LBB8_402:                              ;   in Loop: Header=BB8_403 Depth=1
	s_or_b32 exec_lo, exec_lo, s10
	s_delay_alu instid0(SALU_CYCLE_1) | instskip(NEXT) | instid1(SALU_CYCLE_1)
	s_and_b32 s8, exec_lo, s9
	s_or_b32 s4, s8, s4
	s_and_not1_b32 s5, s5, exec_lo
	s_and_b32 s8, s6, exec_lo
	s_delay_alu instid0(SALU_CYCLE_1)
	s_or_b32 s5, s5, s8
	s_and_not1_b32 exec_lo, exec_lo, s4
	s_cbranch_execz .LBB8_461
.LBB8_403:                              ; =>This Inner Loop Header: Depth=1
	s_add_i32 s7, s7, 1
                                        ; implicit-def: $sgpr9
	s_delay_alu instid0(SALU_CYCLE_1) | instskip(SKIP_1) | instid1(SALU_CYCLE_1)
	s_cmpk_lg_i32 s7, 0x2710
	s_cselect_b32 s8, -1, 0
	s_and_b32 vcc_lo, exec_lo, s8
	s_cbranch_vccz .LBB8_407
.LBB8_404:                              ;   in Loop: Header=BB8_403 Depth=1
	s_and_not1_b32 s6, s6, exec_lo
	s_and_b32 s10, s9, exec_lo
	s_mov_b32 s9, -1
	s_or_b32 s6, s6, s10
	s_and_saveexec_b32 s10, s8
	s_cbranch_execz .LBB8_402
; %bb.405:                              ;   in Loop: Header=BB8_403 Depth=1
	s_sleep 1
	s_cbranch_execnz .LBB8_431
; %bb.406:                              ;   in Loop: Header=BB8_403 Depth=1
	ds_load_b64 v[2:3], v0
	s_and_not1_b32 s6, s6, exec_lo
	s_waitcnt lgkmcnt(0)
	v_cmp_ge_u64_e32 vcc_lo, v[2:3], v[0:1]
	s_or_not1_b32 s9, vcc_lo, exec_lo
	s_branch .LBB8_402
.LBB8_407:                              ;   in Loop: Header=BB8_403 Depth=1
	s_cbranch_execnz .LBB8_437
; %bb.408:                              ;   in Loop: Header=BB8_403 Depth=1
	ds_load_b64 v[2:3], v0
	s_and_not1_b32 s8, s8, exec_lo
	s_mov_b32 s7, 0
	s_mov_b32 s9, -1
	s_waitcnt lgkmcnt(0)
	flat_load_b32 v2, v[2:3] glc
	s_waitcnt vmcnt(0) lgkmcnt(0)
	buffer_gl1_inv
	buffer_gl0_inv
	v_cmp_eq_u32_e32 vcc_lo, 0, v2
	s_and_b32 s10, vcc_lo, exec_lo
	s_delay_alu instid0(SALU_CYCLE_1)
	s_or_b32 s8, s8, s10
	s_branch .LBB8_404
.LBB8_409:
	s_trap 2
	s_sendmsg_rtn_b32 s0, sendmsg(MSG_RTN_GET_DOORBELL)
	s_mov_b32 ttmp2, m0
	s_waitcnt lgkmcnt(0)
	s_and_b32 s0, s0, 0x3ff
	s_delay_alu instid0(SALU_CYCLE_1) | instskip(NEXT) | instid1(SALU_CYCLE_1)
	s_bitset1_b32 s0, 10
	s_mov_b32 m0, s0
	s_sendmsg sendmsg(MSG_INTERRUPT)
	s_mov_b32 m0, ttmp2
.LBB8_410:                              ; =>This Inner Loop Header: Depth=1
	s_sethalt 5
	s_branch .LBB8_410
.LBB8_411:
	s_trap 2
	s_sendmsg_rtn_b32 s0, sendmsg(MSG_RTN_GET_DOORBELL)
	s_mov_b32 ttmp2, m0
	s_waitcnt lgkmcnt(0)
	s_and_b32 s0, s0, 0x3ff
	s_delay_alu instid0(SALU_CYCLE_1) | instskip(NEXT) | instid1(SALU_CYCLE_1)
	s_bitset1_b32 s0, 10
	s_mov_b32 m0, s0
	s_sendmsg sendmsg(MSG_INTERRUPT)
	s_mov_b32 m0, ttmp2
.LBB8_412:                              ; =>This Inner Loop Header: Depth=1
	s_sethalt 5
	s_branch .LBB8_412
.LBB8_413:
	s_trap 2
	s_sendmsg_rtn_b32 s0, sendmsg(MSG_RTN_GET_DOORBELL)
	s_mov_b32 ttmp2, m0
	s_waitcnt lgkmcnt(0)
	s_and_b32 s0, s0, 0x3ff
	s_delay_alu instid0(SALU_CYCLE_1) | instskip(NEXT) | instid1(SALU_CYCLE_1)
	s_bitset1_b32 s0, 10
	s_mov_b32 m0, s0
	s_sendmsg sendmsg(MSG_INTERRUPT)
	s_mov_b32 m0, ttmp2
.LBB8_414:                              ; =>This Inner Loop Header: Depth=1
	s_sethalt 5
	s_branch .LBB8_414
.LBB8_415:
	s_trap 2
	s_sendmsg_rtn_b32 s0, sendmsg(MSG_RTN_GET_DOORBELL)
	s_mov_b32 ttmp2, m0
	s_waitcnt lgkmcnt(0)
	s_and_b32 s0, s0, 0x3ff
	s_delay_alu instid0(SALU_CYCLE_1) | instskip(NEXT) | instid1(SALU_CYCLE_1)
	s_bitset1_b32 s0, 10
	s_mov_b32 m0, s0
	s_sendmsg sendmsg(MSG_INTERRUPT)
	s_mov_b32 m0, ttmp2
.LBB8_416:                              ; =>This Inner Loop Header: Depth=1
	s_sethalt 5
	s_branch .LBB8_416
.LBB8_417:
	s_trap 2
	s_sendmsg_rtn_b32 s0, sendmsg(MSG_RTN_GET_DOORBELL)
	s_mov_b32 ttmp2, m0
	s_waitcnt lgkmcnt(0)
	s_and_b32 s0, s0, 0x3ff
	s_delay_alu instid0(SALU_CYCLE_1) | instskip(NEXT) | instid1(SALU_CYCLE_1)
	s_bitset1_b32 s0, 10
	s_mov_b32 m0, s0
	s_sendmsg sendmsg(MSG_INTERRUPT)
	s_mov_b32 m0, ttmp2
.LBB8_418:                              ; =>This Inner Loop Header: Depth=1
	s_sethalt 5
	s_branch .LBB8_418
.LBB8_419:
	s_trap 2
	s_sendmsg_rtn_b32 s0, sendmsg(MSG_RTN_GET_DOORBELL)
	s_mov_b32 ttmp2, m0
	s_waitcnt lgkmcnt(0)
	s_and_b32 s0, s0, 0x3ff
	s_delay_alu instid0(SALU_CYCLE_1) | instskip(NEXT) | instid1(SALU_CYCLE_1)
	s_bitset1_b32 s0, 10
	s_mov_b32 m0, s0
	s_sendmsg sendmsg(MSG_INTERRUPT)
	s_mov_b32 m0, ttmp2
.LBB8_420:                              ; =>This Inner Loop Header: Depth=1
	s_sethalt 5
	s_branch .LBB8_420
.LBB8_421:
	s_trap 2
	s_sendmsg_rtn_b32 s0, sendmsg(MSG_RTN_GET_DOORBELL)
	s_mov_b32 ttmp2, m0
	s_waitcnt lgkmcnt(0)
	s_and_b32 s0, s0, 0x3ff
	s_delay_alu instid0(SALU_CYCLE_1) | instskip(NEXT) | instid1(SALU_CYCLE_1)
	s_bitset1_b32 s0, 10
	s_mov_b32 m0, s0
	s_sendmsg sendmsg(MSG_INTERRUPT)
	s_mov_b32 m0, ttmp2
.LBB8_422:                              ; =>This Inner Loop Header: Depth=1
	s_sethalt 5
	s_branch .LBB8_422
.LBB8_423:
	s_trap 2
	s_sendmsg_rtn_b32 s0, sendmsg(MSG_RTN_GET_DOORBELL)
	s_mov_b32 ttmp2, m0
	s_waitcnt lgkmcnt(0)
	s_and_b32 s0, s0, 0x3ff
	s_delay_alu instid0(SALU_CYCLE_1) | instskip(NEXT) | instid1(SALU_CYCLE_1)
	s_bitset1_b32 s0, 10
	s_mov_b32 m0, s0
	s_sendmsg sendmsg(MSG_INTERRUPT)
	s_mov_b32 m0, ttmp2
.LBB8_424:                              ; =>This Inner Loop Header: Depth=1
	s_sethalt 5
	s_branch .LBB8_424
.LBB8_425:
	s_trap 2
	s_sendmsg_rtn_b32 s0, sendmsg(MSG_RTN_GET_DOORBELL)
	s_mov_b32 ttmp2, m0
	s_waitcnt lgkmcnt(0)
	s_and_b32 s0, s0, 0x3ff
	s_delay_alu instid0(SALU_CYCLE_1) | instskip(NEXT) | instid1(SALU_CYCLE_1)
	s_bitset1_b32 s0, 10
	s_mov_b32 m0, s0
	s_sendmsg sendmsg(MSG_INTERRUPT)
	s_mov_b32 m0, ttmp2
.LBB8_426:                              ; =>This Inner Loop Header: Depth=1
	s_sethalt 5
	s_branch .LBB8_426
.LBB8_427:
	s_trap 2
	s_sendmsg_rtn_b32 s0, sendmsg(MSG_RTN_GET_DOORBELL)
	s_mov_b32 ttmp2, m0
	s_waitcnt lgkmcnt(0)
	s_and_b32 s0, s0, 0x3ff
	s_delay_alu instid0(SALU_CYCLE_1) | instskip(NEXT) | instid1(SALU_CYCLE_1)
	s_bitset1_b32 s0, 10
	s_mov_b32 m0, s0
	s_sendmsg sendmsg(MSG_INTERRUPT)
	s_mov_b32 m0, ttmp2
.LBB8_428:                              ; =>This Inner Loop Header: Depth=1
	s_sethalt 5
	s_branch .LBB8_428
.LBB8_429:
	s_trap 2
	s_sendmsg_rtn_b32 s0, sendmsg(MSG_RTN_GET_DOORBELL)
	s_mov_b32 ttmp2, m0
	s_waitcnt lgkmcnt(0)
	s_and_b32 s0, s0, 0x3ff
	s_delay_alu instid0(SALU_CYCLE_1) | instskip(NEXT) | instid1(SALU_CYCLE_1)
	s_bitset1_b32 s0, 10
	s_mov_b32 m0, s0
	s_sendmsg sendmsg(MSG_INTERRUPT)
	s_mov_b32 m0, ttmp2
.LBB8_430:                              ; =>This Inner Loop Header: Depth=1
	s_sethalt 5
	s_branch .LBB8_430
.LBB8_431:
	s_trap 2
	s_sendmsg_rtn_b32 s0, sendmsg(MSG_RTN_GET_DOORBELL)
	s_mov_b32 ttmp2, m0
	s_waitcnt lgkmcnt(0)
	s_and_b32 s0, s0, 0x3ff
	s_delay_alu instid0(SALU_CYCLE_1) | instskip(NEXT) | instid1(SALU_CYCLE_1)
	s_bitset1_b32 s0, 10
	s_mov_b32 m0, s0
	s_sendmsg sendmsg(MSG_INTERRUPT)
	s_mov_b32 m0, ttmp2
.LBB8_432:                              ; =>This Inner Loop Header: Depth=1
	s_sethalt 5
	s_branch .LBB8_432
.LBB8_433:
	s_trap 2
	s_sendmsg_rtn_b32 s0, sendmsg(MSG_RTN_GET_DOORBELL)
	s_mov_b32 ttmp2, m0
	s_waitcnt lgkmcnt(0)
	s_and_b32 s0, s0, 0x3ff
	s_delay_alu instid0(SALU_CYCLE_1) | instskip(NEXT) | instid1(SALU_CYCLE_1)
	s_bitset1_b32 s0, 10
	s_mov_b32 m0, s0
	s_sendmsg sendmsg(MSG_INTERRUPT)
	s_mov_b32 m0, ttmp2
.LBB8_434:                              ; =>This Inner Loop Header: Depth=1
	s_sethalt 5
	s_branch .LBB8_434
.LBB8_435:
	s_trap 2
	s_sendmsg_rtn_b32 s0, sendmsg(MSG_RTN_GET_DOORBELL)
	s_mov_b32 ttmp2, m0
	s_waitcnt lgkmcnt(0)
	s_and_b32 s0, s0, 0x3ff
	s_delay_alu instid0(SALU_CYCLE_1) | instskip(NEXT) | instid1(SALU_CYCLE_1)
	s_bitset1_b32 s0, 10
	s_mov_b32 m0, s0
	s_sendmsg sendmsg(MSG_INTERRUPT)
	s_mov_b32 m0, ttmp2
.LBB8_436:                              ; =>This Inner Loop Header: Depth=1
	s_sethalt 5
	s_branch .LBB8_436
.LBB8_437:
	s_trap 2
	s_sendmsg_rtn_b32 s0, sendmsg(MSG_RTN_GET_DOORBELL)
	s_mov_b32 ttmp2, m0
	s_waitcnt lgkmcnt(0)
	s_and_b32 s0, s0, 0x3ff
	s_delay_alu instid0(SALU_CYCLE_1) | instskip(NEXT) | instid1(SALU_CYCLE_1)
	s_bitset1_b32 s0, 10
	s_mov_b32 m0, s0
	s_sendmsg sendmsg(MSG_INTERRUPT)
	s_mov_b32 m0, ttmp2
.LBB8_438:                              ; =>This Inner Loop Header: Depth=1
	s_sethalt 5
	s_branch .LBB8_438
.LBB8_439:
	s_trap 2
	s_sendmsg_rtn_b32 s0, sendmsg(MSG_RTN_GET_DOORBELL)
	s_mov_b32 ttmp2, m0
	s_waitcnt lgkmcnt(0)
	s_and_b32 s0, s0, 0x3ff
	s_delay_alu instid0(SALU_CYCLE_1) | instskip(NEXT) | instid1(SALU_CYCLE_1)
	s_bitset1_b32 s0, 10
	s_mov_b32 m0, s0
	s_sendmsg sendmsg(MSG_INTERRUPT)
	s_mov_b32 m0, ttmp2
.LBB8_440:                              ; =>This Inner Loop Header: Depth=1
	s_sethalt 5
	s_branch .LBB8_440
.LBB8_441:
	s_trap 2
	s_sendmsg_rtn_b32 s0, sendmsg(MSG_RTN_GET_DOORBELL)
	s_mov_b32 ttmp2, m0
	s_waitcnt lgkmcnt(0)
	s_and_b32 s0, s0, 0x3ff
	s_delay_alu instid0(SALU_CYCLE_1) | instskip(NEXT) | instid1(SALU_CYCLE_1)
	s_bitset1_b32 s0, 10
	s_mov_b32 m0, s0
	s_sendmsg sendmsg(MSG_INTERRUPT)
	s_mov_b32 m0, ttmp2
.LBB8_442:                              ; =>This Inner Loop Header: Depth=1
	s_sethalt 5
	s_branch .LBB8_442
.LBB8_443:
	s_trap 2
	s_sendmsg_rtn_b32 s0, sendmsg(MSG_RTN_GET_DOORBELL)
	s_mov_b32 ttmp2, m0
	s_waitcnt lgkmcnt(0)
	s_and_b32 s0, s0, 0x3ff
	s_delay_alu instid0(SALU_CYCLE_1) | instskip(NEXT) | instid1(SALU_CYCLE_1)
	s_bitset1_b32 s0, 10
	s_mov_b32 m0, s0
	s_sendmsg sendmsg(MSG_INTERRUPT)
	s_mov_b32 m0, ttmp2
.LBB8_444:                              ; =>This Inner Loop Header: Depth=1
	s_sethalt 5
	s_branch .LBB8_444
.LBB8_445:
	s_trap 2
	s_sendmsg_rtn_b32 s0, sendmsg(MSG_RTN_GET_DOORBELL)
	s_mov_b32 ttmp2, m0
	s_waitcnt lgkmcnt(0)
	s_and_b32 s0, s0, 0x3ff
	s_delay_alu instid0(SALU_CYCLE_1) | instskip(NEXT) | instid1(SALU_CYCLE_1)
	s_bitset1_b32 s0, 10
	s_mov_b32 m0, s0
	s_sendmsg sendmsg(MSG_INTERRUPT)
	s_mov_b32 m0, ttmp2
.LBB8_446:                              ; =>This Inner Loop Header: Depth=1
	s_sethalt 5
	s_branch .LBB8_446
.LBB8_447:
	s_trap 2
	s_sendmsg_rtn_b32 s0, sendmsg(MSG_RTN_GET_DOORBELL)
	s_mov_b32 ttmp2, m0
	s_waitcnt lgkmcnt(0)
	s_and_b32 s0, s0, 0x3ff
	s_delay_alu instid0(SALU_CYCLE_1) | instskip(NEXT) | instid1(SALU_CYCLE_1)
	s_bitset1_b32 s0, 10
	s_mov_b32 m0, s0
	s_sendmsg sendmsg(MSG_INTERRUPT)
	s_mov_b32 m0, ttmp2
.LBB8_448:                              ; =>This Inner Loop Header: Depth=1
	s_sethalt 5
	s_branch .LBB8_448
.LBB8_449:
	s_trap 2
	s_sendmsg_rtn_b32 s0, sendmsg(MSG_RTN_GET_DOORBELL)
	s_mov_b32 ttmp2, m0
	s_waitcnt lgkmcnt(0)
	s_and_b32 s0, s0, 0x3ff
	s_delay_alu instid0(SALU_CYCLE_1) | instskip(NEXT) | instid1(SALU_CYCLE_1)
	s_bitset1_b32 s0, 10
	s_mov_b32 m0, s0
	s_sendmsg sendmsg(MSG_INTERRUPT)
	s_mov_b32 m0, ttmp2
.LBB8_450:                              ; =>This Inner Loop Header: Depth=1
	s_sethalt 5
	s_branch .LBB8_450
.LBB8_451:
	s_trap 2
	s_sendmsg_rtn_b32 s0, sendmsg(MSG_RTN_GET_DOORBELL)
	s_mov_b32 ttmp2, m0
	s_waitcnt lgkmcnt(0)
	s_and_b32 s0, s0, 0x3ff
	s_delay_alu instid0(SALU_CYCLE_1) | instskip(NEXT) | instid1(SALU_CYCLE_1)
	s_bitset1_b32 s0, 10
	s_mov_b32 m0, s0
	s_sendmsg sendmsg(MSG_INTERRUPT)
	s_mov_b32 m0, ttmp2
.LBB8_452:                              ; =>This Inner Loop Header: Depth=1
	s_sethalt 5
	s_branch .LBB8_452
.LBB8_453:
	s_trap 2
	s_sendmsg_rtn_b32 s0, sendmsg(MSG_RTN_GET_DOORBELL)
	s_mov_b32 ttmp2, m0
	s_waitcnt lgkmcnt(0)
	s_and_b32 s0, s0, 0x3ff
	s_delay_alu instid0(SALU_CYCLE_1) | instskip(NEXT) | instid1(SALU_CYCLE_1)
	s_bitset1_b32 s0, 10
	s_mov_b32 m0, s0
	s_sendmsg sendmsg(MSG_INTERRUPT)
	s_mov_b32 m0, ttmp2
.LBB8_454:                              ; =>This Inner Loop Header: Depth=1
	s_sethalt 5
	s_branch .LBB8_454
.LBB8_455:
	s_trap 2
	s_sendmsg_rtn_b32 s0, sendmsg(MSG_RTN_GET_DOORBELL)
	s_mov_b32 ttmp2, m0
	s_waitcnt lgkmcnt(0)
	s_and_b32 s0, s0, 0x3ff
	s_delay_alu instid0(SALU_CYCLE_1) | instskip(NEXT) | instid1(SALU_CYCLE_1)
	s_bitset1_b32 s0, 10
	s_mov_b32 m0, s0
	s_sendmsg sendmsg(MSG_INTERRUPT)
	s_mov_b32 m0, ttmp2
.LBB8_456:                              ; =>This Inner Loop Header: Depth=1
	s_sethalt 5
	s_branch .LBB8_456
.LBB8_457:
	s_trap 2
	s_sendmsg_rtn_b32 s0, sendmsg(MSG_RTN_GET_DOORBELL)
	s_mov_b32 ttmp2, m0
	s_waitcnt lgkmcnt(0)
	s_and_b32 s0, s0, 0x3ff
	s_delay_alu instid0(SALU_CYCLE_1) | instskip(NEXT) | instid1(SALU_CYCLE_1)
	s_bitset1_b32 s0, 10
	s_mov_b32 m0, s0
	s_sendmsg sendmsg(MSG_INTERRUPT)
	s_mov_b32 m0, ttmp2
.LBB8_458:                              ; =>This Inner Loop Header: Depth=1
	s_sethalt 5
	s_branch .LBB8_458
.LBB8_459:
	s_trap 2
	s_sendmsg_rtn_b32 s0, sendmsg(MSG_RTN_GET_DOORBELL)
	s_mov_b32 ttmp2, m0
	s_waitcnt lgkmcnt(0)
	s_and_b32 s0, s0, 0x3ff
	s_delay_alu instid0(SALU_CYCLE_1) | instskip(NEXT) | instid1(SALU_CYCLE_1)
	s_bitset1_b32 s0, 10
	s_mov_b32 m0, s0
	s_sendmsg sendmsg(MSG_INTERRUPT)
	s_mov_b32 m0, ttmp2
.LBB8_460:                              ; =>This Inner Loop Header: Depth=1
	s_sethalt 5
	s_branch .LBB8_460
.LBB8_461:
	s_or_b32 exec_lo, exec_lo, s4
	s_and_saveexec_b32 s4, s5
	s_delay_alu instid0(SALU_CYCLE_1)
	s_xor_b32 s4, exec_lo, s4
	s_cbranch_execz .LBB8_463
; %bb.462:
	v_mov_b32_e32 v0, 1
	ds_store_b32 v0, v0
	s_cbranch_execnz .LBB8_469
.LBB8_463:
	s_or_b32 exec_lo, exec_lo, s3
	;;#ASMSTART
	s_wakeup
	;;#ASMEND
.LBB8_464:
	s_or_b32 exec_lo, exec_lo, s2
.LBB8_465:
	s_and_not1_saveexec_b32 s1, s1
	s_cbranch_execz .LBB8_467
; %bb.466:
	s_waitcnt vmcnt(0) lgkmcnt(0)
	s_waitcnt_vscnt null, 0x0
	buffer_gl1_inv
	buffer_gl0_inv
	s_barrier
.LBB8_467:
	s_or_b32 exec_lo, exec_lo, s0
.LBB8_468:
	s_delay_alu instid0(SALU_CYCLE_1)
	s_or_b32 exec_lo, exec_lo, s11
	s_waitcnt vmcnt(0) lgkmcnt(0)
	s_setpc_b64 s[30:31]
.LBB8_469:
	s_trap 2
	s_sendmsg_rtn_b32 s0, sendmsg(MSG_RTN_GET_DOORBELL)
	s_mov_b32 ttmp2, m0
	s_waitcnt lgkmcnt(0)
	s_and_b32 s0, s0, 0x3ff
	s_delay_alu instid0(SALU_CYCLE_1) | instskip(NEXT) | instid1(SALU_CYCLE_1)
	s_bitset1_b32 s0, 10
	s_mov_b32 m0, s0
	s_sendmsg sendmsg(MSG_INTERRUPT)
	s_mov_b32 m0, ttmp2
.LBB8_470:                              ; =>This Inner Loop Header: Depth=1
	s_sethalt 5
	s_branch .LBB8_470
.LBB8_471:
	s_trap 2
	s_sendmsg_rtn_b32 s0, sendmsg(MSG_RTN_GET_DOORBELL)
	s_mov_b32 ttmp2, m0
	s_waitcnt lgkmcnt(0)
	s_and_b32 s0, s0, 0x3ff
	s_delay_alu instid0(SALU_CYCLE_1) | instskip(NEXT) | instid1(SALU_CYCLE_1)
	s_bitset1_b32 s0, 10
	s_mov_b32 m0, s0
	s_sendmsg sendmsg(MSG_INTERRUPT)
	s_mov_b32 m0, ttmp2
.LBB8_472:                              ; =>This Inner Loop Header: Depth=1
	s_sethalt 5
	s_branch .LBB8_472
.LBB8_473:
	s_trap 2
	s_sendmsg_rtn_b32 s0, sendmsg(MSG_RTN_GET_DOORBELL)
	s_mov_b32 ttmp2, m0
	s_waitcnt lgkmcnt(0)
	s_and_b32 s0, s0, 0x3ff
	s_delay_alu instid0(SALU_CYCLE_1) | instskip(NEXT) | instid1(SALU_CYCLE_1)
	s_bitset1_b32 s0, 10
	s_mov_b32 m0, s0
	s_sendmsg sendmsg(MSG_INTERRUPT)
	s_mov_b32 m0, ttmp2
.LBB8_474:                              ; =>This Inner Loop Header: Depth=1
	s_sethalt 5
	s_branch .LBB8_474
.LBB8_475:
	s_trap 2
	s_sendmsg_rtn_b32 s0, sendmsg(MSG_RTN_GET_DOORBELL)
	s_mov_b32 ttmp2, m0
	s_waitcnt lgkmcnt(0)
	s_and_b32 s0, s0, 0x3ff
	s_delay_alu instid0(SALU_CYCLE_1) | instskip(NEXT) | instid1(SALU_CYCLE_1)
	s_bitset1_b32 s0, 10
	s_mov_b32 m0, s0
	s_sendmsg sendmsg(MSG_INTERRUPT)
	s_mov_b32 m0, ttmp2
.LBB8_476:                              ; =>This Inner Loop Header: Depth=1
	s_sethalt 5
	s_branch .LBB8_476
.LBB8_477:
	s_trap 2
	s_sendmsg_rtn_b32 s0, sendmsg(MSG_RTN_GET_DOORBELL)
	s_mov_b32 ttmp2, m0
	s_waitcnt lgkmcnt(0)
	s_and_b32 s0, s0, 0x3ff
	s_delay_alu instid0(SALU_CYCLE_1) | instskip(NEXT) | instid1(SALU_CYCLE_1)
	s_bitset1_b32 s0, 10
	s_mov_b32 m0, s0
	s_sendmsg sendmsg(MSG_INTERRUPT)
	s_mov_b32 m0, ttmp2
.LBB8_478:                              ; =>This Inner Loop Header: Depth=1
	s_sethalt 5
	s_branch .LBB8_478
.LBB8_479:
	s_trap 2
	s_sendmsg_rtn_b32 s0, sendmsg(MSG_RTN_GET_DOORBELL)
	s_mov_b32 ttmp2, m0
	s_waitcnt lgkmcnt(0)
	s_and_b32 s0, s0, 0x3ff
	s_delay_alu instid0(SALU_CYCLE_1) | instskip(NEXT) | instid1(SALU_CYCLE_1)
	s_bitset1_b32 s0, 10
	s_mov_b32 m0, s0
	s_sendmsg sendmsg(MSG_INTERRUPT)
	s_mov_b32 m0, ttmp2
.LBB8_480:                              ; =>This Inner Loop Header: Depth=1
	s_sethalt 5
	s_branch .LBB8_480
.Lfunc_end8:
	.size	_ZN12_GLOBAL__N_17runRingIa7FuncSumIaE7ProtoLLLi0ELi2ELi0ELb0EEEviiP15ncclDevWorkColl, .Lfunc_end8-_ZN12_GLOBAL__N_17runRingIa7FuncSumIaE7ProtoLLLi0ELi2ELi0ELb0EEEviiP15ncclDevWorkColl
                                        ; -- End function
	.section	.AMDGPU.csdata,"",@progbits
; Function info:
; codeLenInByte = 13920
; NumSgprs: 34
; NumVgprs: 165
; ScratchSize: 0
; MemoryBound: 0
	.text
	.p2align	2                               ; -- Begin function _Z42ncclDevFunc_AllGather_RING_LL_Sum_i8_0_0_2v
	.type	_Z42ncclDevFunc_AllGather_RING_LL_Sum_i8_0_0_2v,@function
_Z42ncclDevFunc_AllGather_RING_LL_Sum_i8_0_0_2v: ; @_Z42ncclDevFunc_AllGather_RING_LL_Sum_i8_0_0_2v
; %bb.0:
	s_waitcnt vmcnt(0) expcnt(0) lgkmcnt(0)
	s_mov_b32 s0, s33
	s_mov_b32 s33, s32
	s_or_saveexec_b32 s1, -1
	scratch_store_b32 off, v40, s33         ; 4-byte Folded Spill
	s_mov_b32 exec_lo, s1
	v_writelane_b32 v40, s0, 6
	s_add_i32 s32, s32, 16
	v_writelane_b32 v40, s34, 0
	v_writelane_b32 v40, s35, 1
	;; [unrolled: 1-line block ×6, first 2 shown]
	s_cbranch_execnz .LBB9_13
; %bb.1:
	ds_load_b32 v0, v0
	s_waitcnt lgkmcnt(0)
	v_cmp_gt_i32_e32 vcc_lo, 1, v0
	s_cbranch_vccnz .LBB9_12
; %bb.2:
	v_and_b32_e32 v165, 0x3ff, v31
	s_mov_b32 s36, 0
	s_mov_b64 s[34:35], src_shared_base
.LBB9_3:                                ; =>This Inner Loop Header: Depth=1
	s_cbranch_execnz .LBB9_15
; %bb.4:                                ;   in Loop: Header=BB9_3 Depth=1
	ds_load_b32 v0, v0
	s_cmp_eq_u32 s36, 0
	s_cbranch_scc1 .LBB9_8
; %bb.5:                                ;   in Loop: Header=BB9_3 Depth=1
	s_cbranch_execnz .LBB9_19
; %bb.6:                                ;   in Loop: Header=BB9_3 Depth=1
	s_waitcnt lgkmcnt(0)
	ds_load_b32 v1, v0
	s_waitcnt lgkmcnt(0)
	v_xor_b32_e32 v1, v1, v0
	s_delay_alu instid0(VALU_DEP_1) | instskip(NEXT) | instid1(VALU_DEP_1)
	v_and_b32_e32 v1, 0xff0000, v1
	v_cmp_eq_u32_e32 vcc_lo, 0, v1
	s_cbranch_vccnz .LBB9_8
; %bb.7:                                ;   in Loop: Header=BB9_3 Depth=1
	s_waitcnt_vscnt null, 0x0
	s_barrier
	buffer_gl0_inv
	ds_load_b32 v0, v0
.LBB9_8:                                ;   in Loop: Header=BB9_3 Depth=1
	s_waitcnt lgkmcnt(0)
	v_lshrrev_b32_e32 v0, 11, v0
	s_mov_b32 s37, exec_lo
	s_delay_alu instid0(VALU_DEP_1) | instskip(NEXT) | instid1(VALU_DEP_1)
	v_and_b32_e32 v1, 0x1fe0, v0
	v_cmpx_lt_u32_e64 v165, v1
	s_cbranch_execz .LBB9_10
; %bb.9:                                ;   in Loop: Header=BB9_3 Depth=1
	v_dual_mov_b32 v166, v31 :: v_dual_mov_b32 v3, s35
	v_mov_b32_e32 v0, v165
	s_getpc_b64 s[0:1]
	s_add_u32 s0, s0, _ZN12_GLOBAL__N_17runRingIa7FuncSumIaE7ProtoLLLi0ELi2ELi0ELb0EEEviiP15ncclDevWorkColl@rel32@lo+4
	s_addc_u32 s1, s1, _ZN12_GLOBAL__N_17runRingIa7FuncSumIaE7ProtoLLLi0ELi2ELi0ELb0EEEviiP15ncclDevWorkColl@rel32@hi+12
	s_mov_b64 s[28:29], s[8:9]
	s_mov_b32 s34, s12
	s_swappc_b64 s[30:31], s[0:1]
	v_mov_b32_e32 v31, v166
	s_mov_b32 s12, s34
	s_mov_b64 s[8:9], s[28:29]
.LBB9_10:                               ;   in Loop: Header=BB9_3 Depth=1
	s_or_b32 exec_lo, exec_lo, s37
	s_cbranch_execnz .LBB9_17
; %bb.11:                               ;   in Loop: Header=BB9_3 Depth=1
	ds_load_b32 v0, v0
	s_add_i32 s36, s36, 1
	s_waitcnt lgkmcnt(0)
	v_cmp_lt_i32_e32 vcc_lo, s36, v0
	s_cbranch_vccnz .LBB9_3
.LBB9_12:
	v_readlane_b32 s30, v40, 4
	v_readlane_b32 s31, v40, 5
	;; [unrolled: 1-line block ×7, first 2 shown]
	s_or_saveexec_b32 s1, -1
	scratch_load_b32 v40, off, s33          ; 4-byte Folded Reload
	s_mov_b32 exec_lo, s1
	s_add_i32 s32, s32, -16
	s_mov_b32 s33, s0
	s_waitcnt vmcnt(0)
	s_setpc_b64 s[30:31]
.LBB9_13:
	s_trap 2
	s_sendmsg_rtn_b32 s0, sendmsg(MSG_RTN_GET_DOORBELL)
	s_mov_b32 ttmp2, m0
	s_waitcnt lgkmcnt(0)
	s_and_b32 s0, s0, 0x3ff
	s_delay_alu instid0(SALU_CYCLE_1) | instskip(NEXT) | instid1(SALU_CYCLE_1)
	s_bitset1_b32 s0, 10
	s_mov_b32 m0, s0
	s_sendmsg sendmsg(MSG_INTERRUPT)
	s_mov_b32 m0, ttmp2
.LBB9_14:                               ; =>This Inner Loop Header: Depth=1
	s_sethalt 5
	s_branch .LBB9_14
.LBB9_15:
	s_trap 2
	s_sendmsg_rtn_b32 s0, sendmsg(MSG_RTN_GET_DOORBELL)
	s_mov_b32 ttmp2, m0
	s_waitcnt lgkmcnt(0)
	s_and_b32 s0, s0, 0x3ff
	s_delay_alu instid0(SALU_CYCLE_1) | instskip(NEXT) | instid1(SALU_CYCLE_1)
	s_bitset1_b32 s0, 10
	s_mov_b32 m0, s0
	s_sendmsg sendmsg(MSG_INTERRUPT)
	s_mov_b32 m0, ttmp2
.LBB9_16:                               ; =>This Inner Loop Header: Depth=1
	s_sethalt 5
	s_branch .LBB9_16
.LBB9_17:
	s_trap 2
	s_sendmsg_rtn_b32 s0, sendmsg(MSG_RTN_GET_DOORBELL)
	s_mov_b32 ttmp2, m0
	s_waitcnt lgkmcnt(0)
	s_and_b32 s0, s0, 0x3ff
	s_delay_alu instid0(SALU_CYCLE_1) | instskip(NEXT) | instid1(SALU_CYCLE_1)
	s_bitset1_b32 s0, 10
	s_mov_b32 m0, s0
	s_sendmsg sendmsg(MSG_INTERRUPT)
	s_mov_b32 m0, ttmp2
.LBB9_18:                               ; =>This Inner Loop Header: Depth=1
	s_sethalt 5
	s_branch .LBB9_18
.LBB9_19:
	s_trap 2
	s_sendmsg_rtn_b32 s0, sendmsg(MSG_RTN_GET_DOORBELL)
	s_mov_b32 ttmp2, m0
	s_waitcnt lgkmcnt(0)
	s_and_b32 s0, s0, 0x3ff
	s_delay_alu instid0(SALU_CYCLE_1) | instskip(NEXT) | instid1(SALU_CYCLE_1)
	s_bitset1_b32 s0, 10
	s_mov_b32 m0, s0
	s_sendmsg sendmsg(MSG_INTERRUPT)
	s_mov_b32 m0, ttmp2
.LBB9_20:                               ; =>This Inner Loop Header: Depth=1
	s_sethalt 5
	s_branch .LBB9_20
.Lfunc_end9:
	.size	_Z42ncclDevFunc_AllGather_RING_LL_Sum_i8_0_0_2v, .Lfunc_end9-_Z42ncclDevFunc_AllGather_RING_LL_Sum_i8_0_0_2v
                                        ; -- End function
	.section	.AMDGPU.csdata,"",@progbits
; Function info:
; codeLenInByte = 636
; NumSgprs: 40
; NumVgprs: 167
; ScratchSize: 16
; MemoryBound: 0
	.text
	.p2align	2                               ; -- Begin function _ZN12_GLOBAL__N_17runRingIa7FuncSumIaE11ProtoSimpleILi2ELi2ELi0ELi2ELi0ELi0EELi0ELi2ELi0ELb0EEEviiP15ncclDevWorkColl
	.type	_ZN12_GLOBAL__N_17runRingIa7FuncSumIaE11ProtoSimpleILi2ELi2ELi0ELi2ELi0ELi0EELi0ELi2ELi0ELb0EEEviiP15ncclDevWorkColl,@function
_ZN12_GLOBAL__N_17runRingIa7FuncSumIaE11ProtoSimpleILi2ELi2ELi0ELi2ELi0ELi0EELi0ELi2ELi0ELb0EEEviiP15ncclDevWorkColl: ; @_ZN12_GLOBAL__N_17runRingIa7FuncSumIaE11ProtoSimpleILi2ELi2ELi0ELi2ELi0ELi0EELi0ELi2ELi0ELb0EEEviiP15ncclDevWorkColl
; %bb.0:
	s_waitcnt vmcnt(0) expcnt(0) lgkmcnt(0)
	s_mov_b32 s0, s33
	s_mov_b32 s33, s32
	s_or_saveexec_b32 s1, -1
	s_clause 0x1
	scratch_store_b32 off, v44, s33 offset:16
	; meta instruction
	scratch_store_b32 off, v45, s33 offset:20
	s_mov_b32 exec_lo, s1
	v_writelane_b32 v44, s0, 7
	s_add_i32 s32, s32, 32
	s_clause 0x3
	scratch_store_b32 off, v40, s33 offset:12
	; meta instruction
	scratch_store_b32 off, v41, s33 offset:8
	; meta instruction
	;; [unrolled: 2-line block ×3, first 2 shown]
	scratch_store_b32 off, v43, s33
	v_writelane_b32 v44, s34, 0
	v_writelane_b32 v44, s35, 1
	v_writelane_b32 v44, s36, 2
	v_writelane_b32 v44, s37, 3
	v_writelane_b32 v44, s38, 4
	v_writelane_b32 v44, s30, 5
	v_writelane_b32 v44, s31, 6
	s_cbranch_execnz .LBB10_15
; %bb.1:
	s_clause 0x2
	flat_load_b32 v8, v[2:3]
	flat_load_b128 v[4:7], v[2:3] offset:72
	flat_load_b64 v[12:13], v[2:3] offset:88
	ds_load_b32 v9, v0
	ds_load_b64 v[18:19], v0
	s_mov_b32 s0, exec_lo
                                        ; implicit-def: $vgpr36_vgpr37
	s_waitcnt lgkmcnt(1)
	v_readfirstlane_b32 s18, v9
	s_waitcnt vmcnt(2)
	v_and_b32_e32 v11, 0xff, v8
	v_bfe_u32 v10, v8, 8, 8
	s_delay_alu instid0(VALU_DEP_2) | instskip(NEXT) | instid1(VALU_DEP_1)
	v_not_b32_e32 v8, v11
	v_add_nc_u32_e32 v16, v10, v8
	s_delay_alu instid0(VALU_DEP_1) | instskip(SKIP_3) | instid1(VALU_DEP_3)
	v_ashrrev_i32_e32 v17, 31, v16
	s_waitcnt vmcnt(1)
	v_mul_lo_u32 v20, v7, v16
	v_mad_u64_u32 v[14:15], null, v6, v16, 0
	v_mul_lo_u32 v16, v6, v17
	s_delay_alu instid0(VALU_DEP_1)
	v_add3_u32 v15, v15, v16, v20
                                        ; implicit-def: $vgpr16_vgpr17
	v_cmpx_ne_u32_e64 v11, v9
	s_xor_b32 s0, exec_lo, s0
	s_cbranch_execz .LBB10_7
; %bb.2:
	s_mov_b32 s1, exec_lo
                                        ; implicit-def: $vgpr36_vgpr37
                                        ; implicit-def: $vgpr16_vgpr17
	v_cmpx_ne_u32_e64 v10, v9
	s_xor_b32 s1, exec_lo, s1
	s_cbranch_execz .LBB10_4
; %bb.3:
	flat_load_b64 v[10:11], v[2:3] offset:96
	v_add_nc_u32_e32 v8, v9, v8
	s_delay_alu instid0(VALU_DEP_1) | instskip(SKIP_2) | instid1(VALU_DEP_3)
	v_ashrrev_i32_e32 v9, 31, v8
	v_mul_lo_u32 v20, v7, v8
	v_mad_u64_u32 v[16:17], null, v6, v8, v[4:5]
	v_mul_lo_u32 v9, v6, v9
	s_delay_alu instid0(VALU_DEP_1)
	v_add3_u32 v17, v20, v17, v9
	s_waitcnt vmcnt(0) lgkmcnt(0)
	v_lshrrev_b64 v[36:37], 21, v[10:11]
.LBB10_4:
	s_and_not1_saveexec_b32 s1, s1
	s_cbranch_execz .LBB10_6
; %bb.5:
	flat_load_b32 v6, v[2:3] offset:100
	v_add_co_u32 v16, vcc_lo, v14, v4
	v_add_co_ci_u32_e32 v17, vcc_lo, v15, v5, vcc_lo
	s_waitcnt vmcnt(0) lgkmcnt(0)
	v_lshrrev_b32_e32 v36, 10, v6
	v_dual_mov_b32 v6, v12 :: v_dual_mov_b32 v7, v13
.LBB10_6:
	s_or_b32 exec_lo, exec_lo, s1
.LBB10_7:
	s_and_not1_saveexec_b32 s0, s0
	s_cbranch_execz .LBB10_9
; %bb.8:
	flat_load_b64 v[36:37], v[2:3] offset:96
	v_dual_mov_b32 v16, 0 :: v_dual_mov_b32 v7, v5
	v_dual_mov_b32 v17, 0 :: v_dual_mov_b32 v6, v4
.LBB10_9:
	s_or_b32 exec_lo, exec_lo, s0
	flat_load_b128 v[8:11], v[2:3] offset:16
	s_waitcnt vmcnt(1)
	v_add_co_u32 v4, vcc_lo, v12, v4
	v_add_co_ci_u32_e32 v5, vcc_lo, v13, v5, vcc_lo
	s_mov_b32 s0, exec_lo
	s_delay_alu instid0(VALU_DEP_2) | instskip(NEXT) | instid1(VALU_DEP_2)
	v_add_co_u32 v66, vcc_lo, v4, v14
	v_add_co_ci_u32_e32 v67, vcc_lo, v5, v15, vcc_lo
	v_cmpx_ge_i32_e64 v0, v1
	s_xor_b32 s1, exec_lo, s0
	s_cbranch_execz .LBB10_44
; %bb.10:
	s_waitcnt lgkmcnt(1)
	flat_load_b32 v4, v[18:19]
	s_mov_b32 s2, exec_lo
	s_waitcnt vmcnt(0) lgkmcnt(0)
	v_ashrrev_i32_e32 v2, 31, v4
	v_mul_lo_u32 v5, v67, v4
	s_delay_alu instid0(VALU_DEP_2) | instskip(SKIP_1) | instid1(VALU_DEP_1)
	v_mul_lo_u32 v12, v66, v2
	v_mad_u64_u32 v[2:3], null, v66, v4, 0
	v_add3_u32 v3, v3, v12, v5
	s_delay_alu instid0(VALU_DEP_2) | instskip(NEXT) | instid1(VALU_DEP_2)
	v_add_co_u32 v4, vcc_lo, v8, v2
	v_add_co_ci_u32_e32 v5, vcc_lo, v9, v3, vcc_lo
	s_delay_alu instid0(VALU_DEP_1)
	v_cmpx_ne_u64_e64 v[10:11], v[4:5]
	s_cbranch_execz .LBB10_43
; %bb.11:
	v_sub_nc_u32_e32 v1, v0, v1
	v_add_co_u32 v15, vcc_lo, v10, v16
	v_add_co_ci_u32_e32 v18, vcc_lo, v11, v17, vcc_lo
	s_delay_alu instid0(VALU_DEP_3) | instskip(SKIP_2) | instid1(VALU_DEP_3)
	v_ashrrev_i32_e32 v0, 31, v1
	v_add_co_u32 v5, vcc_lo, v8, v16
	v_add_co_ci_u32_e32 v8, vcc_lo, v9, v17, vcc_lo
	v_lshrrev_b32_e32 v0, 27, v0
	s_delay_alu instid0(VALU_DEP_3) | instskip(NEXT) | instid1(VALU_DEP_3)
	v_add_co_u32 v16, vcc_lo, v5, v2
	v_add_co_ci_u32_e32 v17, vcc_lo, v8, v3, vcc_lo
	s_delay_alu instid0(VALU_DEP_3) | instskip(SKIP_1) | instid1(VALU_DEP_1)
	v_add_nc_u32_e32 v0, v1, v0
	s_mov_b32 s0, exec_lo
	v_and_b32_e32 v4, 0xffffffe0, v0
	s_delay_alu instid0(VALU_DEP_1) | instskip(SKIP_1) | instid1(VALU_DEP_2)
	v_sub_nc_u32_e32 v19, v1, v4
	v_mov_b32_e32 v1, 0
	v_cmpx_gt_i32_e32 1, v19
; %bb.12:
	v_or_b32_e32 v1, v15, v16
	s_delay_alu instid0(VALU_DEP_1) | instskip(NEXT) | instid1(VALU_DEP_1)
	v_and_b32_e32 v1, 15, v1
	v_cmp_ne_u32_e32 vcc_lo, 0, v1
	v_cndmask_b32_e64 v1, 0, 1, vcc_lo
; %bb.13:
	s_or_b32 exec_lo, exec_lo, s0
	;;#ASMSTART
	;;#ASMEND
	s_delay_alu instid0(VALU_DEP_1)
	v_cmp_ne_u32_e32 vcc_lo, 0, v1
	v_ashrrev_i32_e32 v20, 5, v0
	s_mov_b32 s3, 0
	s_cbranch_vccz .LBB10_17
; %bb.14:
	s_delay_alu instid0(VALU_DEP_1)
	v_dual_mov_b32 v4, 0 :: v_dual_mov_b32 v21, v20
	v_dual_mov_b32 v5, 0 :: v_dual_mov_b32 v14, v19
	s_mov_b32 s5, -1
	s_mov_b32 s0, 0
                                        ; implicit-def: $vgpr2_vgpr3
                                        ; implicit-def: $vgpr0_vgpr1
	s_and_saveexec_b32 s4, s5
	s_cbranch_execnz .LBB10_28
	s_branch .LBB10_37
.LBB10_15:
	s_trap 2
	s_sendmsg_rtn_b32 s0, sendmsg(MSG_RTN_GET_DOORBELL)
	s_mov_b32 ttmp2, m0
	s_waitcnt lgkmcnt(0)
	s_and_b32 s0, s0, 0x3ff
	s_delay_alu instid0(SALU_CYCLE_1) | instskip(NEXT) | instid1(SALU_CYCLE_1)
	s_bitset1_b32 s0, 10
	s_mov_b32 m0, s0
	s_sendmsg sendmsg(MSG_INTERRUPT)
	s_mov_b32 m0, ttmp2
.LBB10_16:                              ; =>This Inner Loop Header: Depth=1
	s_sethalt 5
	s_branch .LBB10_16
.LBB10_17:
	v_ashrrev_i32_e32 v0, 31, v7
	v_mov_b32_e32 v4, 0
	v_mov_b32_e32 v5, 0
	s_mov_b32 s5, 0
	s_mov_b32 s0, -1
	v_lshrrev_b32_e32 v0, 21, v0
	s_mov_b32 s4, exec_lo
                                        ; implicit-def: $vgpr2_vgpr3
                                        ; implicit-def: $vgpr14
                                        ; implicit-def: $vgpr21
	s_delay_alu instid0(VALU_DEP_1) | instskip(SKIP_1) | instid1(VALU_DEP_1)
	v_add_co_u32 v0, vcc_lo, v6, v0
	v_add_co_ci_u32_e32 v1, vcc_lo, 0, v7, vcc_lo
	v_ashrrev_i64 v[8:9], 11, v[0:1]
	v_ashrrev_i32_e32 v0, 31, v20
	s_delay_alu instid0(VALU_DEP_2) | instskip(NEXT) | instid1(VALU_DEP_2)
	v_sub_co_u32 v10, vcc_lo, v8, v20
	v_sub_co_ci_u32_e32 v11, vcc_lo, v9, v0, vcc_lo
                                        ; implicit-def: $vgpr0_vgpr1
	s_delay_alu instid0(VALU_DEP_1)
	v_cmpx_gt_i64_e32 1, v[10:11]
	s_cbranch_execz .LBB10_27
; %bb.18:
	v_lshlrev_b64 v[0:1], 11, v[8:9]
	v_mov_b32_e32 v4, 0
	v_mov_b32_e32 v5, 0
	s_mov_b32 s6, 0
	s_mov_b32 s3, exec_lo
                                        ; implicit-def: $vgpr2_vgpr3
                                        ; implicit-def: $vgpr14
                                        ; implicit-def: $vgpr21
	s_delay_alu instid0(VALU_DEP_3)
	v_cmpx_ne_u64_e64 v[6:7], v[0:1]
	s_cbranch_execz .LBB10_26
; %bb.19:
	v_sub_co_u32 v4, vcc_lo, v6, v0
	v_sub_co_ci_u32_e32 v5, vcc_lo, v7, v1, vcc_lo
	v_mov_b32_e32 v3, 0
	s_delay_alu instid0(VALU_DEP_2) | instskip(NEXT) | instid1(VALU_DEP_1)
	v_ashrrev_i32_e32 v2, 31, v5
	v_lshrrev_b32_e32 v2, 23, v2
	s_delay_alu instid0(VALU_DEP_1) | instskip(SKIP_1) | instid1(VALU_DEP_2)
	v_add_co_u32 v11, vcc_lo, v4, v2
	v_add_co_ci_u32_e32 v12, vcc_lo, 0, v5, vcc_lo
	v_and_b32_e32 v2, 0xfffffe00, v11
	s_delay_alu instid0(VALU_DEP_2) | instskip(NEXT) | instid1(VALU_DEP_2)
	v_ashrrev_i64 v[13:14], 9, v[11:12]
	v_sub_co_u32 v8, vcc_lo, v4, v2
	v_add_co_u32 v11, s0, v2, v0
	v_sub_co_ci_u32_e32 v9, vcc_lo, v5, v12, vcc_lo
	v_add_co_ci_u32_e64 v12, s0, v12, v1, s0
	s_mov_b32 s0, exec_lo
	s_delay_alu instid0(VALU_DEP_2)
	v_cmpx_lt_i64_e32 15, v[8:9]
; %bb.20:
	v_and_b32_e32 v2, 15, v6
	s_delay_alu instid0(VALU_DEP_1) | instskip(SKIP_2) | instid1(VALU_DEP_3)
	v_sub_co_u32 v6, vcc_lo, v8, v2
	v_subrev_co_ci_u32_e32 v7, vcc_lo, 0, v9, vcc_lo
	v_add_co_u32 v13, vcc_lo, v13, 1
	v_add_co_u32 v11, vcc_lo, v6, v11
	s_delay_alu instid0(VALU_DEP_3)
	v_add_co_ci_u32_e32 v12, vcc_lo, v7, v12, vcc_lo
	v_dual_mov_b32 v9, v3 :: v_dual_mov_b32 v8, v2
; %bb.21:
	s_or_b32 exec_lo, exec_lo, s0
	v_lshlrev_b32_e32 v2, 5, v10
	s_mov_b32 s6, -1
                                        ; implicit-def: $vgpr14
                                        ; implicit-def: $vgpr21
	s_delay_alu instid0(VALU_DEP_1) | instskip(NEXT) | instid1(VALU_DEP_1)
	v_sub_nc_u32_e32 v2, v19, v2
	v_ashrrev_i32_e32 v3, 31, v2
	s_delay_alu instid0(VALU_DEP_1) | instskip(NEXT) | instid1(VALU_DEP_1)
	v_lshrrev_b32_e32 v3, 27, v3
	v_add_nc_u32_e32 v3, v2, v3
	s_delay_alu instid0(VALU_DEP_1) | instskip(SKIP_1) | instid1(VALU_DEP_2)
	v_and_b32_e32 v6, 0xffffffe0, v3
	v_ashrrev_i32_e32 v22, 5, v3
	v_sub_nc_u32_e32 v10, v2, v6
                                        ; implicit-def: $vgpr6_vgpr7
	s_delay_alu instid0(VALU_DEP_1) | instskip(NEXT) | instid1(VALU_DEP_1)
	v_lshlrev_b32_e32 v2, 4, v10
	v_lshl_add_u32 v2, v22, 9, v2
	s_delay_alu instid0(VALU_DEP_1) | instskip(SKIP_1) | instid1(VALU_DEP_2)
	v_ashrrev_i32_e32 v3, 31, v2
	v_sub_co_u32 v4, vcc_lo, v4, v2
	v_sub_co_ci_u32_e32 v5, vcc_lo, v5, v3, vcc_lo
	s_delay_alu instid0(VALU_DEP_1)
	v_cmp_gt_i64_e32 vcc_lo, 16, v[4:5]
	v_mov_b32_e32 v4, 0
	v_mov_b32_e32 v5, 0
	s_and_saveexec_b32 s0, vcc_lo
	s_cbranch_execz .LBB10_25
; %bb.22:
	v_mov_b32_e32 v4, 0
	v_mov_b32_e32 v5, 0
	s_mov_b32 s6, exec_lo
                                        ; implicit-def: $vgpr14
                                        ; implicit-def: $vgpr21
	v_cmpx_ne_u64_e32 0, v[8:9]
; %bb.23:
	v_sub_nc_u32_e32 v4, v22, v13
	s_mov_b32 s5, exec_lo
	s_delay_alu instid0(VALU_DEP_1) | instskip(NEXT) | instid1(VALU_DEP_1)
	v_lshl_add_u32 v4, v4, 5, v10
	v_ashrrev_i32_e32 v5, 31, v4
	s_delay_alu instid0(VALU_DEP_1) | instskip(NEXT) | instid1(VALU_DEP_1)
	v_lshrrev_b32_e32 v5, 27, v5
	v_add_nc_u32_e32 v5, v4, v5
	s_delay_alu instid0(VALU_DEP_1) | instskip(SKIP_1) | instid1(VALU_DEP_2)
	v_and_b32_e32 v6, 0xffffffe0, v5
	v_ashrrev_i32_e32 v21, 5, v5
	v_sub_nc_u32_e32 v14, v4, v6
	v_dual_mov_b32 v4, v11 :: v_dual_mov_b32 v5, v12
; %bb.24:
	s_or_b32 exec_lo, exec_lo, s6
	v_dual_mov_b32 v6, v8 :: v_dual_mov_b32 v7, v9
	s_xor_b32 s6, exec_lo, -1
	s_and_b32 s5, s5, exec_lo
.LBB10_25:
	s_or_b32 exec_lo, exec_lo, s0
	s_delay_alu instid0(SALU_CYCLE_1)
	s_and_b32 s6, s6, exec_lo
	s_and_b32 s5, s5, exec_lo
.LBB10_26:
	s_or_b32 exec_lo, exec_lo, s3
	s_delay_alu instid0(SALU_CYCLE_1)
	s_xor_b32 s0, exec_lo, -1
	s_and_b32 s3, s6, exec_lo
	s_and_b32 s5, s5, exec_lo
.LBB10_27:
	s_or_b32 exec_lo, exec_lo, s4
	s_and_saveexec_b32 s4, s5
	s_cbranch_execz .LBB10_37
.LBB10_28:
	v_ashrrev_i32_e32 v8, 31, v7
	s_mov_b32 s5, exec_lo
	s_delay_alu instid0(VALU_DEP_1) | instskip(NEXT) | instid1(VALU_DEP_1)
	v_lshrrev_b32_e32 v8, 23, v8
	v_add_co_u32 v8, vcc_lo, v6, v8
	v_add_co_ci_u32_e32 v9, vcc_lo, 0, v7, vcc_lo
	s_delay_alu instid0(VALU_DEP_1) | instskip(SKIP_1) | instid1(VALU_DEP_2)
	v_ashrrev_i64 v[10:11], 9, v[8:9]
	v_ashrrev_i32_e32 v9, 31, v21
	v_sub_co_u32 v8, vcc_lo, v10, v21
	s_delay_alu instid0(VALU_DEP_2) | instskip(NEXT) | instid1(VALU_DEP_1)
	v_sub_co_ci_u32_e32 v9, vcc_lo, v11, v9, vcc_lo
	v_cmpx_gt_i64_e32 1, v[8:9]
	s_xor_b32 s5, exec_lo, s5
	s_cbranch_execz .LBB10_34
; %bb.29:
	v_lshlrev_b64 v[9:10], 9, v[10:11]
	s_mov_b32 s6, exec_lo
	s_delay_alu instid0(VALU_DEP_1)
	v_cmpx_ne_u64_e64 v[6:7], v[9:10]
	s_cbranch_execz .LBB10_33
; %bb.30:
	v_lshlrev_b32_e32 v8, 5, v8
	v_sub_co_u32 v6, vcc_lo, v6, v9
	v_sub_co_ci_u32_e32 v7, vcc_lo, v7, v10, vcc_lo
	s_delay_alu instid0(VALU_DEP_3) | instskip(NEXT) | instid1(VALU_DEP_1)
	v_sub_nc_u32_e32 v11, v14, v8
	v_ashrrev_i32_e32 v12, 31, v11
	s_delay_alu instid0(VALU_DEP_1)
	v_cmp_gt_i64_e32 vcc_lo, v[6:7], v[11:12]
	s_and_b32 exec_lo, exec_lo, vcc_lo
	s_cbranch_execz .LBB10_33
; %bb.31:
	v_add_co_u32 v4, vcc_lo, v9, v4
	v_add_co_ci_u32_e32 v5, vcc_lo, v10, v5, vcc_lo
	s_delay_alu instid0(VALU_DEP_2) | instskip(NEXT) | instid1(VALU_DEP_2)
	v_add_co_u32 v6, vcc_lo, v4, v11
	v_add_co_ci_u32_e32 v7, vcc_lo, v5, v12, vcc_lo
	s_delay_alu instid0(VALU_DEP_2) | instskip(NEXT) | instid1(VALU_DEP_2)
	v_add_co_u32 v4, vcc_lo, v6, v15
	v_add_co_ci_u32_e32 v5, vcc_lo, v7, v18, vcc_lo
	flat_load_u8 v8, v[4:5]
	v_add_co_u32 v4, vcc_lo, v6, v16
	v_add_co_ci_u32_e32 v5, vcc_lo, v7, v17, vcc_lo
	s_mov_b32 vcc_lo, exec_lo
	s_waitcnt vmcnt(0) lgkmcnt(0)
	flat_store_b8 v[4:5], v8 glc slc dlc
.LBB10_32:                              ; =>This Inner Loop Header: Depth=1
	s_cbranch_vccnz .LBB10_32
.LBB10_33:
	s_or_b32 exec_lo, exec_lo, s6
                                        ; implicit-def: $vgpr21
                                        ; implicit-def: $vgpr14
                                        ; implicit-def: $vgpr4_vgpr5
.LBB10_34:
	s_and_not1_saveexec_b32 s5, s5
	s_cbranch_execz .LBB10_37
; %bb.35:
	v_lshl_add_u32 v6, v21, 9, v14
	s_delay_alu instid0(VALU_DEP_1) | instskip(SKIP_1) | instid1(VALU_DEP_2)
	v_ashrrev_i32_e32 v7, 31, v6
	v_add_co_u32 v6, vcc_lo, v4, v6
	v_add_co_ci_u32_e32 v7, vcc_lo, v5, v7, vcc_lo
	s_delay_alu instid0(VALU_DEP_2) | instskip(NEXT) | instid1(VALU_DEP_2)
	v_add_co_u32 v4, vcc_lo, v6, v16
	v_add_co_ci_u32_e32 v5, vcc_lo, v7, v17, vcc_lo
	v_add_co_u32 v6, vcc_lo, v6, v15
	v_add_co_ci_u32_e32 v7, vcc_lo, v7, v18, vcc_lo
	s_mov_b32 vcc_lo, 0
.LBB10_36:                              ; =>This Inner Loop Header: Depth=1
	s_clause 0xf
	flat_load_u8 v8, v[6:7] slc dlc
	flat_load_u8 v9, v[6:7] offset:32 slc dlc
	flat_load_u8 v10, v[6:7] offset:64 slc dlc
	;; [unrolled: 1-line block ×15, first 2 shown]
	s_waitcnt vmcnt(15) lgkmcnt(15)
	flat_store_b8 v[4:5], v8 glc slc dlc
	s_waitcnt vmcnt(14) lgkmcnt(15)
	flat_store_b8 v[4:5], v9 offset:32 glc slc dlc
	s_waitcnt vmcnt(13) lgkmcnt(15)
	flat_store_b8 v[4:5], v10 offset:64 glc slc dlc
	;; [unrolled: 2-line block ×15, first 2 shown]
	s_cbranch_vccz .LBB10_36
.LBB10_37:
	s_or_b32 exec_lo, exec_lo, s4
	s_and_saveexec_b32 s4, s3
	s_cbranch_execz .LBB10_40
; %bb.38:
	v_add_co_u32 v2, vcc_lo, v0, v2
	v_add_co_ci_u32_e32 v3, vcc_lo, v1, v3, vcc_lo
	s_delay_alu instid0(VALU_DEP_2) | instskip(NEXT) | instid1(VALU_DEP_2)
	v_add_co_u32 v0, vcc_lo, v2, v16
	v_add_co_ci_u32_e32 v1, vcc_lo, v3, v17, vcc_lo
	v_add_co_u32 v2, vcc_lo, v2, v15
	v_add_co_ci_u32_e32 v3, vcc_lo, v3, v18, vcc_lo
	s_mov_b32 vcc_lo, 0
.LBB10_39:                              ; =>This Inner Loop Header: Depth=1
	global_load_b128 v[4:7], v[2:3], off slc dlc
	s_waitcnt vmcnt(0)
	global_store_b128 v[0:1], v[4:7], off glc slc dlc
	s_cbranch_vccz .LBB10_39
.LBB10_40:
	s_or_b32 exec_lo, exec_lo, s4
	s_and_saveexec_b32 s3, s0
	s_delay_alu instid0(SALU_CYCLE_1)
	s_xor_b32 s3, exec_lo, s3
	s_cbranch_execz .LBB10_43
; %bb.41:
	v_lshlrev_b32_e32 v0, 4, v19
	s_delay_alu instid0(VALU_DEP_1) | instskip(NEXT) | instid1(VALU_DEP_1)
	v_lshl_add_u32 v2, v20, 11, v0
	v_ashrrev_i32_e32 v3, 31, v2
	v_add_co_u32 v0, vcc_lo, v16, v2
	s_delay_alu instid0(VALU_DEP_2)
	v_add_co_ci_u32_e32 v1, vcc_lo, v17, v3, vcc_lo
	v_add_co_u32 v2, vcc_lo, v15, v2
	v_add_co_ci_u32_e32 v3, vcc_lo, v18, v3, vcc_lo
	s_mov_b32 vcc_lo, 0
	.p2align	6
.LBB10_42:                              ; =>This Inner Loop Header: Depth=1
	s_clause 0x3
	global_load_b128 v[4:7], v[2:3], off slc dlc
	global_load_b128 v[8:11], v[2:3], off offset:512 slc dlc
	global_load_b128 v[12:15], v[2:3], off offset:1024 slc dlc
	;; [unrolled: 1-line block ×3, first 2 shown]
	s_waitcnt vmcnt(3)
	global_store_b128 v[0:1], v[4:7], off glc slc dlc
	s_waitcnt vmcnt(2)
	global_store_b128 v[0:1], v[8:11], off offset:512 glc slc dlc
	s_waitcnt vmcnt(1)
	global_store_b128 v[0:1], v[12:15], off offset:1024 glc slc dlc
	;; [unrolled: 2-line block ×3, first 2 shown]
	s_cbranch_vccz .LBB10_42
.LBB10_43:
	s_or_b32 exec_lo, exec_lo, s2
                                        ; implicit-def: $vgpr6_vgpr7
                                        ; implicit-def: $vgpr16_vgpr17
                                        ; implicit-def: $vgpr36_vgpr37
                                        ; implicit-def: $vgpr10_vgpr11
                                        ; implicit-def: $vgpr0
                                        ; implicit-def: $vgpr1
                                        ; implicit-def: $vgpr18_vgpr19
                                        ; implicit-def: $vgpr31
                                        ; implicit-def: $vgpr2_vgpr3
                                        ; implicit-def: $vgpr66
                                        ; implicit-def: $vgpr67
.LBB10_44:
	s_and_not1_saveexec_b32 s21, s1
	s_cbranch_execz .LBB10_1461
; %bb.45:
	s_cbranch_execnz .LBB10_1173
; %bb.46:
	ds_load_b64 v[4:5], v0
	s_mov_b32 s1, exec_lo
	s_waitcnt lgkmcnt(0)
	v_cmp_ne_u32_e32 vcc_lo, -1, v4
	v_cndmask_b32_e64 v50, 0, 1, vcc_lo
	v_cmp_ne_u32_e32 vcc_lo, -1, v5
	s_delay_alu instid0(VALU_DEP_2) | instskip(NEXT) | instid1(VALU_DEP_1)
	v_add_co_ci_u32_e64 v14, s0, 0, v50, vcc_lo
	v_lshlrev_b32_e32 v4, 1, v14
	s_delay_alu instid0(VALU_DEP_1)
	v_cmpx_le_i32_e64 v4, v1
	s_xor_b32 s19, exec_lo, s1
	s_cbranch_execz .LBB10_1458
; %bb.47:
	s_clause 0x2
	flat_load_b64 v[4:5], v[2:3] offset:104
	flat_load_u16 v13, v[2:3] offset:8
	flat_load_b32 v12, v[2:3] offset:4
	s_cbranch_execnz .LBB10_1175
; %bb.48:
	s_load_b32 s0, s[8:9], 0x0
	v_dual_mov_b32 v15, 0 :: v_dual_mov_b32 v30, 4
	s_waitcnt lgkmcnt(0)
	s_cmp_lt_u32 s12, s0
	s_cselect_b32 s0, 12, 18
	s_delay_alu instid0(SALU_CYCLE_1)
	s_add_u32 s0, s8, s0
	s_addc_u32 s1, s9, 0
	global_load_u16 v37, v15, s[0:1]
	ds_load_b32 v15, v0
	s_mov_b32 s1, exec_lo
	s_waitcnt lgkmcnt(0)
	v_readfirstlane_b32 s2, v15
	v_cmpx_ge_i32_e64 v0, v50
	s_cbranch_execz .LBB10_58
; %bb.49:
	v_cmp_le_u32_e64 s0, v14, v0
                                        ; implicit-def: $vgpr30
	s_delay_alu instid0(VALU_DEP_1) | instskip(NEXT) | instid1(SALU_CYCLE_1)
	s_and_saveexec_b32 s3, s0
	s_xor_b32 s0, exec_lo, s3
	s_cbranch_execz .LBB10_55
; %bb.50:
	v_cndmask_b32_e64 v15, 0, 1, vcc_lo
	s_mov_b32 s3, exec_lo
                                        ; implicit-def: $sgpr4
	s_delay_alu instid0(VALU_DEP_1) | instskip(NEXT) | instid1(VALU_DEP_1)
	v_sub_nc_u32_e32 v15, v1, v15
	v_cmpx_ge_u32_e64 v0, v15
	s_xor_b32 s3, exec_lo, s3
; %bb.51:
	s_mov_b32 s4, 16
                                        ; implicit-def: $vgpr14
; %bb.52:
	s_or_saveexec_b32 s3, s3
	v_mov_b32_e32 v30, s4
	s_xor_b32 exec_lo, exec_lo, s3
; %bb.53:
	v_sub_nc_u32_e32 v14, v1, v14
	s_delay_alu instid0(VALU_DEP_1) | instskip(SKIP_1) | instid1(VALU_DEP_1)
	v_cmp_ge_i32_e32 vcc_lo, v0, v14
	v_cndmask_b32_e64 v14, 0, 1, vcc_lo
	v_lshlrev_b32_e32 v30, 5, v14
; %bb.54:
	s_or_b32 exec_lo, exec_lo, s3
.LBB10_55:
	s_and_not1_saveexec_b32 s0, s0
; %bb.56:
	v_mov_b32_e32 v30, 8
; %bb.57:
	s_or_b32 exec_lo, exec_lo, s0
.LBB10_58:
	s_delay_alu instid0(SALU_CYCLE_1) | instskip(NEXT) | instid1(VALU_DEP_1)
	s_or_b32 exec_lo, exec_lo, s1
	v_and_b32_e32 v14, 36, v30
	v_mov_b32_e32 v28, -1
	s_delay_alu instid0(VALU_DEP_2)
	v_cmp_ne_u32_e32 vcc_lo, 0, v14
	s_and_saveexec_b32 s0, vcc_lo
	s_cbranch_execz .LBB10_61
; %bb.59:
	s_cbranch_execnz .LBB10_1177
; %bb.60:
	ds_load_b32 v28, v0
.LBB10_61:
	s_or_b32 exec_lo, exec_lo, s0
	v_and_b32_e32 v14, 24, v30
	s_mov_b32 s1, exec_lo
	s_delay_alu instid0(VALU_DEP_1)
	v_cmpx_ne_u32_e32 0, v14
	s_cbranch_execz .LBB10_64
; %bb.62:
	s_cbranch_execnz .LBB10_1179
; %bb.63:
	s_waitcnt lgkmcnt(0)
	ds_load_b32 v28, v0
.LBB10_64:
	s_or_b32 exec_lo, exec_lo, s1
	s_waitcnt vmcnt(1)
	v_lshrrev_b64 v[12:13], 31, v[12:13]
	v_mov_b32_e32 v22, 0
	v_mov_b32_e32 v23, 0
                                        ; implicit-def: $vgpr20_vgpr21
                                        ; implicit-def: $vgpr68
                                        ; implicit-def: $vgpr14_vgpr15
                                        ; implicit-def: $vgpr26_vgpr27
                                        ; implicit-def: $vgpr34_vgpr35
                                        ; implicit-def: $vgpr24_vgpr25
	s_delay_alu instid0(VALU_DEP_3) | instskip(NEXT) | instid1(VALU_DEP_2)
	v_and_b32_e32 v38, 3, v12
	v_dual_mov_b32 v12, v22 :: v_dual_mov_b32 v13, v23
	s_and_saveexec_b32 s0, vcc_lo
	s_cbranch_execz .LBB10_77
; %bb.65:
	s_cbranch_execnz .LBB10_1181
; %bb.66:
	ds_load_b64 v[12:13], v0
	s_waitcnt lgkmcnt(1)
	v_ashrrev_i32_e32 v29, 31, v28
	v_and_b32_e32 v20, 0xffff, v38
	s_mov_b32 s1, exec_lo
	s_delay_alu instid0(VALU_DEP_2) | instskip(SKIP_1) | instid1(VALU_DEP_1)
	v_lshlrev_b64 v[14:15], 3, v[28:29]
	s_waitcnt lgkmcnt(0)
	v_add_co_u32 v12, vcc_lo, v12, v14
	s_delay_alu instid0(VALU_DEP_2)
	v_add_co_ci_u32_e32 v13, vcc_lo, v13, v15, vcc_lo
	flat_load_b64 v[12:13], v[12:13]
	s_waitcnt vmcnt(0) lgkmcnt(0)
	v_mad_u64_u32 v[14:15], null, 0xa8, v20, v[12:13]
                                        ; implicit-def: $vgpr20_vgpr21
	flat_load_b32 v12, v[14:15] offset:640
	v_add_co_u32 v22, vcc_lo, 0x1f8, v14
	v_add_co_ci_u32_e32 v23, vcc_lo, 0, v15, vcc_lo
	s_waitcnt vmcnt(0) lgkmcnt(0)
	v_cmpx_eq_u32_e32 1, v12
	s_cbranch_execz .LBB10_69
; %bb.67:
	flat_load_b64 v[20:21], v[22:23] offset:144
	s_waitcnt vmcnt(0) lgkmcnt(0)
	flat_load_b64 v[12:13], v[20:21]
	s_cbranch_execnz .LBB10_1189
; %bb.68:
	s_waitcnt vmcnt(0) lgkmcnt(0)
	ds_store_b64 v0, v[12:13]
	flat_load_b64 v[12:13], v[20:21] offset:8
	v_or_b32_e32 v30, 0x2000, v30
	s_waitcnt vmcnt(0) lgkmcnt(0)
	ds_store_b64 v0, v[12:13]
	flat_load_b64 v[12:13], v[20:21] offset:16
	s_waitcnt vmcnt(0) lgkmcnt(0)
	ds_store_b64 v0, v[12:13]
.LBB10_69:
	s_or_b32 exec_lo, exec_lo, s1
	flat_load_b64 v[12:13], v[22:23] offset:104
	v_and_b32_e32 v24, 32, v30
	s_waitcnt vmcnt(0) lgkmcnt(0)
	v_add_co_u32 v12, vcc_lo, v12, 3
	v_add_co_ci_u32_e32 v15, vcc_lo, 0, v13, vcc_lo
	s_delay_alu instid0(VALU_DEP_3) | instskip(NEXT) | instid1(VALU_DEP_3)
	v_cmp_ne_u32_e32 vcc_lo, 0, v24
	v_and_b32_e32 v14, -4, v12
                                        ; implicit-def: $vgpr24_vgpr25
	s_and_saveexec_b32 s1, vcc_lo
	s_cbranch_execz .LBB10_71
; %bb.70:
	flat_load_b64 v[24:25], v[22:23] offset:56
	s_waitcnt vmcnt(0) lgkmcnt(0)
	s_waitcnt_vscnt null, 0x0
	flat_store_b64 v[24:25], v[14:15]
.LBB10_71:
	s_or_b32 exec_lo, exec_lo, s1
	v_and_b32_e32 v26, 4, v30
	v_mov_b32_e32 v12, 0
	v_mov_b32_e32 v13, 0
                                        ; implicit-def: $vgpr68
                                        ; implicit-def: $vgpr34_vgpr35
	s_delay_alu instid0(VALU_DEP_3)
	v_cmp_ne_u32_e32 vcc_lo, 0, v26
                                        ; implicit-def: $vgpr26_vgpr27
	s_and_saveexec_b32 s1, vcc_lo
	s_cbranch_execz .LBB10_76
; %bb.72:
	v_and_b32_e32 v12, 0x800, v30
	s_mov_b32 s3, exec_lo
	s_delay_alu instid0(VALU_DEP_1)
	v_cmpx_eq_u32_e32 0, v12
	s_cbranch_execz .LBB10_75
; %bb.73:
	s_cbranch_execnz .LBB10_1191
; %bb.74:
	ds_store_b64 v0, v[22:23]
.LBB10_75:
	s_or_b32 exec_lo, exec_lo, s3
	flat_load_b64 v[24:25], v[22:23] offset:48
	v_or_b32_e32 v29, 0x100, v30
	s_waitcnt vmcnt(0) lgkmcnt(0)
	flat_load_b64 v[34:35], v[24:25] glc
	s_clause 0x2
	flat_load_b64 v[12:13], v[22:23] offset:96
	flat_load_b32 v68, v[22:23] offset:72
	flat_load_b64 v[26:27], v[22:23] offset:16
	s_waitcnt vmcnt(2) lgkmcnt(2)
	v_cmp_eq_u64_e32 vcc_lo, 0, v[12:13]
	v_cndmask_b32_e32 v30, v29, v30, vcc_lo
.LBB10_76:
	s_or_b32 exec_lo, exec_lo, s1
.LBB10_77:
	s_delay_alu instid0(SALU_CYCLE_1) | instskip(NEXT) | instid1(VALU_DEP_1)
	s_or_b32 exec_lo, exec_lo, s0
	v_and_b32_e32 v29, 24, v30
	s_mov_b32 s0, exec_lo
                                        ; implicit-def: $vgpr32_vgpr33
	s_delay_alu instid0(VALU_DEP_1)
	v_cmpx_ne_u32_e32 0, v29
	s_cbranch_execz .LBB10_87
; %bb.78:
	s_cbranch_execnz .LBB10_1183
; %bb.79:
	ds_load_b64 v[12:13], v0
	s_waitcnt lgkmcnt(1)
	v_ashrrev_i32_e32 v29, 31, v28
	s_mov_b32 s1, exec_lo
                                        ; implicit-def: $vgpr32_vgpr33
	s_delay_alu instid0(VALU_DEP_1) | instskip(SKIP_2) | instid1(VALU_DEP_2)
	v_lshlrev_b64 v[14:15], 3, v[28:29]
	v_or_b32_e32 v28, 0x100, v30
	s_waitcnt lgkmcnt(0)
	v_add_co_u32 v12, vcc_lo, v12, v14
	s_delay_alu instid0(VALU_DEP_3)
	v_add_co_ci_u32_e32 v13, vcc_lo, v13, v15, vcc_lo
	v_and_b32_e32 v14, 0xffff, v38
	flat_load_b64 v[12:13], v[12:13]
	s_waitcnt vmcnt(0) lgkmcnt(0)
	v_mad_u64_u32 v[22:23], null, 0xa8, v14, v[12:13]
	flat_load_b128 v[12:15], v[22:23] offset:96
	s_waitcnt vmcnt(0) lgkmcnt(0)
	v_cmp_eq_u64_e32 vcc_lo, 0, v[12:13]
	v_cndmask_b32_e32 v30, v28, v30, vcc_lo
	s_delay_alu instid0(VALU_DEP_1) | instskip(NEXT) | instid1(VALU_DEP_1)
	v_and_b32_e32 v28, 16, v30
	v_cmpx_ne_u32_e32 0, v28
; %bb.80:
	s_clause 0x2
	flat_load_b64 v[32:33], v[22:23] offset:120
	flat_load_b64 v[24:25], v[22:23] offset:48
	;; [unrolled: 1-line block ×3, first 2 shown]
; %bb.81:
	s_or_b32 exec_lo, exec_lo, s1
	v_and_b32_e32 v28, 8, v30
	s_mov_b32 s1, exec_lo
	s_delay_alu instid0(VALU_DEP_1)
	v_cmpx_ne_u32_e32 0, v28
	s_cbranch_execz .LBB10_86
; %bb.82:
	s_waitcnt vmcnt(1) lgkmcnt(1)
	v_and_b32_e32 v24, 0x800, v30
	s_mov_b32 s3, exec_lo
	s_delay_alu instid0(VALU_DEP_1)
	v_cmpx_eq_u32_e32 0, v24
	s_cbranch_execz .LBB10_85
; %bb.83:
	s_cbranch_execnz .LBB10_1193
; %bb.84:
	ds_store_b64 v0, v[22:23]
.LBB10_85:
	s_or_b32 exec_lo, exec_lo, s3
	flat_load_b64 v[24:25], v[22:23] offset:56
	s_waitcnt vmcnt(0) lgkmcnt(0)
	flat_load_b64 v[34:35], v[24:25] glc
	s_clause 0x1
	flat_load_b32 v68, v[22:23] offset:72
	flat_load_b64 v[26:27], v[22:23] offset:16
.LBB10_86:
	s_or_b32 exec_lo, exec_lo, s1
	v_add_co_u32 v14, vcc_lo, v14, 3
	v_add_co_ci_u32_e32 v15, vcc_lo, 0, v15, vcc_lo
	s_delay_alu instid0(VALU_DEP_2)
	v_and_b32_e32 v14, -4, v14
.LBB10_87:
	s_or_b32 exec_lo, exec_lo, s0
	v_cmp_eq_u32_e64 s0, 0, v0
	s_delay_alu instid0(VALU_DEP_1)
	s_and_saveexec_b32 s1, s0
	s_cbranch_execz .LBB10_90
; %bb.88:
	s_waitcnt lgkmcnt(0)
	flat_load_b64 v[28:29], v[2:3] offset:32
	v_dual_mov_b32 v38, v10 :: v_dual_mov_b32 v39, v11
	v_dual_mov_b32 v48, v8 :: v_dual_mov_b32 v49, v9
	ds_store_2addr_b64 v0, v[38:39], v[48:49] offset1:1
	s_cbranch_execnz .LBB10_1185
; %bb.89:
	s_waitcnt vmcnt(0) lgkmcnt(1)
	ds_store_b64 v0, v[28:29]
	ds_store_b64 v0, v[4:5]
.LBB10_90:
	s_or_b32 exec_lo, exec_lo, s1
	s_waitcnt vmcnt(0) lgkmcnt(0)
	v_dual_mov_b32 v28, 0 :: v_dual_and_b32 v69, 0xffff, v37
	v_mov_b32_e32 v29, 0
	s_mov_b32 s20, exec_lo
	v_cmpx_ne_u64_e32 0, v[6:7]
	s_cbranch_execz .LBB10_1167
; %bb.91:
	flat_load_b32 v2, v[2:3] offset:4
	v_and_b32_e32 v3, 31, v31
	v_mov_b32_e32 v37, 0
	s_mov_b32 s22, 0
	s_delay_alu instid0(VALU_DEP_2)
	v_cmp_eq_u32_e64 s1, 0, v3
	s_cbranch_execnz .LBB10_1187
; %bb.92:
	v_cvt_f64_u32_e32 v[3:4], 0
	v_dual_mov_b32 v48, 0 :: v_dual_lshlrev_b32 v5, 9, v36
	v_lshrrev_b32_e32 v82, 5, v1
	v_and_b32_e32 v87, 0xffffffe0, v1
	s_delay_alu instid0(VALU_DEP_3) | instskip(SKIP_1) | instid1(VALU_DEP_4)
	v_dual_mov_b32 v49, 0 :: v_dual_and_b32 v70, 0x3ffffe00, v5
	v_ashrrev_i32_e32 v5, 31, v0
	v_lshlrev_b32_e32 v84, 9, v82
	s_delay_alu instid0(VALU_DEP_4)
	v_subrev_nc_u32_e32 v99, 32, v87
	s_waitcnt vmcnt(0) lgkmcnt(0)
	v_and_b32_e32 v2, 1, v2
	v_cvt_f64_u32_e32 v[28:29], v70
	v_lshrrev_b32_e32 v5, 27, v5
	s_ashr_i32 s3, s2, 31
	v_ashrrev_i32_e32 v102, 31, v99
	s_lshr_b32 s3, s3, 25
	v_cmp_eq_u32_e32 vcc_lo, 32, v1
	v_add_nc_u32_e32 v5, v0, v5
	s_add_i32 s2, s2, s3
	v_cmp_eq_u64_e64 s7, 0, v[32:33]
	v_cmp_ne_u64_e64 s10, 0, v[32:33]
	s_ashr_i32 s23, s2, 7
	v_ashrrev_i32_e32 v71, 5, v5
	v_ashrrev_i32_e32 v80, 31, v68
	v_cmp_ne_u32_e64 s2, 32, v1
	v_cmp_ne_u32_e64 s3, v69, v1
	s_cmp_gt_i32 s18, 2
	v_mov_b32_e32 v117, 1
	s_cselect_b32 s24, -1, 0
	s_add_i32 s26, s18, -2
	s_xor_b32 s27, vcc_lo, -1
	v_ldexp_f64 v[3:4], v[3:4], 32
	s_delay_alu instid0(VALU_DEP_1) | instskip(SKIP_2) | instid1(VALU_DEP_2)
	v_add_f64 v[3:4], v[3:4], v[28:29]
	v_and_b32_e32 v28, 0xffffffe0, v5
	v_lshlrev_b32_e32 v5, 10, v71
	v_sub_nc_u32_e32 v81, v0, v28
	v_lshl_add_u32 v28, v82, 10, 0xfffffc00
	s_delay_alu instid0(VALU_DEP_2) | instskip(NEXT) | instid1(VALU_DEP_2)
	v_cmp_gt_i32_e64 s4, 1, v81
	v_ashrrev_i32_e32 v29, 31, v28
	v_add_co_u32 v96, s6, 0x400, v28
	v_cmp_le_i32_e64 s5, v81, v50
	v_cmp_lt_i32_e64 s11, v81, v50
	s_delay_alu instid0(VALU_DEP_4) | instskip(SKIP_3) | instid1(VALU_DEP_2)
	v_add_co_ci_u32_e64 v97, s6, 0, v29, s6
	v_dual_mov_b32 v28, v48 :: v_dual_mov_b32 v29, v49
	v_add_nc_u32_e32 v86, 0xfffffe00, v84
	v_lshl_add_u32 v83, v81, 4, v5
	v_ashrrev_i32_e32 v98, 31, v86
	v_add_co_u32 v100, s6, 0x200, v86
	s_delay_alu instid0(VALU_DEP_3) | instskip(SKIP_1) | instid1(VALU_DEP_4)
	v_add_nc_u32_e32 v103, v83, v5
	v_ashrrev_i32_e32 v85, 31, v83
	v_add_co_ci_u32_e64 v101, s6, 0, v98, s6
	v_add_co_u32 v112, s6, v99, 32
	s_delay_alu instid0(VALU_DEP_1) | instskip(SKIP_3) | instid1(VALU_DEP_1)
	v_add_co_ci_u32_e64 v113, s6, 0, v102, s6
	v_ashrrev_i32_e32 v114, 31, v103
	v_max_f64 v[38:39], v[3:4], v[3:4]
	v_lshl_add_u32 v3, v82, 11, 0xfffff800
	v_ashrrev_i32_e32 v4, 31, v3
	v_add_co_u32 v115, s6, 0x800, v3
	s_delay_alu instid0(VALU_DEP_1) | instskip(SKIP_1) | instid1(VALU_DEP_1)
	v_add_co_ci_u32_e64 v116, s6, 0, v4, s6
	v_cmp_eq_u32_e64 s6, 1, v2
	s_xor_b32 s25, s6, -1
.LBB10_93:                              ; =>This Loop Header: Depth=1
                                        ;     Child Loop BB10_96 Depth 2
                                        ;       Child Loop BB10_105 Depth 3
                                        ;       Child Loop BB10_132 Depth 3
	;; [unrolled: 1-line block ×5, first 2 shown]
                                        ;         Child Loop BB10_187 Depth 4
                                        ;       Child Loop BB10_198 Depth 3
                                        ;       Child Loop BB10_204 Depth 3
                                        ;         Child Loop BB10_205 Depth 4
                                        ;       Child Loop BB10_219 Depth 3
                                        ;       Child Loop BB10_225 Depth 3
                                        ;       Child Loop BB10_235 Depth 3
                                        ;       Child Loop BB10_241 Depth 3
                                        ;       Child Loop BB10_253 Depth 3
                                        ;       Child Loop BB10_279 Depth 3
                                        ;     Child Loop BB10_300 Depth 2
                                        ;       Child Loop BB10_306 Depth 3
                                        ;       Child Loop BB10_333 Depth 3
	;; [unrolled: 1-line block ×3, first 2 shown]
                                        ;     Child Loop BB10_383 Depth 2
                                        ;       Child Loop BB10_392 Depth 3
                                        ;       Child Loop BB10_419 Depth 3
	;; [unrolled: 1-line block ×9, first 2 shown]
                                        ;     Child Loop BB10_546 Depth 2
                                        ;       Child Loop BB10_552 Depth 3
                                        ;       Child Loop BB10_579 Depth 3
	;; [unrolled: 1-line block ×3, first 2 shown]
                                        ;     Child Loop BB10_628 Depth 2
                                        ;       Child Loop BB10_630 Depth 3
                                        ;         Child Loop BB10_639 Depth 4
                                        ;         Child Loop BB10_671 Depth 4
	;; [unrolled: 1-line block ×5, first 2 shown]
                                        ;           Child Loop BB10_726 Depth 5
                                        ;         Child Loop BB10_737 Depth 4
                                        ;         Child Loop BB10_743 Depth 4
                                        ;           Child Loop BB10_744 Depth 5
                                        ;         Child Loop BB10_758 Depth 4
                                        ;         Child Loop BB10_764 Depth 4
	;; [unrolled: 1-line block ×6, first 2 shown]
                                        ;       Child Loop BB10_839 Depth 3
                                        ;         Child Loop BB10_845 Depth 4
                                        ;         Child Loop BB10_877 Depth 4
	;; [unrolled: 1-line block ×3, first 2 shown]
                                        ;     Child Loop BB10_927 Depth 2
                                        ;       Child Loop BB10_936 Depth 3
                                        ;       Child Loop BB10_963 Depth 3
	;; [unrolled: 1-line block ×9, first 2 shown]
                                        ;     Child Loop BB10_1088 Depth 2
                                        ;       Child Loop BB10_1094 Depth 3
                                        ;       Child Loop BB10_1121 Depth 3
                                        ;       Child Loop BB10_1148 Depth 3
	flat_load_b32 v36, v[18:19]
	v_sub_co_u32 v4, vcc_lo, v6, v48
	v_sub_co_ci_u32_e32 v2, vcc_lo, v7, v49, vcc_lo
	v_add_co_u32 v50, vcc_lo, v48, v16
	s_delay_alu instid0(VALU_DEP_3) | instskip(NEXT) | instid1(VALU_DEP_3)
	v_cvt_f64_u32_e32 v[4:5], v4
	v_cvt_f64_u32_e32 v[2:3], v2
	v_add_co_ci_u32_e32 v51, vcc_lo, v49, v17, vcc_lo
	s_mov_b32 s13, exec_lo
	s_delay_alu instid0(VALU_DEP_2) | instskip(NEXT) | instid1(VALU_DEP_1)
	v_ldexp_f64 v[2:3], v[2:3], 32
	v_add_f64 v[2:3], v[2:3], v[4:5]
	s_delay_alu instid0(VALU_DEP_1) | instskip(NEXT) | instid1(VALU_DEP_1)
	v_min_f64 v[2:3], v[38:39], v[2:3]
	v_cvt_i32_f64_e32 v52, v[2:3]
	s_delay_alu instid0(VALU_DEP_1) | instskip(SKIP_1) | instid1(VALU_DEP_2)
	v_max_i32_e32 v118, 0, v52
	v_cmp_lt_i32_e64 s12, 0, v52
	v_add_nc_u32_e32 v2, 31, v118
	s_delay_alu instid0(VALU_DEP_1) | instskip(NEXT) | instid1(VALU_DEP_1)
	v_ashrrev_i32_e32 v3, 31, v2
	v_lshrrev_b32_e32 v3, 27, v3
	s_waitcnt vmcnt(0) lgkmcnt(0)
	v_ashrrev_i32_e32 v4, 31, v36
	v_mul_lo_u32 v5, v67, v36
	v_mad_u64_u32 v[54:55], null, v66, v36, v[50:51]
	v_add_nc_u32_e32 v36, v2, v3
	s_delay_alu instid0(VALU_DEP_4) | instskip(SKIP_2) | instid1(VALU_DEP_4)
	v_mul_lo_u32 v4, v66, v4
	v_add_co_u32 v2, vcc_lo, v10, v50
	v_add_co_ci_u32_e32 v3, vcc_lo, v11, v51, vcc_lo
	v_ashrrev_i32_e32 v36, 5, v36
	s_delay_alu instid0(VALU_DEP_4) | instskip(SKIP_1) | instid1(VALU_DEP_3)
	v_add3_u32 v55, v5, v55, v4
	v_add_co_u32 v4, vcc_lo, v8, v54
	v_lshlrev_b32_e32 v36, 4, v36
	s_delay_alu instid0(VALU_DEP_3) | instskip(NEXT) | instid1(VALU_DEP_2)
	v_add_co_ci_u32_e32 v5, vcc_lo, v9, v55, vcc_lo
	v_max_i32_e32 v119, s23, v36
	s_delay_alu instid0(VALU_DEP_2)
	v_cmpx_ne_u64_e64 v[2:3], v[4:5]
	s_xor_b32 s28, exec_lo, s13
                                        ; implicit-def: $vgpr45 : SGPR spill to VGPR lane
	s_cbranch_execz .LBB10_380
; %bb.94:                               ;   in Loop: Header=BB10_93 Depth=1
	v_mov_b32_e32 v2, 0
	v_mov_b32_e32 v52, v119
	;; [unrolled: 1-line block ×3, first 2 shown]
	s_mov_b32 vcc_hi, 0
	s_and_saveexec_b32 s29, s12
	s_cbranch_execz .LBB10_298
; %bb.95:                               ;   in Loop: Header=BB10_93 Depth=1
	v_mov_b32_e32 v128, 0
	v_mov_b32_e32 v52, v119
	s_mov_b32 s15, 1
	s_mov_b32 s14, -1
.LBB10_96:                              ;   Parent Loop BB10_93 Depth=1
                                        ; =>  This Loop Header: Depth=2
                                        ;       Child Loop BB10_105 Depth 3
                                        ;       Child Loop BB10_132 Depth 3
	;; [unrolled: 1-line block ×5, first 2 shown]
                                        ;         Child Loop BB10_187 Depth 4
                                        ;       Child Loop BB10_198 Depth 3
                                        ;       Child Loop BB10_204 Depth 3
                                        ;         Child Loop BB10_205 Depth 4
                                        ;       Child Loop BB10_219 Depth 3
                                        ;       Child Loop BB10_225 Depth 3
	;; [unrolled: 1-line block ×6, first 2 shown]
	s_and_saveexec_b32 s16, s0
	s_cbranch_execz .LBB10_99
; %bb.97:                               ;   in Loop: Header=BB10_96 Depth=2
	s_cbranch_execnz .LBB10_1226
; %bb.98:                               ;   in Loop: Header=BB10_96 Depth=2
	ds_load_2addr_b64 v[2:5], v0 offset1:1
	ds_load_b64 v[64:65], v0
	v_ashrrev_i32_e32 v36, 31, v128
	s_waitcnt lgkmcnt(1)
	v_add_co_u32 v2, vcc_lo, v2, v50
	v_add_co_ci_u32_e32 v3, vcc_lo, v3, v51, vcc_lo
	v_add_co_u32 v4, vcc_lo, v4, v54
	v_add_co_ci_u32_e32 v5, vcc_lo, v5, v55, vcc_lo
	s_waitcnt lgkmcnt(0)
	v_add_co_u32 v53, vcc_lo, v64, v54
	v_add_co_ci_u32_e32 v129, vcc_lo, v65, v55, vcc_lo
	v_add_co_u32 v2, vcc_lo, v2, v128
	v_add_co_ci_u32_e32 v3, vcc_lo, v3, v36, vcc_lo
	s_delay_alu instid0(VALU_DEP_4) | instskip(NEXT) | instid1(VALU_DEP_4)
	v_add_co_u32 v53, vcc_lo, v53, v128
	v_add_co_ci_u32_e32 v129, vcc_lo, v129, v36, vcc_lo
	v_cmp_ne_u64_e32 vcc_lo, 0, v[64:65]
	v_add_co_u32 v4, s13, v4, v128
	s_delay_alu instid0(VALU_DEP_1) | instskip(NEXT) | instid1(VALU_DEP_4)
	v_add_co_ci_u32_e64 v5, s13, v5, v36, s13
	v_cndmask_b32_e32 v65, 0, v129, vcc_lo
	v_cndmask_b32_e32 v64, 0, v53, vcc_lo
	ds_store_b64 v0, v[2:3]
	ds_store_b64 v0, v[4:5]
	;; [unrolled: 1-line block ×3, first 2 shown]
.LBB10_99:                              ;   in Loop: Header=BB10_96 Depth=2
	s_or_b32 exec_lo, exec_lo, s16
	v_and_b32_e32 v2, 8, v30
	s_mov_b32 s16, -1
	s_mov_b32 s13, exec_lo
	s_delay_alu instid0(VALU_DEP_1)
	v_cmpx_ne_u32_e32 0, v2
	s_cbranch_execz .LBB10_113
; %bb.100:                              ;   in Loop: Header=BB10_96 Depth=2
	v_add_co_u32 v4, vcc_lo, v34, 8
	v_add_co_ci_u32_e32 v5, vcc_lo, 0, v35, vcc_lo
	v_add_co_u32 v2, vcc_lo, v14, 2
	v_add_co_ci_u32_e32 v3, vcc_lo, 0, v15, vcc_lo
	s_delay_alu instid0(VALU_DEP_1)
	v_cmp_lt_u64_e32 vcc_lo, v[4:5], v[2:3]
	v_mov_b32_e32 v4, 1
	s_and_saveexec_b32 s16, vcc_lo
	s_cbranch_execz .LBB10_112
; %bb.101:                              ;   in Loop: Header=BB10_96 Depth=2
	v_mov_b32_e32 v4, 0
	s_mov_b32 s17, 0
                                        ; implicit-def: $sgpr30
	s_branch .LBB10_105
.LBB10_102:                             ;   in Loop: Header=BB10_105 Depth=3
	s_or_b32 exec_lo, exec_lo, s36
	v_mov_b32_e32 v5, 0
	s_or_not1_b32 s35, s35, exec_lo
.LBB10_103:                             ;   in Loop: Header=BB10_105 Depth=3
	s_or_b32 exec_lo, exec_lo, s34
	s_delay_alu instid0(VALU_DEP_1) | instskip(SKIP_2) | instid1(SALU_CYCLE_1)
	v_mov_b32_e32 v4, v5
	s_and_not1_b32 vcc_lo, s30, exec_lo
	s_and_b32 s30, s35, exec_lo
	s_or_b32 s30, vcc_lo, s30
.LBB10_104:                             ;   in Loop: Header=BB10_105 Depth=3
	s_or_b32 exec_lo, exec_lo, s31
	s_waitcnt vmcnt(0) lgkmcnt(0)
	v_add_co_u32 v64, vcc_lo, v34, 8
	v_add_co_ci_u32_e32 v65, vcc_lo, 0, v35, vcc_lo
	s_xor_b32 s31, s30, -1
	s_delay_alu instid0(VALU_DEP_1) | instskip(SKIP_1) | instid1(SALU_CYCLE_1)
	v_cmp_ge_u64_e32 vcc_lo, v[64:65], v[2:3]
	s_or_b32 vcc_lo, s31, vcc_lo
	s_and_b32 vcc_lo, exec_lo, vcc_lo
	s_delay_alu instid0(SALU_CYCLE_1) | instskip(NEXT) | instid1(SALU_CYCLE_1)
	s_or_b32 s17, vcc_lo, s17
	s_and_not1_b32 exec_lo, exec_lo, s17
	s_cbranch_execz .LBB10_111
.LBB10_105:                             ;   Parent Loop BB10_93 Depth=1
                                        ;     Parent Loop BB10_96 Depth=2
                                        ; =>    This Inner Loop Header: Depth=3
	s_sleep 1
	flat_load_b64 v[34:35], v[24:25] glc
	v_and_b32_e32 v5, 64, v30
	s_and_not1_b32 s30, s30, exec_lo
	s_mov_b32 s31, exec_lo
	s_delay_alu instid0(VALU_DEP_1)
	v_cmpx_eq_u32_e32 0, v5
	s_cbranch_execz .LBB10_104
; %bb.106:                              ;   in Loop: Header=BB10_105 Depth=3
	v_add_nc_u32_e32 v5, 1, v4
	s_mov_b32 s35, -1
	s_mov_b32 s34, exec_lo
	v_cmpx_lt_i32_e32 0x270e, v4
	s_cbranch_execz .LBB10_103
; %bb.107:                              ;   in Loop: Header=BB10_105 Depth=3
	s_cbranch_execnz .LBB10_1238
; %bb.108:                              ;   in Loop: Header=BB10_105 Depth=3
	ds_load_b64 v[4:5], v0
	s_mov_b32 s36, exec_lo
	s_waitcnt vmcnt(0) lgkmcnt(0)
	s_waitcnt_vscnt null, 0x0
	flat_load_b32 v4, v[4:5] glc
	s_waitcnt vmcnt(0) lgkmcnt(0)
	buffer_gl1_inv
	buffer_gl0_inv
	v_cmpx_ne_u32_e32 0, v4
	s_cbranch_execz .LBB10_102
; %bb.109:                              ;   in Loop: Header=BB10_105 Depth=3
	ds_store_b32 v0, v4
	s_cbranch_execnz .LBB10_1291
; %bb.110:                              ;   in Loop: Header=BB10_105 Depth=3
	v_or_b32_e32 v30, 64, v30
	s_xor_b32 s35, exec_lo, -1
	s_branch .LBB10_102
.LBB10_111:                             ;   in Loop: Header=BB10_96 Depth=2
	s_or_b32 exec_lo, exec_lo, s17
	v_and_b32_e32 v4, 8, v30
.LBB10_112:                             ;   in Loop: Header=BB10_96 Depth=2
	s_or_b32 exec_lo, exec_lo, s16
	s_delay_alu instid0(VALU_DEP_1)
	v_cmp_eq_u32_e32 vcc_lo, 0, v4
	;;#ASMSTART
	s_wakeup
	;;#ASMEND
	s_or_not1_b32 s16, vcc_lo, exec_lo
.LBB10_113:                             ;   in Loop: Header=BB10_96 Depth=2
	s_or_b32 exec_lo, exec_lo, s13
	v_sub_nc_u32_e32 v2, v118, v128
	s_xor_b32 s13, s16, -1
	s_delay_alu instid0(VALU_DEP_1)
	v_min_i32_e32 v52, v52, v2
	s_and_saveexec_b32 s16, s13
	s_cbranch_execz .LBB10_123
; %bb.114:                              ;   in Loop: Header=BB10_96 Depth=2
	v_and_b32_e32 v2, 0x100, v30
	v_and_b32_e32 v36, 7, v14
	s_mov_b32 s13, -1
	s_delay_alu instid0(VALU_DEP_2)
	v_cmp_ne_u32_e32 vcc_lo, 0, v2
                                        ; implicit-def: $vgpr2_vgpr3
	s_and_saveexec_b32 s17, vcc_lo
	s_cbranch_execz .LBB10_118
; %bb.115:                              ;   in Loop: Header=BB10_96 Depth=2
	v_mad_u64_u32 v[4:5], null, v36, 24, v[12:13]
	v_ashrrev_i32_e32 v53, 31, v52
	flat_load_b32 v2, v[4:5]
	flat_store_b64 v[4:5], v[52:53] offset:8
	s_waitcnt vmcnt(0) lgkmcnt(1)
	v_cmp_ne_u32_e32 vcc_lo, 1, v2
	v_cmp_eq_u32_e64 s13, 1, v2
                                        ; implicit-def: $vgpr2_vgpr3
	s_delay_alu instid0(VALU_DEP_1)
	s_and_saveexec_b32 s30, s13
	s_cbranch_execz .LBB10_117
; %bb.116:                              ;   in Loop: Header=BB10_96 Depth=2
	flat_load_b32 v2, v[4:5] offset:4 glc
	s_waitcnt vmcnt(0) lgkmcnt(0)
	v_ashrrev_i32_e32 v3, 31, v2
.LBB10_117:                             ;   in Loop: Header=BB10_96 Depth=2
	s_or_b32 exec_lo, exec_lo, s30
	s_delay_alu instid0(SALU_CYCLE_1)
	s_or_not1_b32 s13, vcc_lo, exec_lo
.LBB10_118:                             ;   in Loop: Header=BB10_96 Depth=2
	s_or_b32 exec_lo, exec_lo, s17
	s_and_saveexec_b32 s17, s13
; %bb.119:                              ;   in Loop: Header=BB10_96 Depth=2
	v_mad_i64_i32 v[2:3], null, v36, v68, 0
; %bb.120:                              ;   in Loop: Header=BB10_96 Depth=2
	s_or_b32 exec_lo, exec_lo, s17
	s_delay_alu instid0(VALU_DEP_1) | instskip(SKIP_1) | instid1(VALU_DEP_3)
	v_add_co_u32 v2, vcc_lo, v26, v2
	v_and_b32_e32 v4, 0x2000, v30
	v_add_co_ci_u32_e32 v3, vcc_lo, v27, v3, vcc_lo
	s_mov_b32 s13, exec_lo
	ds_store_b64 v0, v[2:3] offset:792
	v_cmpx_ne_u32_e32 0, v4
	s_cbranch_execz .LBB10_122
; %bb.121:                              ;   in Loop: Header=BB10_96 Depth=2
	ds_load_b64 v[2:3], v0 offset:584
	s_waitcnt lgkmcnt(0)
	v_add_co_u32 v2, vcc_lo, v2, 1
	v_add_co_ci_u32_e32 v3, vcc_lo, 0, v3, vcc_lo
	ds_store_b64 v0, v[2:3] offset:584
.LBB10_122:                             ;   in Loop: Header=BB10_96 Depth=2
	s_or_b32 exec_lo, exec_lo, s13
	v_add_co_u32 v14, vcc_lo, v14, 2
	v_add_co_ci_u32_e32 v15, vcc_lo, 0, v15, vcc_lo
.LBB10_123:                             ;   in Loop: Header=BB10_96 Depth=2
	s_or_b32 exec_lo, exec_lo, s16
	s_and_saveexec_b32 s13, s2
	s_cbranch_execz .LBB10_145
; %bb.124:                              ;   in Loop: Header=BB10_96 Depth=2
	s_and_saveexec_b32 s16, s3
	s_delay_alu instid0(SALU_CYCLE_1)
	s_xor_b32 s16, exec_lo, s16
	s_cbranch_execz .LBB10_142
; %bb.125:                              ;   in Loop: Header=BB10_96 Depth=2
	s_and_saveexec_b32 s17, s1
	s_cbranch_execz .LBB10_141
; %bb.126:                              ;   in Loop: Header=BB10_96 Depth=2
	s_mov_b32 s31, exec_lo
	s_mov_b32 s30, exec_lo
	v_mbcnt_lo_u32_b32 v2, s31, 0
	s_waitcnt lgkmcnt(0)
	s_waitcnt_vscnt null, 0x0
	buffer_gl1_inv
	buffer_gl0_inv
	v_cmpx_eq_u32_e32 0, v2
	s_cbranch_execz .LBB10_128
; %bb.127:                              ;   in Loop: Header=BB10_96 Depth=2
	s_bcnt1_i32_b32 vcc_lo, s31
	s_delay_alu instid0(SALU_CYCLE_1)
	v_mov_b32_e32 v36, vcc_lo
	ds_add_u64 v0, v[36:37]
	s_cbranch_execnz .LBB10_1309
.LBB10_128:                             ;   in Loop: Header=BB10_96 Depth=2
	s_or_b32 exec_lo, exec_lo, s30
	s_cbranch_execnz .LBB10_1295
; %bb.129:                              ;   in Loop: Header=BB10_96 Depth=2
	ds_load_b64 v[2:3], v0
	v_add_co_u32 v28, vcc_lo, v28, v82
	v_add_co_ci_u32_e32 v29, vcc_lo, 0, v29, vcc_lo
	s_mov_b32 s30, exec_lo
	s_waitcnt lgkmcnt(0)
	s_delay_alu instid0(VALU_DEP_1)
	v_cmpx_lt_u64_e64 v[2:3], v[28:29]
	s_cbranch_execz .LBB10_140
; %bb.130:                              ;   in Loop: Header=BB10_96 Depth=2
	s_mov_b32 s31, 0
	s_mov_b32 s36, 0
                                        ; implicit-def: $sgpr34
                                        ; implicit-def: $sgpr35
	s_branch .LBB10_132
.LBB10_131:                             ;   in Loop: Header=BB10_132 Depth=3
	s_or_b32 exec_lo, exec_lo, s38
	s_delay_alu instid0(SALU_CYCLE_1) | instskip(NEXT) | instid1(SALU_CYCLE_1)
	s_and_b32 vcc_lo, exec_lo, vcc_lo
	s_or_b32 s31, vcc_lo, s31
	s_and_not1_b32 vcc_lo, s34, exec_lo
	s_and_b32 s34, s35, exec_lo
	s_delay_alu instid0(SALU_CYCLE_1)
	s_or_b32 s34, vcc_lo, s34
	s_and_not1_b32 exec_lo, exec_lo, s31
	s_cbranch_execz .LBB10_138
.LBB10_132:                             ;   Parent Loop BB10_93 Depth=1
                                        ;     Parent Loop BB10_96 Depth=2
                                        ; =>    This Inner Loop Header: Depth=3
	s_add_i32 s36, s36, 1
                                        ; implicit-def: $sgpr38
	s_delay_alu instid0(SALU_CYCLE_1) | instskip(SKIP_1) | instid1(SALU_CYCLE_1)
	s_cmpk_lg_i32 s36, 0x2710
	s_cselect_b32 s37, -1, 0
	s_and_b32 vcc_lo, exec_lo, s37
	s_cbranch_vccz .LBB10_136
.LBB10_133:                             ;   in Loop: Header=BB10_132 Depth=3
	s_and_not1_b32 s35, s35, exec_lo
	s_and_b32 s38, s38, exec_lo
	s_mov_b32 vcc_lo, -1
	s_or_b32 s35, s35, s38
	s_and_saveexec_b32 s38, s37
	s_cbranch_execz .LBB10_131
; %bb.134:                              ;   in Loop: Header=BB10_132 Depth=3
	s_sleep 1
	s_cbranch_execnz .LBB10_1359
; %bb.135:                              ;   in Loop: Header=BB10_132 Depth=3
	ds_load_b64 v[2:3], v0
	s_and_not1_b32 s35, s35, exec_lo
	s_waitcnt lgkmcnt(0)
	v_cmp_ge_u64_e32 vcc_lo, v[2:3], v[28:29]
	s_or_not1_b32 vcc_lo, vcc_lo, exec_lo
	s_branch .LBB10_131
.LBB10_136:                             ;   in Loop: Header=BB10_132 Depth=3
	s_cbranch_execnz .LBB10_1369
; %bb.137:                              ;   in Loop: Header=BB10_132 Depth=3
	ds_load_b64 v[2:3], v0
	s_and_not1_b32 s37, s37, exec_lo
	s_mov_b32 s36, 0
	s_mov_b32 s38, -1
	s_waitcnt lgkmcnt(0)
	flat_load_b32 v2, v[2:3] glc
	s_waitcnt vmcnt(0) lgkmcnt(0)
	buffer_gl1_inv
	buffer_gl0_inv
	v_cmp_eq_u32_e32 vcc_lo, 0, v2
	s_and_b32 vcc_lo, vcc_lo, exec_lo
	s_delay_alu instid0(SALU_CYCLE_1)
	s_or_b32 s37, s37, vcc_lo
	s_branch .LBB10_133
.LBB10_138:                             ;   in Loop: Header=BB10_96 Depth=2
	s_or_b32 exec_lo, exec_lo, s31
	s_and_saveexec_b32 vcc_lo, s34
	s_delay_alu instid0(SALU_CYCLE_1)
	s_xor_b32 vcc_lo, exec_lo, vcc_lo
	s_cbranch_execz .LBB10_140
; %bb.139:                              ;   in Loop: Header=BB10_96 Depth=2
	ds_store_b32 v0, v117
	s_cbranch_execnz .LBB10_1564
.LBB10_140:                             ;   in Loop: Header=BB10_96 Depth=2
	s_or_b32 exec_lo, exec_lo, s30
	;;#ASMSTART
	s_wakeup
	;;#ASMEND
.LBB10_141:                             ;   in Loop: Header=BB10_96 Depth=2
	s_or_b32 exec_lo, exec_lo, s17
.LBB10_142:                             ;   in Loop: Header=BB10_96 Depth=2
	s_and_not1_saveexec_b32 s16, s16
	s_cbranch_execz .LBB10_144
; %bb.143:                              ;   in Loop: Header=BB10_96 Depth=2
	s_waitcnt lgkmcnt(0)
	s_waitcnt_vscnt null, 0x0
	buffer_gl1_inv
	buffer_gl0_inv
	s_barrier
.LBB10_144:                             ;   in Loop: Header=BB10_96 Depth=2
	s_or_b32 exec_lo, exec_lo, s16
.LBB10_145:                             ;   in Loop: Header=BB10_96 Depth=2
	s_delay_alu instid0(SALU_CYCLE_1)
	s_or_b32 exec_lo, exec_lo, s13
	s_cbranch_execnz .LBB10_1222
; %bb.146:                              ;   in Loop: Header=BB10_96 Depth=2
	ds_load_b32 v2, v0
	v_and_b32_e32 v3, 0x4000, v30
	v_writelane_b32 v45, s15, 0
	s_delay_alu instid0(VALU_DEP_2) | instskip(SKIP_2) | instid1(SALU_CYCLE_1)
	v_cmp_ne_u32_e32 vcc_lo, 0, v3
	v_writelane_b32 v45, s14, 1
	s_and_b32 s14, s27, vcc_lo
	s_and_saveexec_b32 s13, s14
	s_cbranch_execz .LBB10_168
; %bb.147:                              ;   in Loop: Header=BB10_96 Depth=2
	s_and_saveexec_b32 s14, s3
	s_delay_alu instid0(SALU_CYCLE_1)
	s_xor_b32 s14, exec_lo, s14
	s_cbranch_execz .LBB10_165
; %bb.148:                              ;   in Loop: Header=BB10_96 Depth=2
	s_and_saveexec_b32 s15, s1
	s_cbranch_execz .LBB10_164
; %bb.149:                              ;   in Loop: Header=BB10_96 Depth=2
	s_mov_b32 s17, exec_lo
	s_mov_b32 s16, exec_lo
	v_mbcnt_lo_u32_b32 v3, s17, 0
	s_waitcnt lgkmcnt(0)
	s_waitcnt_vscnt null, 0x0
	buffer_gl1_inv
	buffer_gl0_inv
	v_cmpx_eq_u32_e32 0, v3
	s_cbranch_execz .LBB10_151
; %bb.150:                              ;   in Loop: Header=BB10_96 Depth=2
	s_bcnt1_i32_b32 s17, s17
	s_delay_alu instid0(SALU_CYCLE_1)
	v_mov_b32_e32 v36, s17
	ds_add_u64 v0, v[36:37]
	s_cbranch_execnz .LBB10_1353
.LBB10_151:                             ;   in Loop: Header=BB10_96 Depth=2
	s_or_b32 exec_lo, exec_lo, s16
	s_cbranch_execnz .LBB10_1331
; %bb.152:                              ;   in Loop: Header=BB10_96 Depth=2
	ds_load_b64 v[3:4], v0
	v_add_co_u32 v28, vcc_lo, v28, v82
	v_add_co_ci_u32_e32 v29, vcc_lo, 0, v29, vcc_lo
	s_mov_b32 s16, exec_lo
	s_waitcnt lgkmcnt(0)
	s_delay_alu instid0(VALU_DEP_1)
	v_cmpx_lt_u64_e64 v[3:4], v[28:29]
	s_cbranch_execz .LBB10_163
; %bb.153:                              ;   in Loop: Header=BB10_96 Depth=2
	s_mov_b32 s17, 0
	s_mov_b32 s34, 0
                                        ; implicit-def: $sgpr30
                                        ; implicit-def: $sgpr31
	s_branch .LBB10_155
.LBB10_154:                             ;   in Loop: Header=BB10_155 Depth=3
	s_or_b32 exec_lo, exec_lo, s36
	s_delay_alu instid0(SALU_CYCLE_1) | instskip(NEXT) | instid1(SALU_CYCLE_1)
	s_and_b32 vcc_lo, exec_lo, vcc_lo
	s_or_b32 s17, vcc_lo, s17
	s_and_not1_b32 vcc_lo, s30, exec_lo
	s_and_b32 s30, s31, exec_lo
	s_delay_alu instid0(SALU_CYCLE_1)
	s_or_b32 s30, vcc_lo, s30
	s_and_not1_b32 exec_lo, exec_lo, s17
	s_cbranch_execz .LBB10_161
.LBB10_155:                             ;   Parent Loop BB10_93 Depth=1
                                        ;     Parent Loop BB10_96 Depth=2
                                        ; =>    This Inner Loop Header: Depth=3
	s_add_i32 s34, s34, 1
                                        ; implicit-def: $sgpr36
	s_delay_alu instid0(SALU_CYCLE_1) | instskip(SKIP_1) | instid1(SALU_CYCLE_1)
	s_cmpk_lg_i32 s34, 0x2710
	s_cselect_b32 s35, -1, 0
	s_and_b32 vcc_lo, exec_lo, s35
	s_cbranch_vccz .LBB10_159
.LBB10_156:                             ;   in Loop: Header=BB10_155 Depth=3
	s_and_not1_b32 s31, s31, exec_lo
	s_and_b32 s36, s36, exec_lo
	s_mov_b32 vcc_lo, -1
	s_or_b32 s31, s31, s36
	s_and_saveexec_b32 s36, s35
	s_cbranch_execz .LBB10_154
; %bb.157:                              ;   in Loop: Header=BB10_155 Depth=3
	s_sleep 1
	s_cbranch_execnz .LBB10_1405
; %bb.158:                              ;   in Loop: Header=BB10_155 Depth=3
	ds_load_b64 v[3:4], v0
	s_and_not1_b32 s31, s31, exec_lo
	s_waitcnt lgkmcnt(0)
	v_cmp_ge_u64_e32 vcc_lo, v[3:4], v[28:29]
	s_or_not1_b32 vcc_lo, vcc_lo, exec_lo
	s_branch .LBB10_154
.LBB10_159:                             ;   in Loop: Header=BB10_155 Depth=3
	s_cbranch_execnz .LBB10_1425
; %bb.160:                              ;   in Loop: Header=BB10_155 Depth=3
	ds_load_b64 v[3:4], v0
	s_and_not1_b32 s35, s35, exec_lo
	s_mov_b32 s34, 0
	s_mov_b32 s36, -1
	s_waitcnt lgkmcnt(0)
	flat_load_b32 v3, v[3:4] glc
	s_waitcnt vmcnt(0) lgkmcnt(0)
	buffer_gl1_inv
	buffer_gl0_inv
	v_cmp_eq_u32_e32 vcc_lo, 0, v3
	s_and_b32 vcc_lo, vcc_lo, exec_lo
	s_delay_alu instid0(SALU_CYCLE_1)
	s_or_b32 s35, s35, vcc_lo
	s_branch .LBB10_156
.LBB10_161:                             ;   in Loop: Header=BB10_96 Depth=2
	s_or_b32 exec_lo, exec_lo, s17
	s_and_saveexec_b32 s17, s30
	s_delay_alu instid0(SALU_CYCLE_1)
	s_xor_b32 s17, exec_lo, s17
	s_cbranch_execz .LBB10_163
; %bb.162:                              ;   in Loop: Header=BB10_96 Depth=2
	ds_store_b32 v0, v117
	s_cbranch_execnz .LBB10_1578
.LBB10_163:                             ;   in Loop: Header=BB10_96 Depth=2
	s_or_b32 exec_lo, exec_lo, s16
	;;#ASMSTART
	s_wakeup
	;;#ASMEND
.LBB10_164:                             ;   in Loop: Header=BB10_96 Depth=2
	s_or_b32 exec_lo, exec_lo, s15
.LBB10_165:                             ;   in Loop: Header=BB10_96 Depth=2
	s_and_not1_saveexec_b32 s14, s14
	s_cbranch_execz .LBB10_167
; %bb.166:                              ;   in Loop: Header=BB10_96 Depth=2
	s_waitcnt lgkmcnt(0)
	s_waitcnt_vscnt null, 0x0
	buffer_gl1_inv
	buffer_gl0_inv
	s_barrier
.LBB10_167:                             ;   in Loop: Header=BB10_96 Depth=2
	s_or_b32 exec_lo, exec_lo, s14
.LBB10_168:                             ;   in Loop: Header=BB10_96 Depth=2
	s_delay_alu instid0(SALU_CYCLE_1)
	s_or_b32 exec_lo, exec_lo, s13
	s_cbranch_execnz .LBB10_1240
; %bb.169:                              ;   in Loop: Header=BB10_96 Depth=2
	ds_load_b64 v[3:4], v0
	v_mov_b32_e32 v53, 0
	s_waitcnt lgkmcnt(0)
	v_cmp_eq_u64_e32 vcc_lo, 0, v[3:4]
	s_or_b32 s13, vcc_lo, vcc_lo
	s_delay_alu instid0(SALU_CYCLE_1)
	s_and_b32 vcc_lo, exec_lo, s13
	s_cbranch_vccnz .LBB10_244
; %bb.170:                              ;   in Loop: Header=BB10_96 Depth=2
	v_cmp_eq_u32_e32 vcc_lo, 0, v2
	s_cbranch_execnz .LBB10_1293
; %bb.171:                              ;   in Loop: Header=BB10_96 Depth=2
	ds_load_b64 v[2:3], v0
	v_cndmask_b32_e32 v53, 0, v52, vcc_lo
	s_waitcnt lgkmcnt(0)
	v_cmp_ne_u64_e64 s13, 0, v[2:3]
	s_delay_alu instid0(VALU_DEP_1)
	s_and_b32 vcc_lo, exec_lo, s13
	s_cbranch_vccz .LBB10_209
; %bb.172:                              ;   in Loop: Header=BB10_96 Depth=2
	s_mov_b32 s13, -1
	s_and_saveexec_b32 s14, s4
	s_cbranch_execz .LBB10_174
; %bb.173:                              ;   in Loop: Header=BB10_96 Depth=2
	ds_load_b32 v2, v0 offset:720
	s_waitcnt lgkmcnt(0)
	v_and_b32_e32 v2, 15, v2
	s_delay_alu instid0(VALU_DEP_1)
	v_cmp_eq_u32_e32 vcc_lo, 0, v2
	s_or_not1_b32 s13, vcc_lo, exec_lo
.LBB10_174:                             ;   in Loop: Header=BB10_96 Depth=2
	s_or_b32 exec_lo, exec_lo, s14
	s_and_saveexec_b32 s14, s5
	s_cbranch_execz .LBB10_176
; %bb.175:                              ;   in Loop: Header=BB10_96 Depth=2
	ds_load_b32 v2, v0 offset:784
	s_waitcnt lgkmcnt(0)
	v_and_b32_e32 v2, 15, v2
	s_delay_alu instid0(VALU_DEP_1) | instskip(SKIP_3) | instid1(SALU_CYCLE_1)
	v_cmp_eq_u32_e32 vcc_lo, 0, v2
	s_and_b32 s15, s13, vcc_lo
	s_and_not1_b32 s13, s13, exec_lo
	s_and_b32 s15, s15, exec_lo
	s_or_b32 s13, s13, s15
.LBB10_176:                             ;   in Loop: Header=BB10_96 Depth=2
	s_or_b32 exec_lo, exec_lo, s14
	s_xor_b32 s13, s13, -1
	v_dual_mov_b32 v36, 0 :: v_dual_mov_b32 v129, v53
	v_cndmask_b32_e64 v2, 0, 1, s13
	;;#ASMSTART
	;;#ASMEND
	s_delay_alu instid0(VALU_DEP_1)
	v_cmp_ne_u32_e32 vcc_lo, 0, v2
	v_mov_b32_e32 v130, v0
	v_mov_b32_e32 v2, v71
	s_mov_b32 s13, -1
	s_cbranch_vccnz .LBB10_194
; %bb.177:                              ;   in Loop: Header=BB10_96 Depth=2
	v_ashrrev_i32_e32 v2, 31, v53
	s_mov_b32 s14, exec_lo
	s_delay_alu instid0(VALU_DEP_1) | instskip(NEXT) | instid1(VALU_DEP_1)
	v_lshrrev_b32_e32 v2, 22, v2
	v_add_nc_u32_e32 v2, v53, v2
	s_delay_alu instid0(VALU_DEP_1) | instskip(NEXT) | instid1(VALU_DEP_1)
	v_ashrrev_i32_e32 v36, 10, v2
	v_sub_nc_u32_e32 v132, v36, v71
	s_delay_alu instid0(VALU_DEP_1)
	v_cmpx_lt_i32_e32 0, v132
	s_cbranch_execz .LBB10_182
; %bb.178:                              ;   in Loop: Header=BB10_96 Depth=2
	s_cbranch_execnz .LBB10_1470
; %bb.179:                              ;   in Loop: Header=BB10_96 Depth=2
	ds_load_b64 v[2:3], v0
	ds_load_b128 v[144:147], v0
	s_mov_b32 s15, 0
	s_waitcnt lgkmcnt(1)
	v_add_co_u32 v2, vcc_lo, v2, v83
	v_add_co_ci_u32_e32 v3, vcc_lo, v3, v85, vcc_lo
	s_waitcnt lgkmcnt(0)
	v_add_co_u32 v4, vcc_lo, v144, v83
	v_add_co_ci_u32_e32 v5, vcc_lo, v145, v85, vcc_lo
	v_add_co_u32 v64, vcc_lo, v146, v83
	v_add_co_ci_u32_e32 v65, vcc_lo, v147, v85, vcc_lo
.LBB10_180:                             ;   Parent Loop BB10_93 Depth=1
                                        ;     Parent Loop BB10_96 Depth=2
                                        ; =>    This Inner Loop Header: Depth=3
	s_clause 0x1
	global_load_b128 v[144:147], v[2:3], off slc dlc
	global_load_b128 v[148:151], v[2:3], off offset:512 slc dlc
	v_sub_nc_u32_e32 v132, v132, v82
	v_add_co_u32 v2, vcc_lo, v2, v96
	v_add_co_ci_u32_e32 v3, vcc_lo, v3, v97, vcc_lo
	s_delay_alu instid0(VALU_DEP_3)
	v_cmp_gt_i32_e32 vcc_lo, 1, v132
	s_waitcnt vmcnt(1)
	global_store_b128 v[4:5], v[144:147], off glc slc dlc
	s_waitcnt vmcnt(0)
	global_store_b128 v[4:5], v[148:151], off offset:512 glc slc dlc
	s_clause 0x1
	global_store_b128 v[64:65], v[144:147], off glc slc dlc
	global_store_b128 v[64:65], v[148:151], off offset:512 glc slc dlc
	v_add_co_u32 v4, s13, v4, v96
	s_delay_alu instid0(VALU_DEP_1) | instskip(SKIP_1) | instid1(VALU_DEP_1)
	v_add_co_ci_u32_e64 v5, s13, v5, v97, s13
	v_add_co_u32 v64, s13, v64, v96
	v_add_co_ci_u32_e64 v65, s13, v65, v97, s13
	s_or_b32 s15, vcc_lo, s15
	s_delay_alu instid0(SALU_CYCLE_1)
	s_and_not1_b32 exec_lo, exec_lo, s15
	s_cbranch_execnz .LBB10_180
; %bb.181:                              ;   in Loop: Header=BB10_96 Depth=2
	s_or_b32 exec_lo, exec_lo, s15
.LBB10_182:                             ;   in Loop: Header=BB10_96 Depth=2
	s_delay_alu instid0(SALU_CYCLE_1) | instskip(SKIP_3) | instid1(VALU_DEP_1)
	s_or_b32 exec_lo, exec_lo, s14
	v_dual_mov_b32 v36, 0 :: v_dual_lshlrev_b32 v131, 10, v36
	s_mov_b32 s13, 0
	s_mov_b32 s16, exec_lo
                                        ; implicit-def: $vgpr129
                                        ; implicit-def: $vgpr130
                                        ; implicit-def: $vgpr2
	v_cmpx_ne_u32_e64 v53, v131
	s_cbranch_execz .LBB10_193
; %bb.183:                              ;   in Loop: Header=BB10_96 Depth=2
	v_lshlrev_b32_e32 v2, 5, v132
	v_sub_nc_u32_e32 v4, v53, v131
	s_mov_b32 s17, exec_lo
	s_delay_alu instid0(VALU_DEP_2) | instskip(NEXT) | instid1(VALU_DEP_2)
	v_sub_nc_u32_e32 v2, v81, v2
	v_ashrrev_i32_e32 v5, 31, v4
	s_delay_alu instid0(VALU_DEP_2) | instskip(NEXT) | instid1(VALU_DEP_2)
	v_ashrrev_i32_e32 v3, 31, v2
	v_lshrrev_b32_e32 v5, 23, v5
	s_delay_alu instid0(VALU_DEP_2) | instskip(NEXT) | instid1(VALU_DEP_2)
	v_lshrrev_b32_e32 v3, 27, v3
	v_add_nc_u32_e32 v5, v4, v5
	s_delay_alu instid0(VALU_DEP_2) | instskip(NEXT) | instid1(VALU_DEP_2)
	v_add_nc_u32_e32 v3, v2, v3
	v_and_b32_e32 v132, 0xfffffe00, v5
	v_ashrrev_i32_e32 v5, 9, v5
	s_delay_alu instid0(VALU_DEP_3) | instskip(NEXT) | instid1(VALU_DEP_3)
	v_and_b32_e32 v36, 0xffffffe0, v3
	v_sub_nc_u32_e32 v134, v4, v132
	v_ashrrev_i32_e32 v3, 5, v3
	s_delay_alu instid0(VALU_DEP_3) | instskip(NEXT) | instid1(VALU_DEP_3)
	v_sub_nc_u32_e32 v133, v2, v36
	v_cmp_lt_i32_e64 s13, 15, v134
	s_delay_alu instid0(VALU_DEP_2) | instskip(NEXT) | instid1(VALU_DEP_2)
	v_lshlrev_b32_e32 v2, 4, v133
	v_add_co_ci_u32_e64 v5, vcc_lo, 0, v5, s13
	s_delay_alu instid0(VALU_DEP_2) | instskip(NEXT) | instid1(VALU_DEP_2)
	v_lshl_add_u32 v2, v3, 9, v2
	v_sub_nc_u32_e32 v135, v5, v3
	s_delay_alu instid0(VALU_DEP_2) | instskip(NEXT) | instid1(VALU_DEP_1)
	v_sub_nc_u32_e32 v36, v4, v2
	v_cmpx_lt_i32_e32 15, v36
	s_cbranch_execz .LBB10_190
; %bb.184:                              ;   in Loop: Header=BB10_96 Depth=2
	s_cbranch_execnz .LBB10_1524
; %bb.185:                              ;   in Loop: Header=BB10_96 Depth=2
	ds_load_b64 v[3:4], v0
	ds_load_b128 v[144:147], v0
	v_add_nc_u32_e32 v2, v2, v131
	s_mov_b32 s30, 0
	s_delay_alu instid0(VALU_DEP_1) | instskip(SKIP_2) | instid1(VALU_DEP_2)
	v_ashrrev_i32_e32 v5, 31, v2
	s_waitcnt lgkmcnt(1)
	v_add_co_u32 v64, vcc_lo, v3, v2
	v_add_co_ci_u32_e32 v65, vcc_lo, v4, v5, vcc_lo
	s_waitcnt lgkmcnt(0)
	v_add_co_u32 v129, vcc_lo, v144, v2
	v_add_co_ci_u32_e32 v130, vcc_lo, v145, v5, vcc_lo
	v_add_co_u32 v144, vcc_lo, v146, v2
	v_add_co_ci_u32_e32 v145, vcc_lo, v147, v5, vcc_lo
.LBB10_186:                             ;   Parent Loop BB10_93 Depth=1
                                        ;     Parent Loop BB10_96 Depth=2
                                        ; =>    This Loop Header: Depth=3
                                        ;         Child Loop BB10_187 Depth 4
	global_load_b128 v[2:5], v[64:65], off slc dlc
	s_mov_b64 s[14:15], 0
	s_mov_b32 s31, -1
.LBB10_187:                             ;   Parent Loop BB10_93 Depth=1
                                        ;     Parent Loop BB10_96 Depth=2
                                        ;       Parent Loop BB10_186 Depth=3
                                        ; =>      This Inner Loop Header: Depth=4
	s_cmp_eq_u32 s14, 0
	v_cndmask_b32_e64 v148, 0, 1, s31
	s_cselect_b32 vcc_lo, -1, 0
	s_cmp_eq_u32 s14, 1
	s_mov_b32 s31, 0
	s_cselect_b32 s14, -1, 0
	s_delay_alu instid0(SALU_CYCLE_1) | instskip(SKIP_1) | instid1(VALU_DEP_2)
	v_cndmask_b32_e64 v146, v129, v144, s14
	v_cndmask_b32_e64 v147, v130, v145, s14
	v_add_co_u32 v149, s15, 0x200, v146
	s_delay_alu instid0(VALU_DEP_1) | instskip(SKIP_1) | instid1(VALU_DEP_3)
	v_add_co_ci_u32_e64 v150, s15, 0, v147, s15
	v_cmp_ne_u32_e64 s15, 1, v148
	v_cndmask_b32_e64 v144, v144, v149, s14
	v_cndmask_b32_e32 v129, v129, v149, vcc_lo
	s_delay_alu instid0(VALU_DEP_4)
	v_cndmask_b32_e64 v145, v145, v150, s14
	v_cndmask_b32_e32 v130, v130, v150, vcc_lo
	s_and_b32 vcc_lo, exec_lo, s15
	s_mov_b64 s[14:15], 1
	s_waitcnt vmcnt(0)
	global_store_b128 v[146:147], v[2:5], off glc slc dlc
	s_cbranch_vccz .LBB10_187
; %bb.188:                              ;   in Loop: Header=BB10_186 Depth=3
	v_add_co_u32 v129, vcc_lo, v129, v86
	v_sub_nc_u32_e32 v36, v36, v84
	v_add_co_ci_u32_e32 v130, vcc_lo, v130, v98, vcc_lo
	v_add_co_u32 v144, vcc_lo, v144, v86
	v_add_co_ci_u32_e32 v145, vcc_lo, v145, v98, vcc_lo
	s_delay_alu instid0(VALU_DEP_4) | instskip(SKIP_1) | instid1(VALU_DEP_1)
	v_cmp_gt_i32_e32 vcc_lo, 16, v36
	v_add_co_u32 v64, s14, v100, v64
	v_add_co_ci_u32_e64 v65, s14, v101, v65, s14
	v_sub_nc_u32_e32 v135, v135, v82
	s_or_b32 s30, vcc_lo, s30
	s_delay_alu instid0(SALU_CYCLE_1)
	s_and_not1_b32 exec_lo, exec_lo, s30
	s_cbranch_execnz .LBB10_186
; %bb.189:                              ;   in Loop: Header=BB10_96 Depth=2
	s_or_b32 exec_lo, exec_lo, s30
.LBB10_190:                             ;   in Loop: Header=BB10_96 Depth=2
	s_delay_alu instid0(SALU_CYCLE_1) | instskip(SKIP_3) | instid1(VALU_DEP_1)
	s_or_b32 exec_lo, exec_lo, s17
	v_dual_mov_b32 v36, 0 :: v_dual_and_b32 v3, 15, v53
	s_mov_b32 s14, 0
	s_mov_b32 s15, exec_lo
                                        ; implicit-def: $vgpr130
                                        ; implicit-def: $vgpr2
	v_cndmask_b32_e64 v129, v134, v3, s13
	s_delay_alu instid0(VALU_DEP_1)
	v_cmpx_ne_u32_e32 0, v129
	s_cbranch_execz .LBB10_192
; %bb.191:                              ;   in Loop: Header=BB10_96 Depth=2
	v_cmp_lt_i32_e32 vcc_lo, 0, v135
	v_sub_nc_u32_e32 v3, v134, v3
	s_mov_b32 s14, exec_lo
	v_cndmask_b32_e32 v2, 0, v82, vcc_lo
	s_delay_alu instid0(VALU_DEP_2) | instskip(NEXT) | instid1(VALU_DEP_2)
	v_cndmask_b32_e64 v3, 0, v3, s13
	v_sub_nc_u32_e32 v2, v2, v135
	s_delay_alu instid0(VALU_DEP_2) | instskip(NEXT) | instid1(VALU_DEP_2)
	v_add3_u32 v36, v132, v131, v3
	v_lshl_add_u32 v130, v2, 5, v133
	s_delay_alu instid0(VALU_DEP_1) | instskip(NEXT) | instid1(VALU_DEP_1)
	v_ashrrev_i32_e32 v2, 31, v130
	v_lshrrev_b32_e32 v2, 27, v2
	s_delay_alu instid0(VALU_DEP_1) | instskip(NEXT) | instid1(VALU_DEP_1)
	v_add_nc_u32_e32 v2, v130, v2
	v_ashrrev_i32_e32 v2, 5, v2
.LBB10_192:                             ;   in Loop: Header=BB10_96 Depth=2
	s_or_b32 exec_lo, exec_lo, s15
	s_delay_alu instid0(SALU_CYCLE_1)
	s_and_b32 s13, s14, exec_lo
.LBB10_193:                             ;   in Loop: Header=BB10_96 Depth=2
	s_or_b32 exec_lo, exec_lo, s16
.LBB10_194:                             ;   in Loop: Header=BB10_96 Depth=2
	s_and_saveexec_b32 s15, s13
	s_cbranch_execz .LBB10_208
; %bb.195:                              ;   in Loop: Header=BB10_96 Depth=2
	v_ashrrev_i32_e32 v3, 31, v129
	s_mov_b32 s14, exec_lo
	s_delay_alu instid0(VALU_DEP_1) | instskip(NEXT) | instid1(VALU_DEP_1)
	v_lshrrev_b32_e32 v3, 23, v3
	v_add_nc_u32_e32 v3, v129, v3
	s_delay_alu instid0(VALU_DEP_1) | instskip(NEXT) | instid1(VALU_DEP_1)
	v_ashrrev_i32_e32 v132, 9, v3
	v_sub_nc_u32_e32 v131, v132, v2
	s_delay_alu instid0(VALU_DEP_1)
	v_cmpx_lt_i32_e32 0, v131
	s_cbranch_execz .LBB10_200
; %bb.196:                              ;   in Loop: Header=BB10_96 Depth=2
	s_cbranch_execnz .LBB10_1447
; %bb.197:                              ;   in Loop: Header=BB10_96 Depth=2
	v_ashrrev_i32_e32 v3, 31, v130
	v_lshlrev_b32_e32 v2, 9, v2
	s_mov_b32 s16, 0
	ds_load_b128 v[144:147], v0
	v_lshrrev_b32_e32 v3, 27, v3
	s_delay_alu instid0(VALU_DEP_1) | instskip(SKIP_2) | instid1(VALU_DEP_1)
	v_add_nc_u32_e32 v5, v130, v3
	ds_load_b64 v[3:4], v0
	v_and_b32_e32 v5, 0xffffffe0, v5
	v_sub_nc_u32_e32 v5, v130, v5
	s_delay_alu instid0(VALU_DEP_1) | instskip(NEXT) | instid1(VALU_DEP_1)
	v_add3_u32 v64, v36, v5, v2
	v_ashrrev_i32_e32 v65, 31, v64
	s_waitcnt lgkmcnt(0)
	v_add_co_u32 v133, vcc_lo, 0x1e0, v3
	v_add_co_ci_u32_e32 v134, vcc_lo, 0, v4, vcc_lo
	v_add_co_u32 v2, vcc_lo, v144, v64
	v_add_co_ci_u32_e32 v3, vcc_lo, v145, v65, vcc_lo
	;; [unrolled: 2-line block ×4, first 2 shown]
.LBB10_198:                             ;   Parent Loop BB10_93 Depth=1
                                        ;     Parent Loop BB10_96 Depth=2
                                        ; =>    This Inner Loop Header: Depth=3
	s_delay_alu instid0(VALU_DEP_2) | instskip(NEXT) | instid1(VALU_DEP_2)
	v_add_co_u32 v133, vcc_lo, 0xfffffe20, v64
	v_add_co_ci_u32_e32 v134, vcc_lo, -1, v65, vcc_lo
	v_add_co_u32 v144, vcc_lo, 0xfffffe40, v64
	v_add_co_ci_u32_e32 v145, vcc_lo, -1, v65, vcc_lo
	;; [unrolled: 2-line block ×15, first 2 shown]
	flat_load_u8 v135, v[64:65] slc dlc
	flat_load_u8 v133, v[133:134] slc dlc
	;; [unrolled: 1-line block ×16, first 2 shown]
	v_sub_nc_u32_e32 v131, v131, v82
	v_add_co_u32 v64, vcc_lo, v64, v100
	v_add_co_ci_u32_e32 v65, vcc_lo, v65, v101, vcc_lo
	s_delay_alu instid0(VALU_DEP_3)
	v_cmp_gt_i32_e32 vcc_lo, 1, v131
	s_waitcnt vmcnt(14) lgkmcnt(14)
	flat_store_b8 v[2:3], v133 glc slc dlc
	s_waitcnt vmcnt(13) lgkmcnt(14)
	flat_store_b8 v[2:3], v134 offset:32 glc slc dlc
	s_waitcnt vmcnt(12) lgkmcnt(14)
	flat_store_b8 v[2:3], v144 offset:64 glc slc dlc
	;; [unrolled: 2-line block ×13, first 2 shown]
	s_waitcnt vmcnt(0) lgkmcnt(14)
	s_clause 0x1
	flat_store_b8 v[2:3], v164 offset:448 glc slc dlc
	flat_store_b8 v[2:3], v135 offset:480 glc slc dlc
	s_clause 0xf
	flat_store_b8 v[4:5], v133 glc slc dlc
	flat_store_b8 v[4:5], v134 offset:32 glc slc dlc
	flat_store_b8 v[4:5], v144 offset:64 glc slc dlc
	;; [unrolled: 1-line block ×15, first 2 shown]
	v_add_co_u32 v2, s13, v2, v100
	s_delay_alu instid0(VALU_DEP_1) | instskip(SKIP_1) | instid1(VALU_DEP_1)
	v_add_co_ci_u32_e64 v3, s13, v3, v101, s13
	v_add_co_u32 v4, s13, v4, v100
	v_add_co_ci_u32_e64 v5, s13, v5, v101, s13
	s_or_b32 s16, vcc_lo, s16
	s_delay_alu instid0(SALU_CYCLE_1)
	s_and_not1_b32 exec_lo, exec_lo, s16
	s_cbranch_execnz .LBB10_198
; %bb.199:                              ;   in Loop: Header=BB10_96 Depth=2
	s_or_b32 exec_lo, exec_lo, s16
.LBB10_200:                             ;   in Loop: Header=BB10_96 Depth=2
	s_delay_alu instid0(SALU_CYCLE_1) | instskip(SKIP_2) | instid1(VALU_DEP_1)
	s_or_b32 exec_lo, exec_lo, s14
	v_lshlrev_b32_e32 v2, 9, v132
	s_mov_b32 s30, exec_lo
	v_cmpx_ne_u32_e64 v129, v2
	s_cbranch_execz .LBB10_207
; %bb.201:                              ;   in Loop: Header=BB10_96 Depth=2
	v_ashrrev_i32_e32 v3, 31, v130
	v_lshlrev_b32_e32 v4, 5, v131
	s_delay_alu instid0(VALU_DEP_2) | instskip(NEXT) | instid1(VALU_DEP_1)
	v_lshrrev_b32_e32 v3, 27, v3
	v_add_nc_u32_e32 v3, v130, v3
	s_delay_alu instid0(VALU_DEP_1) | instskip(NEXT) | instid1(VALU_DEP_1)
	v_and_b32_e32 v3, 0xffffffe0, v3
	v_sub_nc_u32_e32 v3, v130, v3
	s_delay_alu instid0(VALU_DEP_1) | instskip(NEXT) | instid1(VALU_DEP_1)
	v_sub_nc_u32_e32 v3, v3, v4
	v_add_nc_u32_e32 v2, v2, v3
	s_delay_alu instid0(VALU_DEP_1) | instskip(NEXT) | instid1(VALU_DEP_1)
	v_sub_nc_u32_e32 v4, v129, v2
	v_cmp_lt_i32_e32 vcc_lo, 0, v4
	s_and_b32 exec_lo, exec_lo, vcc_lo
	s_cbranch_execz .LBB10_207
; %bb.202:                              ;   in Loop: Header=BB10_96 Depth=2
	s_cbranch_execnz .LBB10_1516
; %bb.203:                              ;   in Loop: Header=BB10_96 Depth=2
	ds_load_b64 v[64:65], v0
	ds_load_b128 v[129:132], v0
	v_add_nc_u32_e32 v133, v2, v36
	s_mov_b32 s31, 0
	s_delay_alu instid0(VALU_DEP_1) | instskip(SKIP_2) | instid1(VALU_DEP_2)
	v_ashrrev_i32_e32 v134, 31, v133
	s_waitcnt lgkmcnt(1)
	v_add_co_u32 v2, vcc_lo, v64, v133
	v_add_co_ci_u32_e32 v3, vcc_lo, v65, v134, vcc_lo
	s_waitcnt lgkmcnt(0)
	v_add_co_u32 v5, vcc_lo, v129, v133
	v_add_co_ci_u32_e32 v36, vcc_lo, v130, v134, vcc_lo
	v_add_co_u32 v64, vcc_lo, v131, v133
	v_add_co_ci_u32_e32 v65, vcc_lo, v132, v134, vcc_lo
	s_set_inst_prefetch_distance 0x1
.LBB10_204:                             ;   Parent Loop BB10_93 Depth=1
                                        ;     Parent Loop BB10_96 Depth=2
                                        ; =>    This Loop Header: Depth=3
                                        ;         Child Loop BB10_205 Depth 4
	flat_load_u8 v129, v[2:3] slc dlc
	s_mov_b64 s[16:17], 0
	s_mov_b32 s34, -1
.LBB10_205:                             ;   Parent Loop BB10_93 Depth=1
                                        ;     Parent Loop BB10_96 Depth=2
                                        ;       Parent Loop BB10_204 Depth=3
                                        ; =>      This Inner Loop Header: Depth=4
	s_cmp_eq_u32 s16, 1
	s_cselect_b32 vcc_lo, -1, 0
	s_cmp_eq_u32 s16, 0
	v_dual_cndmask_b32 v131, v36, v65 :: v_dual_cndmask_b32 v130, v5, v64
	s_mov_b64 s[16:17], 1
	s_delay_alu instid0(VALU_DEP_1) | instskip(NEXT) | instid1(VALU_DEP_1)
	v_add_co_u32 v132, s13, v130, 32
	v_add_co_ci_u32_e64 v133, s13, 0, v131, s13
	s_cselect_b32 s13, -1, 0
	s_and_b32 s14, exec_lo, s34
	s_delay_alu instid0(VALU_DEP_1)
	v_dual_cndmask_b32 v64, v64, v132 :: v_dual_cndmask_b32 v65, v65, v133
	v_cndmask_b32_e64 v36, v36, v133, s13
	v_cndmask_b32_e64 v5, v5, v132, s13
	s_mov_b32 s34, 0
	s_mov_b32 vcc_lo, s14
	s_waitcnt vmcnt(0) lgkmcnt(0)
	flat_store_b8 v[130:131], v129 glc slc dlc
	s_cbranch_vccnz .LBB10_205
; %bb.206:                              ;   in Loop: Header=BB10_204 Depth=3
	v_add_co_u32 v5, vcc_lo, v5, v99
	v_sub_nc_u32_e32 v4, v4, v87
	v_add_co_ci_u32_e32 v36, vcc_lo, v36, v102, vcc_lo
	v_add_co_u32 v64, vcc_lo, v64, v99
	v_add_co_ci_u32_e32 v65, vcc_lo, v65, v102, vcc_lo
	s_delay_alu instid0(VALU_DEP_4) | instskip(SKIP_1) | instid1(VALU_DEP_1)
	v_cmp_gt_i32_e32 vcc_lo, 1, v4
	v_add_co_u32 v2, s13, v112, v2
	v_add_co_ci_u32_e64 v3, s13, v113, v3, s13
	s_or_b32 s31, vcc_lo, s31
	s_delay_alu instid0(SALU_CYCLE_1)
	s_and_not1_b32 exec_lo, exec_lo, s31
	s_cbranch_execnz .LBB10_204
.LBB10_207:                             ;   in Loop: Header=BB10_96 Depth=2
	s_set_inst_prefetch_distance 0x2
	s_or_b32 exec_lo, exec_lo, s30
.LBB10_208:                             ;   in Loop: Header=BB10_96 Depth=2
	s_delay_alu instid0(SALU_CYCLE_1)
	s_or_b32 exec_lo, exec_lo, s15
	s_mov_b32 s13, 0
	s_branch .LBB10_210
.LBB10_209:                             ;   in Loop: Header=BB10_96 Depth=2
	s_mov_b32 s13, -1
.LBB10_210:                             ;   in Loop: Header=BB10_96 Depth=2
	s_delay_alu instid0(SALU_CYCLE_1)
	s_and_b32 vcc_lo, exec_lo, s13
	s_cbranch_vccz .LBB10_244
; %bb.211:                              ;   in Loop: Header=BB10_96 Depth=2
	s_mov_b32 s13, -1
	s_and_saveexec_b32 s14, s4
	s_cbranch_execz .LBB10_213
; %bb.212:                              ;   in Loop: Header=BB10_96 Depth=2
	ds_load_b32 v2, v0 offset:720
	s_waitcnt lgkmcnt(0)
	v_and_b32_e32 v2, 15, v2
	s_delay_alu instid0(VALU_DEP_1)
	v_cmp_eq_u32_e32 vcc_lo, 0, v2
	s_or_not1_b32 s13, vcc_lo, exec_lo
.LBB10_213:                             ;   in Loop: Header=BB10_96 Depth=2
	s_or_b32 exec_lo, exec_lo, s14
	s_and_saveexec_b32 s14, s4
	s_cbranch_execz .LBB10_215
; %bb.214:                              ;   in Loop: Header=BB10_96 Depth=2
	ds_load_b32 v2, v0 offset:784
	s_waitcnt lgkmcnt(0)
	v_and_b32_e32 v2, 15, v2
	s_delay_alu instid0(VALU_DEP_1) | instskip(SKIP_3) | instid1(SALU_CYCLE_1)
	v_cmp_eq_u32_e32 vcc_lo, 0, v2
	s_and_b32 s15, s13, vcc_lo
	s_and_not1_b32 s13, s13, exec_lo
	s_and_b32 s15, s15, exec_lo
	s_or_b32 s13, s13, s15
.LBB10_215:                             ;   in Loop: Header=BB10_96 Depth=2
	s_or_b32 exec_lo, exec_lo, s14
	s_xor_b32 s13, s13, -1
	v_dual_mov_b32 v36, 0 :: v_dual_mov_b32 v65, v0
	v_cndmask_b32_e64 v2, 0, 1, s13
	;;#ASMSTART
	;;#ASMEND
	s_delay_alu instid0(VALU_DEP_1)
	v_cmp_ne_u32_e32 vcc_lo, 0, v2
	v_dual_mov_b32 v64, v53 :: v_dual_mov_b32 v131, v71
	s_mov_b32 s13, -1
	s_cbranch_vccnz .LBB10_231
; %bb.216:                              ;   in Loop: Header=BB10_96 Depth=2
	v_ashrrev_i32_e32 v2, 31, v53
	s_mov_b32 s14, exec_lo
	s_delay_alu instid0(VALU_DEP_1) | instskip(NEXT) | instid1(VALU_DEP_1)
	v_lshrrev_b32_e32 v2, 21, v2
	v_add_nc_u32_e32 v2, v53, v2
	s_delay_alu instid0(VALU_DEP_1) | instskip(NEXT) | instid1(VALU_DEP_1)
	v_ashrrev_i32_e32 v36, 11, v2
	v_sub_nc_u32_e32 v129, v36, v71
	s_delay_alu instid0(VALU_DEP_1)
	v_cmpx_lt_i32_e32 0, v129
	s_cbranch_execz .LBB10_221
; %bb.217:                              ;   in Loop: Header=BB10_96 Depth=2
	s_cbranch_execnz .LBB10_1492
; %bb.218:                              ;   in Loop: Header=BB10_96 Depth=2
	ds_load_b64 v[2:3], v0
	s_mov_b32 s15, 0
	s_waitcnt lgkmcnt(0)
	v_dual_mov_b32 v5, v3 :: v_dual_mov_b32 v4, v2
	s_set_inst_prefetch_distance 0x1
.LBB10_219:                             ;   Parent Loop BB10_93 Depth=1
                                        ;     Parent Loop BB10_96 Depth=2
                                        ; =>    This Inner Loop Header: Depth=3
	s_delay_alu instid0(VALU_DEP_1) | instskip(NEXT) | instid1(VALU_DEP_2)
	v_add_co_u32 v64, vcc_lo, v103, v4
	v_add_co_ci_u32_e32 v65, vcc_lo, v114, v5, vcc_lo
	v_sub_nc_u32_e32 v129, v129, v82
	s_clause 0x3
	global_load_b128 v[130:133], v[64:65], off slc dlc
	global_load_b128 v[144:147], v[64:65], off offset:512 slc dlc
	global_load_b128 v[148:151], v[64:65], off offset:1024 slc dlc
	;; [unrolled: 1-line block ×3, first 2 shown]
	v_add_co_u32 v64, vcc_lo, v103, v2
	v_add_co_ci_u32_e32 v65, vcc_lo, v114, v3, vcc_lo
	v_add_co_u32 v4, vcc_lo, v4, v115
	v_add_co_ci_u32_e32 v5, vcc_lo, v5, v116, vcc_lo
	v_add_co_u32 v2, vcc_lo, v2, v115
	v_cmp_gt_i32_e64 s13, 1, v129
	v_add_co_ci_u32_e32 v3, vcc_lo, v3, v116, vcc_lo
	s_waitcnt vmcnt(3)
	global_store_b128 v[64:65], v[130:133], off glc slc dlc
	s_waitcnt vmcnt(2)
	global_store_b128 v[64:65], v[144:147], off offset:512 glc slc dlc
	s_waitcnt vmcnt(1)
	global_store_b128 v[64:65], v[148:151], off offset:1024 glc slc dlc
	s_waitcnt vmcnt(0)
	global_store_b128 v[64:65], v[160:163], off offset:1536 glc slc dlc
	s_or_b32 s15, s13, s15
	s_delay_alu instid0(SALU_CYCLE_1)
	s_and_not1_b32 exec_lo, exec_lo, s15
	s_cbranch_execnz .LBB10_219
; %bb.220:                              ;   in Loop: Header=BB10_96 Depth=2
	s_set_inst_prefetch_distance 0x2
	s_or_b32 exec_lo, exec_lo, s15
.LBB10_221:                             ;   in Loop: Header=BB10_96 Depth=2
	s_delay_alu instid0(SALU_CYCLE_1) | instskip(SKIP_4) | instid1(VALU_DEP_2)
	s_or_b32 exec_lo, exec_lo, s14
	v_lshlrev_b32_e32 v4, 11, v36
	v_mov_b32_e32 v36, 0
	s_mov_b32 s13, 0
	s_mov_b32 s15, exec_lo
                                        ; implicit-def: $vgpr64
                                        ; implicit-def: $vgpr65
                                        ; implicit-def: $vgpr131
	v_cmpx_ne_u32_e64 v53, v4
	s_cbranch_execz .LBB10_230
; %bb.222:                              ;   in Loop: Header=BB10_96 Depth=2
	v_lshlrev_b32_e32 v2, 5, v129
	v_sub_nc_u32_e32 v36, v53, v4
	s_mov_b32 s16, exec_lo
	s_delay_alu instid0(VALU_DEP_2) | instskip(NEXT) | instid1(VALU_DEP_2)
	v_sub_nc_u32_e32 v2, v81, v2
	v_ashrrev_i32_e32 v5, 31, v36
	s_delay_alu instid0(VALU_DEP_2) | instskip(NEXT) | instid1(VALU_DEP_2)
	v_ashrrev_i32_e32 v3, 31, v2
	v_lshrrev_b32_e32 v5, 23, v5
	s_delay_alu instid0(VALU_DEP_2) | instskip(NEXT) | instid1(VALU_DEP_2)
	v_lshrrev_b32_e32 v3, 27, v3
	v_add_nc_u32_e32 v65, v36, v5
	s_delay_alu instid0(VALU_DEP_2) | instskip(NEXT) | instid1(VALU_DEP_2)
	v_add_nc_u32_e32 v3, v2, v3
	v_and_b32_e32 v5, 0xfffffe00, v65
	v_ashrrev_i32_e32 v65, 9, v65
	s_delay_alu instid0(VALU_DEP_3) | instskip(NEXT) | instid1(VALU_DEP_3)
	v_and_b32_e32 v64, 0xffffffe0, v3
	v_sub_nc_u32_e32 v130, v36, v5
	s_delay_alu instid0(VALU_DEP_2) | instskip(SKIP_1) | instid1(VALU_DEP_3)
	v_sub_nc_u32_e32 v129, v2, v64
	v_ashrrev_i32_e32 v2, 5, v3
	v_cmp_lt_i32_e32 vcc_lo, 15, v130
	s_delay_alu instid0(VALU_DEP_3) | instskip(NEXT) | instid1(VALU_DEP_1)
	v_lshlrev_b32_e32 v3, 4, v129
	v_lshl_add_u32 v64, v2, 9, v3
	v_add_co_ci_u32_e64 v3, s13, 0, v65, vcc_lo
	s_delay_alu instid0(VALU_DEP_2) | instskip(NEXT) | instid1(VALU_DEP_2)
	v_sub_nc_u32_e32 v36, v36, v64
	v_sub_nc_u32_e32 v132, v3, v2
	s_delay_alu instid0(VALU_DEP_2)
	v_cmpx_lt_i32_e32 15, v36
	s_cbranch_execz .LBB10_227
; %bb.223:                              ;   in Loop: Header=BB10_96 Depth=2
	s_cbranch_execnz .LBB10_1542
; %bb.224:                              ;   in Loop: Header=BB10_96 Depth=2
	ds_load_b64 v[2:3], v0
	v_add_nc_u32_e32 v64, v64, v4
	s_mov_b32 s17, 0
	s_delay_alu instid0(VALU_DEP_1)
	v_ashrrev_i32_e32 v65, 31, v64
.LBB10_225:                             ;   Parent Loop BB10_93 Depth=1
                                        ;     Parent Loop BB10_96 Depth=2
                                        ; =>    This Inner Loop Header: Depth=3
	s_waitcnt lgkmcnt(0)
	v_add_co_u32 v133, s13, v2, v64
	s_delay_alu instid0(VALU_DEP_1)
	v_add_co_ci_u32_e64 v134, s13, v3, v65, s13
	v_sub_nc_u32_e32 v36, v36, v84
	v_add_co_u32 v64, s14, v64, v100
	global_load_b128 v[144:147], v[133:134], off slc dlc
	v_sub_nc_u32_e32 v132, v132, v82
	v_cmp_gt_i32_e64 s13, 16, v36
	v_add_co_ci_u32_e64 v65, s14, v65, v101, s14
	s_delay_alu instid0(VALU_DEP_2)
	s_or_b32 s17, s13, s17
	s_waitcnt vmcnt(0)
	global_store_b128 v[133:134], v[144:147], off glc slc dlc
	s_and_not1_b32 exec_lo, exec_lo, s17
	s_cbranch_execnz .LBB10_225
; %bb.226:                              ;   in Loop: Header=BB10_96 Depth=2
	s_or_b32 exec_lo, exec_lo, s17
.LBB10_227:                             ;   in Loop: Header=BB10_96 Depth=2
	s_delay_alu instid0(SALU_CYCLE_1) | instskip(SKIP_4) | instid1(VALU_DEP_2)
	s_or_b32 exec_lo, exec_lo, s16
	v_and_b32_e32 v2, 15, v53
	v_mov_b32_e32 v36, 0
	s_mov_b32 s14, 0
	s_mov_b32 s16, exec_lo
                                        ; implicit-def: $vgpr65
                                        ; implicit-def: $vgpr131
	v_cndmask_b32_e32 v64, v130, v2, vcc_lo
	s_delay_alu instid0(VALU_DEP_1)
	v_cmpx_ne_u32_e32 0, v64
; %bb.228:                              ;   in Loop: Header=BB10_96 Depth=2
	v_cmp_lt_i32_e64 s13, 0, v132
	v_sub_nc_u32_e32 v2, v130, v2
	s_mov_b32 s14, exec_lo
	s_delay_alu instid0(VALU_DEP_2) | instskip(NEXT) | instid1(VALU_DEP_1)
	v_cndmask_b32_e64 v3, 0, v82, s13
	v_sub_nc_u32_e32 v3, v3, v132
	s_delay_alu instid0(VALU_DEP_1) | instskip(NEXT) | instid1(VALU_DEP_1)
	v_lshl_add_u32 v65, v3, 5, v129
	v_ashrrev_i32_e32 v3, 31, v65
	s_delay_alu instid0(VALU_DEP_1) | instskip(NEXT) | instid1(VALU_DEP_1)
	v_lshrrev_b32_e32 v3, 27, v3
	v_dual_cndmask_b32 v2, 0, v2 :: v_dual_add_nc_u32 v3, v65, v3
	s_delay_alu instid0(VALU_DEP_1) | instskip(NEXT) | instid1(VALU_DEP_2)
	v_add3_u32 v36, v5, v4, v2
	v_ashrrev_i32_e32 v131, 5, v3
; %bb.229:                              ;   in Loop: Header=BB10_96 Depth=2
	s_or_b32 exec_lo, exec_lo, s16
	s_delay_alu instid0(SALU_CYCLE_1)
	s_and_b32 s13, s14, exec_lo
.LBB10_230:                             ;   in Loop: Header=BB10_96 Depth=2
	s_or_b32 exec_lo, exec_lo, s15
.LBB10_231:                             ;   in Loop: Header=BB10_96 Depth=2
	s_and_saveexec_b32 s14, s13
	s_cbranch_execz .LBB10_243
; %bb.232:                              ;   in Loop: Header=BB10_96 Depth=2
	v_ashrrev_i32_e32 v2, 31, v64
	s_mov_b32 s13, exec_lo
	s_delay_alu instid0(VALU_DEP_1) | instskip(NEXT) | instid1(VALU_DEP_1)
	v_lshrrev_b32_e32 v2, 23, v2
	v_add_nc_u32_e32 v2, v64, v2
	s_delay_alu instid0(VALU_DEP_1) | instskip(NEXT) | instid1(VALU_DEP_1)
	v_ashrrev_i32_e32 v130, 9, v2
	v_sub_nc_u32_e32 v129, v130, v131
	s_delay_alu instid0(VALU_DEP_1)
	v_cmpx_lt_i32_e32 0, v129
	s_cbranch_execz .LBB10_237
; %bb.233:                              ;   in Loop: Header=BB10_96 Depth=2
	s_cbranch_execnz .LBB10_1480
; %bb.234:                              ;   in Loop: Header=BB10_96 Depth=2
	v_ashrrev_i32_e32 v2, 31, v65
	s_mov_b32 s15, 0
	s_delay_alu instid0(VALU_DEP_1) | instskip(NEXT) | instid1(VALU_DEP_1)
	v_lshrrev_b32_e32 v2, 27, v2
	v_add_nc_u32_e32 v4, v65, v2
	ds_load_b64 v[2:3], v0
	v_lshlrev_b32_e32 v5, 9, v131
	v_and_b32_e32 v4, 0xffffffe0, v4
	s_delay_alu instid0(VALU_DEP_1) | instskip(NEXT) | instid1(VALU_DEP_1)
	v_sub_nc_u32_e32 v4, v65, v4
	v_add3_u32 v131, v36, v4, v5
	s_delay_alu instid0(VALU_DEP_1)
	v_ashrrev_i32_e32 v132, 31, v131
	s_waitcnt lgkmcnt(0)
	v_dual_mov_b32 v5, v3 :: v_dual_mov_b32 v4, v2
.LBB10_235:                             ;   Parent Loop BB10_93 Depth=1
                                        ;     Parent Loop BB10_96 Depth=2
                                        ; =>    This Inner Loop Header: Depth=3
	s_delay_alu instid0(VALU_DEP_1) | instskip(NEXT) | instid1(VALU_DEP_2)
	v_add_co_u32 v133, vcc_lo, v131, v4
	v_add_co_ci_u32_e32 v134, vcc_lo, v132, v5, vcc_lo
	v_sub_nc_u32_e32 v129, v129, v82
	s_clause 0xf
	flat_load_u8 v135, v[133:134] slc dlc
	flat_load_u8 v144, v[133:134] offset:32 slc dlc
	flat_load_u8 v145, v[133:134] offset:64 slc dlc
	;; [unrolled: 1-line block ×15, first 2 shown]
	v_add_co_u32 v133, vcc_lo, v131, v2
	v_add_co_ci_u32_e32 v134, vcc_lo, v132, v3, vcc_lo
	v_add_co_u32 v4, vcc_lo, v4, v100
	v_add_co_ci_u32_e32 v5, vcc_lo, v5, v101, vcc_lo
	v_add_co_u32 v2, vcc_lo, v2, v100
	v_add_co_ci_u32_e32 v3, vcc_lo, v3, v101, vcc_lo
	v_cmp_gt_i32_e32 vcc_lo, 1, v129
	s_waitcnt vmcnt(15) lgkmcnt(15)
	flat_store_b8 v[133:134], v135 glc slc dlc
	s_waitcnt vmcnt(14) lgkmcnt(15)
	flat_store_b8 v[133:134], v144 offset:32 glc slc dlc
	s_waitcnt vmcnt(13) lgkmcnt(15)
	flat_store_b8 v[133:134], v145 offset:64 glc slc dlc
	;; [unrolled: 2-line block ×15, first 2 shown]
	s_or_b32 s15, vcc_lo, s15
	s_delay_alu instid0(SALU_CYCLE_1)
	s_and_not1_b32 exec_lo, exec_lo, s15
	s_cbranch_execnz .LBB10_235
; %bb.236:                              ;   in Loop: Header=BB10_96 Depth=2
	s_or_b32 exec_lo, exec_lo, s15
.LBB10_237:                             ;   in Loop: Header=BB10_96 Depth=2
	s_delay_alu instid0(SALU_CYCLE_1) | instskip(SKIP_2) | instid1(VALU_DEP_1)
	s_or_b32 exec_lo, exec_lo, s13
	v_lshlrev_b32_e32 v2, 9, v130
	s_mov_b32 s15, exec_lo
	v_cmpx_ne_u32_e64 v64, v2
	s_cbranch_execz .LBB10_242
; %bb.238:                              ;   in Loop: Header=BB10_96 Depth=2
	v_ashrrev_i32_e32 v3, 31, v65
	v_lshlrev_b32_e32 v4, 5, v129
	s_delay_alu instid0(VALU_DEP_2) | instskip(NEXT) | instid1(VALU_DEP_1)
	v_lshrrev_b32_e32 v3, 27, v3
	v_add_nc_u32_e32 v3, v65, v3
	s_delay_alu instid0(VALU_DEP_1) | instskip(NEXT) | instid1(VALU_DEP_1)
	v_and_b32_e32 v3, 0xffffffe0, v3
	v_sub_nc_u32_e32 v3, v65, v3
	s_delay_alu instid0(VALU_DEP_1) | instskip(NEXT) | instid1(VALU_DEP_1)
	v_sub_nc_u32_e32 v3, v3, v4
	v_add_nc_u32_e32 v5, v2, v3
	s_delay_alu instid0(VALU_DEP_1) | instskip(NEXT) | instid1(VALU_DEP_1)
	v_sub_nc_u32_e32 v4, v64, v5
	v_cmp_lt_i32_e32 vcc_lo, 0, v4
	s_and_b32 exec_lo, exec_lo, vcc_lo
	s_cbranch_execz .LBB10_242
; %bb.239:                              ;   in Loop: Header=BB10_96 Depth=2
	s_cbranch_execnz .LBB10_1534
; %bb.240:                              ;   in Loop: Header=BB10_96 Depth=2
	ds_load_b64 v[2:3], v0
	v_add_nc_u32_e32 v5, v5, v36
	s_mov_b32 s16, 0
	s_delay_alu instid0(VALU_DEP_1)
	v_ashrrev_i32_e32 v36, 31, v5
.LBB10_241:                             ;   Parent Loop BB10_93 Depth=1
                                        ;     Parent Loop BB10_96 Depth=2
                                        ; =>    This Inner Loop Header: Depth=3
	s_waitcnt lgkmcnt(0)
	v_add_co_u32 v64, vcc_lo, v2, v5
	s_delay_alu instid0(VALU_DEP_2)
	v_add_co_ci_u32_e32 v65, vcc_lo, v3, v36, vcc_lo
	v_sub_nc_u32_e32 v4, v4, v87
	v_add_co_u32 v5, s13, v5, v112
	flat_load_u8 v129, v[64:65] slc dlc
	v_add_co_ci_u32_e64 v36, s13, v36, v113, s13
	v_cmp_gt_i32_e32 vcc_lo, 1, v4
	s_or_b32 s16, vcc_lo, s16
	s_waitcnt vmcnt(0) lgkmcnt(0)
	flat_store_b8 v[64:65], v129 glc slc dlc
	s_and_not1_b32 exec_lo, exec_lo, s16
	s_cbranch_execnz .LBB10_241
.LBB10_242:                             ;   in Loop: Header=BB10_96 Depth=2
	s_or_b32 exec_lo, exec_lo, s15
.LBB10_243:                             ;   in Loop: Header=BB10_96 Depth=2
	s_delay_alu instid0(SALU_CYCLE_1)
	s_or_b32 exec_lo, exec_lo, s14
.LBB10_244:                             ;   in Loop: Header=BB10_96 Depth=2
	s_and_saveexec_b32 s13, s2
	s_cbranch_execz .LBB10_266
; %bb.245:                              ;   in Loop: Header=BB10_96 Depth=2
	s_and_saveexec_b32 s14, s3
	s_delay_alu instid0(SALU_CYCLE_1)
	s_xor_b32 s14, exec_lo, s14
	s_cbranch_execz .LBB10_263
; %bb.246:                              ;   in Loop: Header=BB10_96 Depth=2
	s_and_saveexec_b32 s15, s1
	s_cbranch_execz .LBB10_262
; %bb.247:                              ;   in Loop: Header=BB10_96 Depth=2
	s_mov_b32 s17, exec_lo
	s_mov_b32 s16, exec_lo
	v_mbcnt_lo_u32_b32 v2, s17, 0
	s_waitcnt lgkmcnt(0)
	s_waitcnt_vscnt null, 0x0
	buffer_gl1_inv
	buffer_gl0_inv
	v_cmpx_eq_u32_e32 0, v2
	s_cbranch_execz .LBB10_249
; %bb.248:                              ;   in Loop: Header=BB10_96 Depth=2
	s_bcnt1_i32_b32 s17, s17
	s_delay_alu instid0(SALU_CYCLE_1)
	v_mov_b32_e32 v36, s17
	ds_add_u64 v0, v[36:37]
	s_cbranch_execnz .LBB10_1427
.LBB10_249:                             ;   in Loop: Header=BB10_96 Depth=2
	s_or_b32 exec_lo, exec_lo, s16
	s_cbranch_execnz .LBB10_1391
; %bb.250:                              ;   in Loop: Header=BB10_96 Depth=2
	ds_load_b64 v[2:3], v0
	v_add_co_u32 v28, vcc_lo, v28, v82
	v_add_co_ci_u32_e32 v29, vcc_lo, 0, v29, vcc_lo
	s_mov_b32 s16, exec_lo
	s_waitcnt lgkmcnt(0)
	s_delay_alu instid0(VALU_DEP_1)
	v_cmpx_lt_u64_e64 v[2:3], v[28:29]
	s_cbranch_execz .LBB10_261
; %bb.251:                              ;   in Loop: Header=BB10_96 Depth=2
	s_mov_b32 s17, 0
	s_mov_b32 s34, 0
                                        ; implicit-def: $sgpr30
                                        ; implicit-def: $sgpr31
	s_branch .LBB10_253
.LBB10_252:                             ;   in Loop: Header=BB10_253 Depth=3
	s_or_b32 exec_lo, exec_lo, s36
	s_delay_alu instid0(SALU_CYCLE_1) | instskip(NEXT) | instid1(SALU_CYCLE_1)
	s_and_b32 vcc_lo, exec_lo, vcc_lo
	s_or_b32 s17, vcc_lo, s17
	s_and_not1_b32 vcc_lo, s30, exec_lo
	s_and_b32 s30, s31, exec_lo
	s_delay_alu instid0(SALU_CYCLE_1)
	s_or_b32 s30, vcc_lo, s30
	s_and_not1_b32 exec_lo, exec_lo, s17
	s_cbranch_execz .LBB10_259
.LBB10_253:                             ;   Parent Loop BB10_93 Depth=1
                                        ;     Parent Loop BB10_96 Depth=2
                                        ; =>    This Inner Loop Header: Depth=3
	s_add_i32 s34, s34, 1
                                        ; implicit-def: $sgpr36
	s_delay_alu instid0(SALU_CYCLE_1) | instskip(SKIP_1) | instid1(SALU_CYCLE_1)
	s_cmpk_lg_i32 s34, 0x2710
	s_cselect_b32 s35, -1, 0
	s_and_b32 vcc_lo, exec_lo, s35
	s_cbranch_vccz .LBB10_257
.LBB10_254:                             ;   in Loop: Header=BB10_253 Depth=3
	s_and_not1_b32 s31, s31, exec_lo
	s_and_b32 s36, s36, exec_lo
	s_mov_b32 vcc_lo, -1
	s_or_b32 s31, s31, s36
	s_and_saveexec_b32 s36, s35
	s_cbranch_execz .LBB10_252
; %bb.255:                              ;   in Loop: Header=BB10_253 Depth=3
	s_sleep 1
	s_cbranch_execnz .LBB10_1498
; %bb.256:                              ;   in Loop: Header=BB10_253 Depth=3
	ds_load_b64 v[2:3], v0
	s_and_not1_b32 s31, s31, exec_lo
	s_waitcnt lgkmcnt(0)
	v_cmp_ge_u64_e32 vcc_lo, v[2:3], v[28:29]
	s_or_not1_b32 vcc_lo, vcc_lo, exec_lo
	s_branch .LBB10_252
.LBB10_257:                             ;   in Loop: Header=BB10_253 Depth=3
	s_cbranch_execnz .LBB10_1512
; %bb.258:                              ;   in Loop: Header=BB10_253 Depth=3
	ds_load_b64 v[2:3], v0
	s_and_not1_b32 s35, s35, exec_lo
	s_mov_b32 s34, 0
	s_mov_b32 s36, -1
	s_waitcnt lgkmcnt(0)
	flat_load_b32 v2, v[2:3] glc
	s_waitcnt vmcnt(0) lgkmcnt(0)
	buffer_gl1_inv
	buffer_gl0_inv
	v_cmp_eq_u32_e32 vcc_lo, 0, v2
	s_and_b32 vcc_lo, vcc_lo, exec_lo
	s_delay_alu instid0(SALU_CYCLE_1)
	s_or_b32 s35, s35, vcc_lo
	s_branch .LBB10_254
.LBB10_259:                             ;   in Loop: Header=BB10_96 Depth=2
	s_or_b32 exec_lo, exec_lo, s17
	s_and_saveexec_b32 s17, s30
	s_delay_alu instid0(SALU_CYCLE_1)
	s_xor_b32 s17, exec_lo, s17
	s_cbranch_execz .LBB10_261
; %bb.260:                              ;   in Loop: Header=BB10_96 Depth=2
	ds_store_b32 v0, v117
	s_cbranch_execnz .LBB10_1596
.LBB10_261:                             ;   in Loop: Header=BB10_96 Depth=2
	s_or_b32 exec_lo, exec_lo, s16
	;;#ASMSTART
	s_wakeup
	;;#ASMEND
.LBB10_262:                             ;   in Loop: Header=BB10_96 Depth=2
	s_or_b32 exec_lo, exec_lo, s15
.LBB10_263:                             ;   in Loop: Header=BB10_96 Depth=2
	s_and_not1_saveexec_b32 s14, s14
	s_cbranch_execz .LBB10_265
; %bb.264:                              ;   in Loop: Header=BB10_96 Depth=2
	s_waitcnt lgkmcnt(0)
	s_waitcnt_vscnt null, 0x0
	buffer_gl1_inv
	buffer_gl0_inv
	s_barrier
.LBB10_265:                             ;   in Loop: Header=BB10_96 Depth=2
	s_or_b32 exec_lo, exec_lo, s14
.LBB10_266:                             ;   in Loop: Header=BB10_96 Depth=2
	s_delay_alu instid0(SALU_CYCLE_1) | instskip(SKIP_1) | instid1(SALU_CYCLE_1)
	s_or_b32 exec_lo, exec_lo, s13
                                        ; implicit-def: $vgpr2
	s_and_saveexec_b32 s13, s6
	s_xor_b32 s14, exec_lo, s13
	s_cbranch_execz .LBB10_270
; %bb.267:                              ;   in Loop: Header=BB10_96 Depth=2
	v_and_b32_e32 v2, 16, v30
	v_cmp_lt_i32_e32 vcc_lo, 0, v53
	s_delay_alu instid0(VALU_DEP_2) | instskip(SKIP_1) | instid1(VALU_DEP_2)
	v_cmp_ne_u32_e64 s13, 0, v2
	v_and_b32_e32 v2, 16, v30
	s_and_b32 s15, s13, vcc_lo
	s_delay_alu instid0(SALU_CYCLE_1)
	s_and_saveexec_b32 s13, s15
	s_cbranch_execz .LBB10_269
; %bb.268:                              ;   in Loop: Header=BB10_96 Depth=2
	v_mov_b32_e32 v2, 1
	s_waitcnt lgkmcnt(0)
	s_waitcnt_vscnt null, 0x0
	buffer_gl1_inv
	buffer_gl0_inv
.LBB10_269:                             ;   in Loop: Header=BB10_96 Depth=2
	s_or_b32 exec_lo, exec_lo, s13
.LBB10_270:                             ;   in Loop: Header=BB10_96 Depth=2
	s_and_not1_saveexec_b32 s13, s14
	s_cbranch_execz .LBB10_292
; %bb.271:                              ;   in Loop: Header=BB10_96 Depth=2
	s_and_saveexec_b32 s14, s3
	s_delay_alu instid0(SALU_CYCLE_1)
	s_xor_b32 s14, exec_lo, s14
	s_cbranch_execz .LBB10_289
; %bb.272:                              ;   in Loop: Header=BB10_96 Depth=2
	s_and_saveexec_b32 s15, s1
	s_cbranch_execz .LBB10_288
; %bb.273:                              ;   in Loop: Header=BB10_96 Depth=2
	s_mov_b32 s17, exec_lo
	s_mov_b32 s16, exec_lo
	v_mbcnt_lo_u32_b32 v2, s17, 0
	;;#ASMSTART
	s_waitcnt lgkmcnt(0) vmcnt(0)
	;;#ASMEND
	s_delay_alu instid0(VALU_DEP_1)
	v_cmpx_eq_u32_e32 0, v2
	s_cbranch_execz .LBB10_275
; %bb.274:                              ;   in Loop: Header=BB10_96 Depth=2
	s_bcnt1_i32_b32 s17, s17
	s_delay_alu instid0(SALU_CYCLE_1)
	v_mov_b32_e32 v36, s17
	ds_add_u64 v0, v[36:37]
	s_cbranch_execnz .LBB10_1437
.LBB10_275:                             ;   in Loop: Header=BB10_96 Depth=2
	s_or_b32 exec_lo, exec_lo, s16
	s_cbranch_execnz .LBB10_1399
; %bb.276:                              ;   in Loop: Header=BB10_96 Depth=2
	ds_load_b64 v[2:3], v0
	v_add_co_u32 v28, vcc_lo, v28, v82
	v_add_co_ci_u32_e32 v29, vcc_lo, 0, v29, vcc_lo
	s_mov_b32 s16, exec_lo
	s_waitcnt lgkmcnt(0)
	s_delay_alu instid0(VALU_DEP_1)
	v_cmpx_lt_u64_e64 v[2:3], v[28:29]
	s_cbranch_execz .LBB10_287
; %bb.277:                              ;   in Loop: Header=BB10_96 Depth=2
	s_mov_b32 s17, 0
	s_mov_b32 s34, 0
                                        ; implicit-def: $sgpr30
                                        ; implicit-def: $sgpr31
	s_branch .LBB10_279
.LBB10_278:                             ;   in Loop: Header=BB10_279 Depth=3
	s_or_b32 exec_lo, exec_lo, s36
	s_delay_alu instid0(SALU_CYCLE_1) | instskip(NEXT) | instid1(SALU_CYCLE_1)
	s_and_b32 vcc_lo, exec_lo, vcc_lo
	s_or_b32 s17, vcc_lo, s17
	s_and_not1_b32 vcc_lo, s30, exec_lo
	s_and_b32 s30, s31, exec_lo
	s_delay_alu instid0(SALU_CYCLE_1)
	s_or_b32 s30, vcc_lo, s30
	s_and_not1_b32 exec_lo, exec_lo, s17
	s_cbranch_execz .LBB10_285
.LBB10_279:                             ;   Parent Loop BB10_93 Depth=1
                                        ;     Parent Loop BB10_96 Depth=2
                                        ; =>    This Inner Loop Header: Depth=3
	s_add_i32 s34, s34, 1
                                        ; implicit-def: $sgpr36
	s_delay_alu instid0(SALU_CYCLE_1) | instskip(SKIP_1) | instid1(SALU_CYCLE_1)
	s_cmpk_lg_i32 s34, 0x2710
	s_cselect_b32 s35, -1, 0
	s_and_b32 vcc_lo, exec_lo, s35
	s_cbranch_vccz .LBB10_283
.LBB10_280:                             ;   in Loop: Header=BB10_279 Depth=3
	s_and_not1_b32 s31, s31, exec_lo
	s_and_b32 s36, s36, exec_lo
	s_mov_b32 vcc_lo, -1
	s_or_b32 s31, s31, s36
	s_and_saveexec_b32 s36, s35
	s_cbranch_execz .LBB10_278
; %bb.281:                              ;   in Loop: Header=BB10_279 Depth=3
	s_sleep 1
	s_cbranch_execnz .LBB10_1504
; %bb.282:                              ;   in Loop: Header=BB10_279 Depth=3
	ds_load_b64 v[2:3], v0
	s_and_not1_b32 s31, s31, exec_lo
	s_waitcnt lgkmcnt(0)
	v_cmp_ge_u64_e32 vcc_lo, v[2:3], v[28:29]
	s_or_not1_b32 vcc_lo, vcc_lo, exec_lo
	s_branch .LBB10_278
.LBB10_283:                             ;   in Loop: Header=BB10_279 Depth=3
	s_cbranch_execnz .LBB10_1520
; %bb.284:                              ;   in Loop: Header=BB10_279 Depth=3
	ds_load_b64 v[2:3], v0
	s_and_not1_b32 s35, s35, exec_lo
	s_mov_b32 s34, 0
	s_mov_b32 s36, -1
	s_waitcnt lgkmcnt(0)
	s_waitcnt_vscnt null, 0x0
	flat_load_b32 v2, v[2:3] glc
	s_waitcnt vmcnt(0) lgkmcnt(0)
	buffer_gl1_inv
	buffer_gl0_inv
	v_cmp_eq_u32_e32 vcc_lo, 0, v2
	s_and_b32 vcc_lo, vcc_lo, exec_lo
	s_delay_alu instid0(SALU_CYCLE_1)
	s_or_b32 s35, s35, vcc_lo
	s_branch .LBB10_280
.LBB10_285:                             ;   in Loop: Header=BB10_96 Depth=2
	s_or_b32 exec_lo, exec_lo, s17
	s_and_saveexec_b32 s17, s30
	s_delay_alu instid0(SALU_CYCLE_1)
	s_xor_b32 s17, exec_lo, s17
	s_cbranch_execz .LBB10_287
; %bb.286:                              ;   in Loop: Header=BB10_96 Depth=2
	ds_store_b32 v0, v117
	s_cbranch_execnz .LBB10_1598
.LBB10_287:                             ;   in Loop: Header=BB10_96 Depth=2
	s_or_b32 exec_lo, exec_lo, s16
	;;#ASMSTART
	s_wakeup
	;;#ASMEND
.LBB10_288:                             ;   in Loop: Header=BB10_96 Depth=2
	s_or_b32 exec_lo, exec_lo, s15
.LBB10_289:                             ;   in Loop: Header=BB10_96 Depth=2
	s_and_not1_saveexec_b32 s14, s14
	s_cbranch_execz .LBB10_291
; %bb.290:                              ;   in Loop: Header=BB10_96 Depth=2
	;;#ASMSTART
	s_waitcnt lgkmcnt(0) vmcnt(0)
	;;#ASMEND
	s_waitcnt lgkmcnt(0)
	s_waitcnt_vscnt null, 0x0
	s_barrier
.LBB10_291:                             ;   in Loop: Header=BB10_96 Depth=2
	s_or_b32 exec_lo, exec_lo, s14
	v_and_b32_e32 v2, 16, v30
.LBB10_292:                             ;   in Loop: Header=BB10_96 Depth=2
	s_or_b32 exec_lo, exec_lo, s13
	s_delay_alu instid0(SALU_CYCLE_1) | instskip(NEXT) | instid1(VALU_DEP_1)
	s_mov_b32 s13, exec_lo
	v_cmpx_ne_u32_e32 0, v2
	s_cbranch_execz .LBB10_296
; %bb.293:                              ;   in Loop: Header=BB10_96 Depth=2
	s_and_saveexec_b32 s14, s10
	s_cbranch_execz .LBB10_295
; %bb.294:                              ;   in Loop: Header=BB10_96 Depth=2
	s_waitcnt lgkmcnt(0)
	s_waitcnt_vscnt null, 0x0
	flat_store_b32 v[32:33], v117
.LBB10_295:                             ;   in Loop: Header=BB10_96 Depth=2
	s_or_b32 exec_lo, exec_lo, s14
	v_add_co_u32 v14, vcc_lo, v14, 2
	v_add_co_ci_u32_e32 v15, vcc_lo, 0, v15, vcc_lo
	s_waitcnt lgkmcnt(0)
	s_waitcnt_vscnt null, 0x0
	flat_store_b64 v[24:25], v[14:15]
.LBB10_296:                             ;   in Loop: Header=BB10_96 Depth=2
	s_or_b32 exec_lo, exec_lo, s13
	v_add_nc_u32_e32 v128, v52, v128
	v_readlane_b32 s13, v45, 1
	s_mov_b32 s15, 2
	s_delay_alu instid0(VALU_DEP_2) | instskip(NEXT) | instid1(VALU_DEP_2)
	v_cmp_ge_i32_e32 vcc_lo, v128, v118
	s_xor_b32 s13, s13, -1
	s_delay_alu instid0(SALU_CYCLE_1) | instskip(NEXT) | instid1(SALU_CYCLE_1)
	s_or_b32 s13, s13, vcc_lo
	s_and_b32 s14, exec_lo, s13
	v_readlane_b32 s13, v45, 0
	s_or_b32 vcc_hi, s14, vcc_hi
	s_mov_b32 s14, 0
	s_delay_alu instid0(VALU_DEP_1)
	v_mov_b32_e32 v2, s13
	s_and_not1_b32 exec_lo, exec_lo, vcc_hi
	s_cbranch_execnz .LBB10_96
; %bb.297:                              ;   in Loop: Header=BB10_93 Depth=1
	s_or_b32 exec_lo, exec_lo, vcc_hi
.LBB10_298:                             ;   in Loop: Header=BB10_93 Depth=1
	s_delay_alu instid0(SALU_CYCLE_1) | instskip(NEXT) | instid1(SALU_CYCLE_1)
	s_or_b32 exec_lo, exec_lo, s29
	s_mov_b32 s14, exec_lo
	v_cmpx_gt_i32_e32 2, v2
	s_cbranch_execz .LBB10_379
; %bb.299:                              ;   in Loop: Header=BB10_93 Depth=1
	v_cmp_eq_u32_e64 s13, 0, v2
	s_mov_b32 s15, 0
.LBB10_300:                             ;   Parent Loop BB10_93 Depth=1
                                        ; =>  This Loop Header: Depth=2
                                        ;       Child Loop BB10_306 Depth 3
                                        ;       Child Loop BB10_333 Depth 3
	;; [unrolled: 1-line block ×3, first 2 shown]
	v_and_b32_e32 v2, 8, v30
	s_mov_b32 s17, -1
	s_mov_b32 s16, exec_lo
	s_delay_alu instid0(VALU_DEP_1)
	v_cmpx_ne_u32_e32 0, v2
	s_cbranch_execz .LBB10_314
; %bb.301:                              ;   in Loop: Header=BB10_300 Depth=2
	v_add_co_u32 v4, vcc_lo, v34, 8
	v_add_co_ci_u32_e32 v5, vcc_lo, 0, v35, vcc_lo
	v_add_co_u32 v2, vcc_lo, v14, 2
	v_add_co_ci_u32_e32 v3, vcc_lo, 0, v15, vcc_lo
	s_delay_alu instid0(VALU_DEP_1)
	v_cmp_lt_u64_e32 vcc_lo, v[4:5], v[2:3]
	v_mov_b32_e32 v4, 1
	s_and_saveexec_b32 s17, vcc_lo
	s_cbranch_execz .LBB10_313
; %bb.302:                              ;   in Loop: Header=BB10_300 Depth=2
	v_mov_b32_e32 v4, 0
	s_mov_b32 s29, 0
                                        ; implicit-def: $vcc_hi
	s_branch .LBB10_306
.LBB10_303:                             ;   in Loop: Header=BB10_306 Depth=3
	s_or_b32 exec_lo, exec_lo, s35
	v_mov_b32_e32 v5, 0
	s_or_not1_b32 s34, s34, exec_lo
.LBB10_304:                             ;   in Loop: Header=BB10_306 Depth=3
	s_or_b32 exec_lo, exec_lo, s31
	s_delay_alu instid0(VALU_DEP_1) | instskip(SKIP_2) | instid1(SALU_CYCLE_1)
	v_mov_b32_e32 v4, v5
	s_and_not1_b32 vcc_lo, vcc_hi, exec_lo
	s_and_b32 vcc_hi, s34, exec_lo
	s_or_b32 vcc_hi, vcc_lo, vcc_hi
.LBB10_305:                             ;   in Loop: Header=BB10_306 Depth=3
	s_or_b32 exec_lo, exec_lo, s30
	s_waitcnt vmcnt(0) lgkmcnt(0)
	v_add_co_u32 v53, vcc_lo, v34, 8
	v_add_co_ci_u32_e32 v54, vcc_lo, 0, v35, vcc_lo
	s_delay_alu instid0(VALU_DEP_1) | instskip(SKIP_1) | instid1(SALU_CYCLE_1)
	v_cmp_ge_u64_e32 vcc_lo, v[53:54], v[2:3]
	s_xor_b32 s30, vcc_hi, -1
	s_or_b32 vcc_lo, s30, vcc_lo
	s_delay_alu instid0(SALU_CYCLE_1) | instskip(NEXT) | instid1(SALU_CYCLE_1)
	s_and_b32 vcc_lo, exec_lo, vcc_lo
	s_or_b32 s29, vcc_lo, s29
	s_delay_alu instid0(SALU_CYCLE_1)
	s_and_not1_b32 exec_lo, exec_lo, s29
	s_cbranch_execz .LBB10_312
.LBB10_306:                             ;   Parent Loop BB10_93 Depth=1
                                        ;     Parent Loop BB10_300 Depth=2
                                        ; =>    This Inner Loop Header: Depth=3
	s_sleep 1
	flat_load_b64 v[34:35], v[24:25] glc
	v_and_b32_e32 v5, 64, v30
	s_and_not1_b32 vcc_hi, vcc_hi, exec_lo
	s_mov_b32 s30, exec_lo
	s_delay_alu instid0(VALU_DEP_1)
	v_cmpx_eq_u32_e32 0, v5
	s_cbranch_execz .LBB10_305
; %bb.307:                              ;   in Loop: Header=BB10_306 Depth=3
	v_add_nc_u32_e32 v5, 1, v4
	s_mov_b32 s34, -1
	s_mov_b32 s31, exec_lo
	v_cmpx_lt_i32_e32 0x270e, v4
	s_cbranch_execz .LBB10_304
; %bb.308:                              ;   in Loop: Header=BB10_306 Depth=3
	s_cbranch_execnz .LBB10_1234
; %bb.309:                              ;   in Loop: Header=BB10_306 Depth=3
	ds_load_b64 v[4:5], v0
	s_mov_b32 s35, exec_lo
	s_waitcnt vmcnt(0) lgkmcnt(0)
	s_waitcnt_vscnt null, 0x0
	flat_load_b32 v4, v[4:5] glc
	s_waitcnt vmcnt(0) lgkmcnt(0)
	buffer_gl1_inv
	buffer_gl0_inv
	v_cmpx_ne_u32_e32 0, v4
	s_cbranch_execz .LBB10_303
; %bb.310:                              ;   in Loop: Header=BB10_306 Depth=3
	ds_store_b32 v0, v4
	s_cbranch_execnz .LBB10_1287
; %bb.311:                              ;   in Loop: Header=BB10_306 Depth=3
	v_or_b32_e32 v30, 64, v30
	s_xor_b32 s34, exec_lo, -1
	s_branch .LBB10_303
.LBB10_312:                             ;   in Loop: Header=BB10_300 Depth=2
	s_or_b32 exec_lo, exec_lo, s29
	v_and_b32_e32 v4, 8, v30
.LBB10_313:                             ;   in Loop: Header=BB10_300 Depth=2
	s_or_b32 exec_lo, exec_lo, s17
	s_delay_alu instid0(VALU_DEP_1)
	v_cmp_eq_u32_e32 vcc_lo, 0, v4
	;;#ASMSTART
	s_wakeup
	;;#ASMEND
	s_or_not1_b32 s17, vcc_lo, exec_lo
.LBB10_314:                             ;   in Loop: Header=BB10_300 Depth=2
	s_or_b32 exec_lo, exec_lo, s16
	v_sub_nc_u32_e32 v2, v118, v128
	s_xor_b32 s13, s13, -1
	s_delay_alu instid0(SALU_CYCLE_1) | instskip(NEXT) | instid1(SALU_CYCLE_1)
	s_and_b32 s13, exec_lo, s13
	s_or_b32 s15, s13, s15
	s_delay_alu instid0(VALU_DEP_1) | instskip(SKIP_1) | instid1(SALU_CYCLE_1)
	v_min_i32_e32 v52, v52, v2
	s_xor_b32 s13, s17, -1
	s_and_saveexec_b32 s16, s13
	s_cbranch_execz .LBB10_324
; %bb.315:                              ;   in Loop: Header=BB10_300 Depth=2
	v_and_b32_e32 v2, 0x100, v30
	v_and_b32_e32 v36, 7, v14
	s_mov_b32 s13, -1
	s_delay_alu instid0(VALU_DEP_2)
	v_cmp_ne_u32_e32 vcc_lo, 0, v2
                                        ; implicit-def: $vgpr2_vgpr3
	s_and_saveexec_b32 s17, vcc_lo
	s_cbranch_execz .LBB10_319
; %bb.316:                              ;   in Loop: Header=BB10_300 Depth=2
	v_mad_u64_u32 v[4:5], null, v36, 24, v[12:13]
	v_ashrrev_i32_e32 v53, 31, v52
	flat_load_b32 v2, v[4:5]
	flat_store_b64 v[4:5], v[52:53] offset:8
	s_waitcnt vmcnt(0) lgkmcnt(1)
	v_cmp_ne_u32_e32 vcc_lo, 1, v2
	v_cmp_eq_u32_e64 s13, 1, v2
                                        ; implicit-def: $vgpr2_vgpr3
	s_delay_alu instid0(VALU_DEP_1)
	s_and_saveexec_b32 s29, s13
	s_cbranch_execz .LBB10_318
; %bb.317:                              ;   in Loop: Header=BB10_300 Depth=2
	flat_load_b32 v2, v[4:5] offset:4 glc
	s_waitcnt vmcnt(0) lgkmcnt(0)
	v_ashrrev_i32_e32 v3, 31, v2
.LBB10_318:                             ;   in Loop: Header=BB10_300 Depth=2
	s_or_b32 exec_lo, exec_lo, s29
	s_delay_alu instid0(SALU_CYCLE_1)
	s_or_not1_b32 s13, vcc_lo, exec_lo
.LBB10_319:                             ;   in Loop: Header=BB10_300 Depth=2
	s_or_b32 exec_lo, exec_lo, s17
	s_and_saveexec_b32 s17, s13
; %bb.320:                              ;   in Loop: Header=BB10_300 Depth=2
	v_mad_i64_i32 v[2:3], null, v36, v68, 0
; %bb.321:                              ;   in Loop: Header=BB10_300 Depth=2
	s_or_b32 exec_lo, exec_lo, s17
	s_delay_alu instid0(VALU_DEP_1) | instskip(SKIP_1) | instid1(VALU_DEP_3)
	v_add_co_u32 v2, vcc_lo, v26, v2
	v_and_b32_e32 v4, 0x2000, v30
	v_add_co_ci_u32_e32 v3, vcc_lo, v27, v3, vcc_lo
	s_mov_b32 s13, exec_lo
	ds_store_b64 v0, v[2:3] offset:792
	v_cmpx_ne_u32_e32 0, v4
	s_cbranch_execz .LBB10_323
; %bb.322:                              ;   in Loop: Header=BB10_300 Depth=2
	ds_load_b64 v[2:3], v0 offset:584
	s_waitcnt lgkmcnt(0)
	v_add_co_u32 v2, vcc_lo, v2, 1
	v_add_co_ci_u32_e32 v3, vcc_lo, 0, v3, vcc_lo
	ds_store_b64 v0, v[2:3] offset:584
.LBB10_323:                             ;   in Loop: Header=BB10_300 Depth=2
	s_or_b32 exec_lo, exec_lo, s13
	v_add_co_u32 v14, vcc_lo, v14, 2
	v_add_co_ci_u32_e32 v15, vcc_lo, 0, v15, vcc_lo
.LBB10_324:                             ;   in Loop: Header=BB10_300 Depth=2
	s_or_b32 exec_lo, exec_lo, s16
	s_and_saveexec_b32 s13, s2
	s_cbranch_execz .LBB10_346
; %bb.325:                              ;   in Loop: Header=BB10_300 Depth=2
	s_and_saveexec_b32 s16, s3
	s_delay_alu instid0(SALU_CYCLE_1)
	s_xor_b32 s16, exec_lo, s16
	s_cbranch_execz .LBB10_343
; %bb.326:                              ;   in Loop: Header=BB10_300 Depth=2
	s_and_saveexec_b32 s17, s1
	s_cbranch_execz .LBB10_342
; %bb.327:                              ;   in Loop: Header=BB10_300 Depth=2
	s_mov_b32 vcc_hi, exec_lo
	s_mov_b32 s29, exec_lo
	v_mbcnt_lo_u32_b32 v2, vcc_hi, 0
	s_waitcnt lgkmcnt(0)
	s_waitcnt_vscnt null, 0x0
	buffer_gl1_inv
	buffer_gl0_inv
	v_cmpx_eq_u32_e32 0, v2
	s_cbranch_execz .LBB10_329
; %bb.328:                              ;   in Loop: Header=BB10_300 Depth=2
	s_bcnt1_i32_b32 vcc_lo, vcc_hi
	s_delay_alu instid0(SALU_CYCLE_1)
	v_mov_b32_e32 v36, vcc_lo
	ds_add_u64 v0, v[36:37]
	s_cbranch_execnz .LBB10_1301
.LBB10_329:                             ;   in Loop: Header=BB10_300 Depth=2
	s_or_b32 exec_lo, exec_lo, s29
	s_cbranch_execnz .LBB10_1289
; %bb.330:                              ;   in Loop: Header=BB10_300 Depth=2
	ds_load_b64 v[2:3], v0
	v_add_co_u32 v28, vcc_lo, v28, v82
	v_add_co_ci_u32_e32 v29, vcc_lo, 0, v29, vcc_lo
	s_mov_b32 s29, exec_lo
	s_waitcnt lgkmcnt(0)
	s_delay_alu instid0(VALU_DEP_1)
	v_cmpx_lt_u64_e64 v[2:3], v[28:29]
	s_cbranch_execz .LBB10_341
; %bb.331:                              ;   in Loop: Header=BB10_300 Depth=2
	s_mov_b32 vcc_hi, 0
	s_mov_b32 s34, 0
                                        ; implicit-def: $sgpr30
                                        ; implicit-def: $sgpr31
	s_branch .LBB10_333
.LBB10_332:                             ;   in Loop: Header=BB10_333 Depth=3
	s_or_b32 exec_lo, exec_lo, s36
	s_delay_alu instid0(SALU_CYCLE_1) | instskip(NEXT) | instid1(SALU_CYCLE_1)
	s_and_b32 vcc_lo, exec_lo, vcc_lo
	s_or_b32 vcc_hi, vcc_lo, vcc_hi
	s_and_not1_b32 vcc_lo, s30, exec_lo
	s_and_b32 s30, s31, exec_lo
	s_delay_alu instid0(SALU_CYCLE_1)
	s_or_b32 s30, vcc_lo, s30
	s_and_not1_b32 exec_lo, exec_lo, vcc_hi
	s_cbranch_execz .LBB10_339
.LBB10_333:                             ;   Parent Loop BB10_93 Depth=1
                                        ;     Parent Loop BB10_300 Depth=2
                                        ; =>    This Inner Loop Header: Depth=3
	s_add_i32 s34, s34, 1
                                        ; implicit-def: $sgpr36
	s_delay_alu instid0(SALU_CYCLE_1) | instskip(SKIP_1) | instid1(SALU_CYCLE_1)
	s_cmpk_lg_i32 s34, 0x2710
	s_cselect_b32 s35, -1, 0
	s_and_b32 vcc_lo, exec_lo, s35
	s_cbranch_vccz .LBB10_337
.LBB10_334:                             ;   in Loop: Header=BB10_333 Depth=3
	s_and_not1_b32 s31, s31, exec_lo
	s_and_b32 s36, s36, exec_lo
	s_mov_b32 vcc_lo, -1
	s_or_b32 s31, s31, s36
	s_and_saveexec_b32 s36, s35
	s_cbranch_execz .LBB10_332
; %bb.335:                              ;   in Loop: Header=BB10_333 Depth=3
	s_sleep 1
	s_cbranch_execnz .LBB10_1351
; %bb.336:                              ;   in Loop: Header=BB10_333 Depth=3
	ds_load_b64 v[2:3], v0
	s_and_not1_b32 s31, s31, exec_lo
	s_waitcnt lgkmcnt(0)
	v_cmp_ge_u64_e32 vcc_lo, v[2:3], v[28:29]
	s_or_not1_b32 vcc_lo, vcc_lo, exec_lo
	s_branch .LBB10_332
.LBB10_337:                             ;   in Loop: Header=BB10_333 Depth=3
	s_cbranch_execnz .LBB10_1365
; %bb.338:                              ;   in Loop: Header=BB10_333 Depth=3
	ds_load_b64 v[2:3], v0
	s_and_not1_b32 s35, s35, exec_lo
	s_mov_b32 s34, 0
	s_mov_b32 s36, -1
	s_waitcnt lgkmcnt(0)
	flat_load_b32 v2, v[2:3] glc
	s_waitcnt vmcnt(0) lgkmcnt(0)
	buffer_gl1_inv
	buffer_gl0_inv
	v_cmp_eq_u32_e32 vcc_lo, 0, v2
	s_and_b32 vcc_lo, vcc_lo, exec_lo
	s_delay_alu instid0(SALU_CYCLE_1)
	s_or_b32 s35, s35, vcc_lo
	s_branch .LBB10_334
.LBB10_339:                             ;   in Loop: Header=BB10_300 Depth=2
	s_or_b32 exec_lo, exec_lo, vcc_hi
	s_and_saveexec_b32 vcc_lo, s30
	s_delay_alu instid0(SALU_CYCLE_1)
	s_xor_b32 vcc_lo, exec_lo, vcc_lo
	s_cbranch_execz .LBB10_341
; %bb.340:                              ;   in Loop: Header=BB10_300 Depth=2
	ds_store_b32 v0, v117
	s_cbranch_execnz .LBB10_1560
.LBB10_341:                             ;   in Loop: Header=BB10_300 Depth=2
	s_or_b32 exec_lo, exec_lo, s29
	;;#ASMSTART
	s_wakeup
	;;#ASMEND
.LBB10_342:                             ;   in Loop: Header=BB10_300 Depth=2
	s_or_b32 exec_lo, exec_lo, s17
.LBB10_343:                             ;   in Loop: Header=BB10_300 Depth=2
	s_and_not1_saveexec_b32 s16, s16
	s_cbranch_execz .LBB10_345
; %bb.344:                              ;   in Loop: Header=BB10_300 Depth=2
	s_waitcnt lgkmcnt(0)
	s_waitcnt_vscnt null, 0x0
	buffer_gl1_inv
	buffer_gl0_inv
	s_barrier
.LBB10_345:                             ;   in Loop: Header=BB10_300 Depth=2
	s_or_b32 exec_lo, exec_lo, s16
.LBB10_346:                             ;   in Loop: Header=BB10_300 Depth=2
	s_delay_alu instid0(SALU_CYCLE_1) | instskip(SKIP_1) | instid1(SALU_CYCLE_1)
	s_or_b32 exec_lo, exec_lo, s13
                                        ; implicit-def: $vgpr2
	s_and_saveexec_b32 s13, s6
	s_xor_b32 s16, exec_lo, s13
	s_cbranch_execz .LBB10_351
; %bb.347:                              ;   in Loop: Header=BB10_300 Depth=2
	s_cbranch_execnz .LBB10_1232
; %bb.348:                              ;   in Loop: Header=BB10_300 Depth=2
	ds_load_b32 v2, v0
	v_cmp_lt_i32_e32 vcc_lo, 0, v52
	s_waitcnt lgkmcnt(0)
	v_readfirstlane_b32 s13, v2
	v_and_b32_e32 v2, 16, v30
	s_delay_alu instid0(VALU_DEP_2) | instskip(NEXT) | instid1(VALU_DEP_1)
	s_cmp_eq_u32 s13, 0
	v_cmp_ne_u32_e64 s13, 0, v2
	s_cselect_b32 s17, -1, 0
	v_and_b32_e32 v2, 16, v30
	s_and_b32 s17, vcc_lo, s17
	s_delay_alu instid0(VALU_DEP_2) | instid1(SALU_CYCLE_1)
	s_and_b32 s17, s13, s17
	s_delay_alu instid0(SALU_CYCLE_1)
	s_and_saveexec_b32 s13, s17
	s_cbranch_execz .LBB10_350
; %bb.349:                              ;   in Loop: Header=BB10_300 Depth=2
	v_mov_b32_e32 v2, 1
	s_waitcnt_vscnt null, 0x0
	buffer_gl1_inv
	buffer_gl0_inv
.LBB10_350:                             ;   in Loop: Header=BB10_300 Depth=2
	s_or_b32 exec_lo, exec_lo, s13
.LBB10_351:                             ;   in Loop: Header=BB10_300 Depth=2
	s_and_not1_saveexec_b32 s13, s16
	s_cbranch_execz .LBB10_373
; %bb.352:                              ;   in Loop: Header=BB10_300 Depth=2
	s_and_saveexec_b32 s16, s3
	s_delay_alu instid0(SALU_CYCLE_1)
	s_xor_b32 s16, exec_lo, s16
	s_cbranch_execz .LBB10_370
; %bb.353:                              ;   in Loop: Header=BB10_300 Depth=2
	s_and_saveexec_b32 s17, s1
	s_cbranch_execz .LBB10_369
; %bb.354:                              ;   in Loop: Header=BB10_300 Depth=2
	s_mov_b32 vcc_hi, exec_lo
	s_mov_b32 s29, exec_lo
	v_mbcnt_lo_u32_b32 v2, vcc_hi, 0
	;;#ASMSTART
	s_waitcnt lgkmcnt(0) vmcnt(0)
	;;#ASMEND
	s_delay_alu instid0(VALU_DEP_1)
	v_cmpx_eq_u32_e32 0, v2
	s_cbranch_execz .LBB10_356
; %bb.355:                              ;   in Loop: Header=BB10_300 Depth=2
	s_bcnt1_i32_b32 vcc_lo, vcc_hi
	s_delay_alu instid0(SALU_CYCLE_1)
	v_mov_b32_e32 v36, vcc_lo
	ds_add_u64 v0, v[36:37]
	s_cbranch_execnz .LBB10_1321
.LBB10_356:                             ;   in Loop: Header=BB10_300 Depth=2
	s_or_b32 exec_lo, exec_lo, s29
	s_cbranch_execnz .LBB10_1299
; %bb.357:                              ;   in Loop: Header=BB10_300 Depth=2
	ds_load_b64 v[2:3], v0
	v_add_co_u32 v28, vcc_lo, v28, v82
	v_add_co_ci_u32_e32 v29, vcc_lo, 0, v29, vcc_lo
	s_mov_b32 s29, exec_lo
	s_waitcnt lgkmcnt(0)
	s_delay_alu instid0(VALU_DEP_1)
	v_cmpx_lt_u64_e64 v[2:3], v[28:29]
	s_cbranch_execz .LBB10_368
; %bb.358:                              ;   in Loop: Header=BB10_300 Depth=2
	s_mov_b32 vcc_hi, 0
	s_mov_b32 s34, 0
                                        ; implicit-def: $sgpr30
                                        ; implicit-def: $sgpr31
	s_branch .LBB10_360
.LBB10_359:                             ;   in Loop: Header=BB10_360 Depth=3
	s_or_b32 exec_lo, exec_lo, s36
	s_delay_alu instid0(SALU_CYCLE_1) | instskip(NEXT) | instid1(SALU_CYCLE_1)
	s_and_b32 vcc_lo, exec_lo, vcc_lo
	s_or_b32 vcc_hi, vcc_lo, vcc_hi
	s_and_not1_b32 vcc_lo, s30, exec_lo
	s_and_b32 s30, s31, exec_lo
	s_delay_alu instid0(SALU_CYCLE_1)
	s_or_b32 s30, vcc_lo, s30
	s_and_not1_b32 exec_lo, exec_lo, vcc_hi
	s_cbranch_execz .LBB10_366
.LBB10_360:                             ;   Parent Loop BB10_93 Depth=1
                                        ;     Parent Loop BB10_300 Depth=2
                                        ; =>    This Inner Loop Header: Depth=3
	s_add_i32 s34, s34, 1
                                        ; implicit-def: $sgpr36
	s_delay_alu instid0(SALU_CYCLE_1) | instskip(SKIP_1) | instid1(SALU_CYCLE_1)
	s_cmpk_lg_i32 s34, 0x2710
	s_cselect_b32 s35, -1, 0
	s_and_b32 vcc_lo, exec_lo, s35
	s_cbranch_vccz .LBB10_364
.LBB10_361:                             ;   in Loop: Header=BB10_360 Depth=3
	s_and_not1_b32 s31, s31, exec_lo
	s_and_b32 s36, s36, exec_lo
	s_mov_b32 vcc_lo, -1
	s_or_b32 s31, s31, s36
	s_and_saveexec_b32 s36, s35
	s_cbranch_execz .LBB10_359
; %bb.362:                              ;   in Loop: Header=BB10_360 Depth=3
	s_sleep 1
	s_cbranch_execnz .LBB10_1373
; %bb.363:                              ;   in Loop: Header=BB10_360 Depth=3
	ds_load_b64 v[2:3], v0
	s_and_not1_b32 s31, s31, exec_lo
	s_waitcnt lgkmcnt(0)
	v_cmp_ge_u64_e32 vcc_lo, v[2:3], v[28:29]
	s_or_not1_b32 vcc_lo, vcc_lo, exec_lo
	s_branch .LBB10_359
.LBB10_364:                             ;   in Loop: Header=BB10_360 Depth=3
	s_cbranch_execnz .LBB10_1385
; %bb.365:                              ;   in Loop: Header=BB10_360 Depth=3
	ds_load_b64 v[2:3], v0
	s_and_not1_b32 s35, s35, exec_lo
	s_mov_b32 s34, 0
	s_mov_b32 s36, -1
	s_waitcnt lgkmcnt(0)
	s_waitcnt_vscnt null, 0x0
	flat_load_b32 v2, v[2:3] glc
	s_waitcnt vmcnt(0) lgkmcnt(0)
	buffer_gl1_inv
	buffer_gl0_inv
	v_cmp_eq_u32_e32 vcc_lo, 0, v2
	s_and_b32 vcc_lo, vcc_lo, exec_lo
	s_delay_alu instid0(SALU_CYCLE_1)
	s_or_b32 s35, s35, vcc_lo
	s_branch .LBB10_361
.LBB10_366:                             ;   in Loop: Header=BB10_300 Depth=2
	s_or_b32 exec_lo, exec_lo, vcc_hi
	s_and_saveexec_b32 vcc_lo, s30
	s_delay_alu instid0(SALU_CYCLE_1)
	s_xor_b32 vcc_lo, exec_lo, vcc_lo
	s_cbranch_execz .LBB10_368
; %bb.367:                              ;   in Loop: Header=BB10_300 Depth=2
	ds_store_b32 v0, v117
	s_cbranch_execnz .LBB10_1568
.LBB10_368:                             ;   in Loop: Header=BB10_300 Depth=2
	s_or_b32 exec_lo, exec_lo, s29
	;;#ASMSTART
	s_wakeup
	;;#ASMEND
.LBB10_369:                             ;   in Loop: Header=BB10_300 Depth=2
	s_or_b32 exec_lo, exec_lo, s17
.LBB10_370:                             ;   in Loop: Header=BB10_300 Depth=2
	s_and_not1_saveexec_b32 s16, s16
	s_cbranch_execz .LBB10_372
; %bb.371:                              ;   in Loop: Header=BB10_300 Depth=2
	;;#ASMSTART
	s_waitcnt lgkmcnt(0) vmcnt(0)
	;;#ASMEND
	s_waitcnt lgkmcnt(0)
	s_waitcnt_vscnt null, 0x0
	s_barrier
.LBB10_372:                             ;   in Loop: Header=BB10_300 Depth=2
	s_or_b32 exec_lo, exec_lo, s16
	v_and_b32_e32 v2, 16, v30
.LBB10_373:                             ;   in Loop: Header=BB10_300 Depth=2
	s_or_b32 exec_lo, exec_lo, s13
	s_delay_alu instid0(SALU_CYCLE_1) | instskip(NEXT) | instid1(VALU_DEP_1)
	s_mov_b32 s13, exec_lo
	v_cmpx_ne_u32_e32 0, v2
	s_cbranch_execz .LBB10_377
; %bb.374:                              ;   in Loop: Header=BB10_300 Depth=2
	s_and_saveexec_b32 s16, s10
	s_cbranch_execz .LBB10_376
; %bb.375:                              ;   in Loop: Header=BB10_300 Depth=2
	s_waitcnt lgkmcnt(0)
	s_waitcnt_vscnt null, 0x0
	flat_store_b32 v[32:33], v117
.LBB10_376:                             ;   in Loop: Header=BB10_300 Depth=2
	s_or_b32 exec_lo, exec_lo, s16
	v_add_co_u32 v14, vcc_lo, v14, 2
	v_add_co_ci_u32_e32 v15, vcc_lo, 0, v15, vcc_lo
	s_waitcnt lgkmcnt(0)
	s_waitcnt_vscnt null, 0x0
	flat_store_b64 v[24:25], v[14:15]
.LBB10_377:                             ;   in Loop: Header=BB10_300 Depth=2
	s_or_b32 exec_lo, exec_lo, s13
	v_add_nc_u32_e32 v128, v52, v128
	s_mov_b32 s13, 0
	s_and_not1_b32 exec_lo, exec_lo, s15
	s_cbranch_execnz .LBB10_300
; %bb.378:                              ;   in Loop: Header=BB10_93 Depth=1
	s_or_b32 exec_lo, exec_lo, s15
.LBB10_379:                             ;   in Loop: Header=BB10_93 Depth=1
	s_delay_alu instid0(SALU_CYCLE_1)
	s_or_b32 exec_lo, exec_lo, s14
.LBB10_380:                             ;   in Loop: Header=BB10_93 Depth=1
	s_and_not1_saveexec_b32 s15, s28
	s_cbranch_execz .LBB10_626
; %bb.381:                              ;   in Loop: Header=BB10_93 Depth=1
	v_dual_mov_b32 v3, 0 :: v_dual_mov_b32 v2, v119
	v_mov_b32_e32 v5, 0
	s_mov_b32 s17, 0
	s_and_saveexec_b32 s16, s12
	s_cbranch_execz .LBB10_544
; %bb.382:                              ;   in Loop: Header=BB10_93 Depth=1
	v_dual_mov_b32 v5, 0 :: v_dual_mov_b32 v2, v119
	s_mov_b32 s29, 1
	s_mov_b32 s28, -1
.LBB10_383:                             ;   Parent Loop BB10_93 Depth=1
                                        ; =>  This Loop Header: Depth=2
                                        ;       Child Loop BB10_392 Depth 3
                                        ;       Child Loop BB10_419 Depth 3
	;; [unrolled: 1-line block ×9, first 2 shown]
	s_and_saveexec_b32 s13, s0
	s_cbranch_execz .LBB10_386
; %bb.384:                              ;   in Loop: Header=BB10_383 Depth=2
	s_cbranch_execnz .LBB10_1230
; %bb.385:                              ;   in Loop: Header=BB10_383 Depth=2
	ds_load_b64 v[3:4], v0
	v_ashrrev_i32_e32 v36, 31, v5
	s_waitcnt lgkmcnt(0)
	v_add_co_u32 v3, vcc_lo, v3, v50
	v_add_co_ci_u32_e32 v4, vcc_lo, v4, v51, vcc_lo
	s_delay_alu instid0(VALU_DEP_2) | instskip(NEXT) | instid1(VALU_DEP_2)
	v_add_co_u32 v3, vcc_lo, v3, v5
	v_add_co_ci_u32_e32 v4, vcc_lo, v4, v36, vcc_lo
	v_mov_b32_e32 v36, v37
	ds_store_b64 v0, v[3:4]
	ds_store_b64 v0, v[36:37]
.LBB10_386:                             ;   in Loop: Header=BB10_383 Depth=2
	s_or_b32 exec_lo, exec_lo, s13
	v_and_b32_e32 v3, 8, v30
	s_mov_b32 s14, -1
	s_mov_b32 s13, exec_lo
	s_delay_alu instid0(VALU_DEP_1)
	v_cmpx_ne_u32_e32 0, v3
	s_cbranch_execz .LBB10_400
; %bb.387:                              ;   in Loop: Header=BB10_383 Depth=2
	v_add_co_u32 v52, vcc_lo, v34, 8
	v_add_co_ci_u32_e32 v53, vcc_lo, 0, v35, vcc_lo
	v_add_co_u32 v3, vcc_lo, v14, 2
	v_add_co_ci_u32_e32 v4, vcc_lo, 0, v15, vcc_lo
	v_mov_b32_e32 v36, 1
	s_mov_b32 s14, exec_lo
	s_delay_alu instid0(VALU_DEP_2)
	v_cmpx_lt_u64_e64 v[52:53], v[3:4]
	s_cbranch_execz .LBB10_399
; %bb.388:                              ;   in Loop: Header=BB10_383 Depth=2
	v_mov_b32_e32 v36, 0
	s_mov_b32 vcc_hi, 0
                                        ; implicit-def: $sgpr30
	s_branch .LBB10_392
.LBB10_389:                             ;   in Loop: Header=BB10_392 Depth=3
	s_or_b32 exec_lo, exec_lo, s36
	v_mov_b32_e32 v52, 0
	s_or_not1_b32 s35, s35, exec_lo
.LBB10_390:                             ;   in Loop: Header=BB10_392 Depth=3
	s_or_b32 exec_lo, exec_lo, s34
	s_delay_alu instid0(VALU_DEP_1) | instskip(SKIP_2) | instid1(SALU_CYCLE_1)
	v_mov_b32_e32 v36, v52
	s_and_not1_b32 vcc_lo, s30, exec_lo
	s_and_b32 s30, s35, exec_lo
	s_or_b32 s30, vcc_lo, s30
.LBB10_391:                             ;   in Loop: Header=BB10_392 Depth=3
	s_or_b32 exec_lo, exec_lo, s31
	s_waitcnt vmcnt(0) lgkmcnt(0)
	v_add_co_u32 v52, vcc_lo, v34, 8
	v_add_co_ci_u32_e32 v53, vcc_lo, 0, v35, vcc_lo
	s_xor_b32 s31, s30, -1
	s_delay_alu instid0(VALU_DEP_1) | instskip(SKIP_1) | instid1(SALU_CYCLE_1)
	v_cmp_ge_u64_e32 vcc_lo, v[52:53], v[3:4]
	s_or_b32 vcc_lo, s31, vcc_lo
	s_and_b32 vcc_lo, exec_lo, vcc_lo
	s_delay_alu instid0(SALU_CYCLE_1) | instskip(NEXT) | instid1(SALU_CYCLE_1)
	s_or_b32 vcc_hi, vcc_lo, vcc_hi
	s_and_not1_b32 exec_lo, exec_lo, vcc_hi
	s_cbranch_execz .LBB10_398
.LBB10_392:                             ;   Parent Loop BB10_93 Depth=1
                                        ;     Parent Loop BB10_383 Depth=2
                                        ; =>    This Inner Loop Header: Depth=3
	s_sleep 1
	flat_load_b64 v[34:35], v[24:25] glc
	v_and_b32_e32 v52, 64, v30
	s_and_not1_b32 s30, s30, exec_lo
	s_mov_b32 s31, exec_lo
	s_delay_alu instid0(VALU_DEP_1)
	v_cmpx_eq_u32_e32 0, v52
	s_cbranch_execz .LBB10_391
; %bb.393:                              ;   in Loop: Header=BB10_392 Depth=3
	v_add_nc_u32_e32 v52, 1, v36
	s_mov_b32 s35, -1
	s_mov_b32 s34, exec_lo
	v_cmpx_lt_i32_e32 0x270e, v36
	s_cbranch_execz .LBB10_390
; %bb.394:                              ;   in Loop: Header=BB10_392 Depth=3
	s_cbranch_execnz .LBB10_1252
; %bb.395:                              ;   in Loop: Header=BB10_392 Depth=3
	ds_load_b64 v[52:53], v0
	s_mov_b32 s36, exec_lo
	s_waitcnt vmcnt(0) lgkmcnt(0)
	s_waitcnt_vscnt null, 0x0
	flat_load_b32 v36, v[52:53] glc
	s_waitcnt vmcnt(0) lgkmcnt(0)
	buffer_gl1_inv
	buffer_gl0_inv
	v_cmpx_ne_u32_e32 0, v36
	s_cbranch_execz .LBB10_389
; %bb.396:                              ;   in Loop: Header=BB10_392 Depth=3
	ds_store_b32 v0, v36
	s_cbranch_execnz .LBB10_1305
; %bb.397:                              ;   in Loop: Header=BB10_392 Depth=3
	v_or_b32_e32 v30, 64, v30
	s_xor_b32 s35, exec_lo, -1
	s_branch .LBB10_389
.LBB10_398:                             ;   in Loop: Header=BB10_383 Depth=2
	s_or_b32 exec_lo, exec_lo, vcc_hi
	v_and_b32_e32 v36, 8, v30
.LBB10_399:                             ;   in Loop: Header=BB10_383 Depth=2
	s_or_b32 exec_lo, exec_lo, s14
	s_delay_alu instid0(VALU_DEP_1)
	v_cmp_eq_u32_e32 vcc_lo, 0, v36
	;;#ASMSTART
	s_wakeup
	;;#ASMEND
	s_or_not1_b32 s14, vcc_lo, exec_lo
.LBB10_400:                             ;   in Loop: Header=BB10_383 Depth=2
	s_or_b32 exec_lo, exec_lo, s13
	v_sub_nc_u32_e32 v3, v118, v5
	s_xor_b32 s13, s14, -1
	s_delay_alu instid0(VALU_DEP_1)
	v_min_i32_e32 v2, v2, v3
	s_and_saveexec_b32 s14, s13
	s_cbranch_execz .LBB10_410
; %bb.401:                              ;   in Loop: Header=BB10_383 Depth=2
	v_and_b32_e32 v3, 0x100, v30
	v_and_b32_e32 v36, 7, v14
	s_mov_b32 s13, -1
	s_delay_alu instid0(VALU_DEP_2)
	v_cmp_ne_u32_e32 vcc_lo, 0, v3
                                        ; implicit-def: $vgpr3_vgpr4
	s_and_saveexec_b32 vcc_hi, vcc_lo
	s_cbranch_execz .LBB10_405
; %bb.402:                              ;   in Loop: Header=BB10_383 Depth=2
	v_mad_u64_u32 v[52:53], null, v36, 24, v[12:13]
	v_ashrrev_i32_e32 v3, 31, v2
	flat_load_b32 v4, v[52:53]
	flat_store_b64 v[52:53], v[2:3] offset:8
	s_waitcnt vmcnt(0) lgkmcnt(1)
	v_cmp_ne_u32_e32 vcc_lo, 1, v4
	v_cmp_eq_u32_e64 s13, 1, v4
                                        ; implicit-def: $vgpr3_vgpr4
	s_delay_alu instid0(VALU_DEP_1)
	s_and_saveexec_b32 s30, s13
	s_cbranch_execz .LBB10_404
; %bb.403:                              ;   in Loop: Header=BB10_383 Depth=2
	flat_load_b32 v3, v[52:53] offset:4 glc
	s_waitcnt vmcnt(0) lgkmcnt(0)
	v_ashrrev_i32_e32 v4, 31, v3
.LBB10_404:                             ;   in Loop: Header=BB10_383 Depth=2
	s_or_b32 exec_lo, exec_lo, s30
	s_delay_alu instid0(SALU_CYCLE_1)
	s_or_not1_b32 s13, vcc_lo, exec_lo
.LBB10_405:                             ;   in Loop: Header=BB10_383 Depth=2
	s_or_b32 exec_lo, exec_lo, vcc_hi
	s_and_saveexec_b32 vcc_lo, s13
; %bb.406:                              ;   in Loop: Header=BB10_383 Depth=2
	v_mad_i64_i32 v[3:4], null, v36, v68, 0
; %bb.407:                              ;   in Loop: Header=BB10_383 Depth=2
	s_or_b32 exec_lo, exec_lo, vcc_lo
	s_delay_alu instid0(VALU_DEP_1) | instskip(SKIP_1) | instid1(VALU_DEP_3)
	v_add_co_u32 v3, vcc_lo, v26, v3
	v_and_b32_e32 v36, 0x2000, v30
	v_add_co_ci_u32_e32 v4, vcc_lo, v27, v4, vcc_lo
	s_mov_b32 s13, exec_lo
	ds_store_b64 v0, v[3:4] offset:784
	v_cmpx_ne_u32_e32 0, v36
	s_cbranch_execz .LBB10_409
; %bb.408:                              ;   in Loop: Header=BB10_383 Depth=2
	ds_load_b64 v[3:4], v0 offset:584
	s_waitcnt lgkmcnt(0)
	v_add_co_u32 v3, vcc_lo, v3, 1
	v_add_co_ci_u32_e32 v4, vcc_lo, 0, v4, vcc_lo
	ds_store_b64 v0, v[3:4] offset:584
.LBB10_409:                             ;   in Loop: Header=BB10_383 Depth=2
	s_or_b32 exec_lo, exec_lo, s13
	v_add_co_u32 v14, vcc_lo, v14, 2
	v_add_co_ci_u32_e32 v15, vcc_lo, 0, v15, vcc_lo
.LBB10_410:                             ;   in Loop: Header=BB10_383 Depth=2
	s_or_b32 exec_lo, exec_lo, s14
	s_and_saveexec_b32 s13, s2
	s_cbranch_execz .LBB10_432
; %bb.411:                              ;   in Loop: Header=BB10_383 Depth=2
	s_and_saveexec_b32 s14, s3
	s_delay_alu instid0(SALU_CYCLE_1)
	s_xor_b32 s14, exec_lo, s14
	s_cbranch_execz .LBB10_429
; %bb.412:                              ;   in Loop: Header=BB10_383 Depth=2
	s_and_saveexec_b32 vcc_hi, s1
	s_cbranch_execz .LBB10_428
; %bb.413:                              ;   in Loop: Header=BB10_383 Depth=2
	s_mov_b32 s31, exec_lo
	s_mov_b32 s30, exec_lo
	v_mbcnt_lo_u32_b32 v3, s31, 0
	s_waitcnt lgkmcnt(0)
	s_waitcnt_vscnt null, 0x0
	buffer_gl1_inv
	buffer_gl0_inv
	v_cmpx_eq_u32_e32 0, v3
	s_cbranch_execz .LBB10_415
; %bb.414:                              ;   in Loop: Header=BB10_383 Depth=2
	s_bcnt1_i32_b32 vcc_lo, s31
	s_delay_alu instid0(SALU_CYCLE_1)
	v_mov_b32_e32 v36, vcc_lo
	ds_add_u64 v0, v[36:37]
	s_cbranch_execnz .LBB10_1333
.LBB10_415:                             ;   in Loop: Header=BB10_383 Depth=2
	s_or_b32 exec_lo, exec_lo, s30
	s_cbranch_execnz .LBB10_1311
; %bb.416:                              ;   in Loop: Header=BB10_383 Depth=2
	ds_load_b64 v[3:4], v0
	v_add_co_u32 v28, vcc_lo, v28, v82
	v_add_co_ci_u32_e32 v29, vcc_lo, 0, v29, vcc_lo
	s_mov_b32 s30, exec_lo
	s_waitcnt lgkmcnt(0)
	s_delay_alu instid0(VALU_DEP_1)
	v_cmpx_lt_u64_e64 v[3:4], v[28:29]
	s_cbranch_execz .LBB10_427
; %bb.417:                              ;   in Loop: Header=BB10_383 Depth=2
	s_mov_b32 s31, 0
	s_mov_b32 s36, 0
                                        ; implicit-def: $sgpr34
                                        ; implicit-def: $sgpr35
	s_branch .LBB10_419
.LBB10_418:                             ;   in Loop: Header=BB10_419 Depth=3
	s_or_b32 exec_lo, exec_lo, s38
	s_delay_alu instid0(SALU_CYCLE_1) | instskip(NEXT) | instid1(SALU_CYCLE_1)
	s_and_b32 vcc_lo, exec_lo, vcc_lo
	s_or_b32 s31, vcc_lo, s31
	s_and_not1_b32 vcc_lo, s34, exec_lo
	s_and_b32 s34, s35, exec_lo
	s_delay_alu instid0(SALU_CYCLE_1)
	s_or_b32 s34, vcc_lo, s34
	s_and_not1_b32 exec_lo, exec_lo, s31
	s_cbranch_execz .LBB10_425
.LBB10_419:                             ;   Parent Loop BB10_93 Depth=1
                                        ;     Parent Loop BB10_383 Depth=2
                                        ; =>    This Inner Loop Header: Depth=3
	s_add_i32 s36, s36, 1
                                        ; implicit-def: $sgpr38
	s_delay_alu instid0(SALU_CYCLE_1) | instskip(SKIP_1) | instid1(SALU_CYCLE_1)
	s_cmpk_lg_i32 s36, 0x2710
	s_cselect_b32 s37, -1, 0
	s_and_b32 vcc_lo, exec_lo, s37
	s_cbranch_vccz .LBB10_423
.LBB10_420:                             ;   in Loop: Header=BB10_419 Depth=3
	s_and_not1_b32 s35, s35, exec_lo
	s_and_b32 s38, s38, exec_lo
	s_mov_b32 vcc_lo, -1
	s_or_b32 s35, s35, s38
	s_and_saveexec_b32 s38, s37
	s_cbranch_execz .LBB10_418
; %bb.421:                              ;   in Loop: Header=BB10_419 Depth=3
	s_sleep 1
	s_cbranch_execnz .LBB10_1383
; %bb.422:                              ;   in Loop: Header=BB10_419 Depth=3
	ds_load_b64 v[3:4], v0
	s_and_not1_b32 s35, s35, exec_lo
	s_waitcnt lgkmcnt(0)
	v_cmp_ge_u64_e32 vcc_lo, v[3:4], v[28:29]
	s_or_not1_b32 vcc_lo, vcc_lo, exec_lo
	s_branch .LBB10_418
.LBB10_423:                             ;   in Loop: Header=BB10_419 Depth=3
	s_cbranch_execnz .LBB10_1393
; %bb.424:                              ;   in Loop: Header=BB10_419 Depth=3
	ds_load_b64 v[3:4], v0
	s_and_not1_b32 s37, s37, exec_lo
	s_mov_b32 s36, 0
	s_mov_b32 s38, -1
	s_waitcnt lgkmcnt(0)
	flat_load_b32 v3, v[3:4] glc
	s_waitcnt vmcnt(0) lgkmcnt(0)
	buffer_gl1_inv
	buffer_gl0_inv
	v_cmp_eq_u32_e32 vcc_lo, 0, v3
	s_and_b32 vcc_lo, vcc_lo, exec_lo
	s_delay_alu instid0(SALU_CYCLE_1)
	s_or_b32 s37, s37, vcc_lo
	s_branch .LBB10_420
.LBB10_425:                             ;   in Loop: Header=BB10_383 Depth=2
	s_or_b32 exec_lo, exec_lo, s31
	s_and_saveexec_b32 vcc_lo, s34
	s_delay_alu instid0(SALU_CYCLE_1)
	s_xor_b32 vcc_lo, exec_lo, vcc_lo
	s_cbranch_execz .LBB10_427
; %bb.426:                              ;   in Loop: Header=BB10_383 Depth=2
	ds_store_b32 v0, v117
	s_cbranch_execnz .LBB10_1572
.LBB10_427:                             ;   in Loop: Header=BB10_383 Depth=2
	s_or_b32 exec_lo, exec_lo, s30
	;;#ASMSTART
	s_wakeup
	;;#ASMEND
.LBB10_428:                             ;   in Loop: Header=BB10_383 Depth=2
	s_or_b32 exec_lo, exec_lo, vcc_hi
.LBB10_429:                             ;   in Loop: Header=BB10_383 Depth=2
	s_and_not1_saveexec_b32 s14, s14
	s_cbranch_execz .LBB10_431
; %bb.430:                              ;   in Loop: Header=BB10_383 Depth=2
	s_waitcnt lgkmcnt(0)
	s_waitcnt_vscnt null, 0x0
	buffer_gl1_inv
	buffer_gl0_inv
	s_barrier
.LBB10_431:                             ;   in Loop: Header=BB10_383 Depth=2
	s_or_b32 exec_lo, exec_lo, s14
.LBB10_432:                             ;   in Loop: Header=BB10_383 Depth=2
	s_delay_alu instid0(SALU_CYCLE_1)
	s_or_b32 exec_lo, exec_lo, s13
	s_cbranch_execnz .LBB10_1228
; %bb.433:                              ;   in Loop: Header=BB10_383 Depth=2
	ds_load_b32 v3, v0
	v_and_b32_e32 v4, 0x4000, v30
	s_delay_alu instid0(VALU_DEP_1) | instskip(SKIP_1) | instid1(SALU_CYCLE_1)
	v_cmp_ne_u32_e32 vcc_lo, 0, v4
	s_and_b32 s14, s27, vcc_lo
	s_and_saveexec_b32 s13, s14
	s_cbranch_execz .LBB10_455
; %bb.434:                              ;   in Loop: Header=BB10_383 Depth=2
	s_and_saveexec_b32 s14, s3
	s_delay_alu instid0(SALU_CYCLE_1)
	s_xor_b32 s14, exec_lo, s14
	s_cbranch_execz .LBB10_452
; %bb.435:                              ;   in Loop: Header=BB10_383 Depth=2
	s_and_saveexec_b32 vcc_hi, s1
	s_cbranch_execz .LBB10_451
; %bb.436:                              ;   in Loop: Header=BB10_383 Depth=2
	s_mov_b32 s31, exec_lo
	s_mov_b32 s30, exec_lo
	v_mbcnt_lo_u32_b32 v4, s31, 0
	s_waitcnt lgkmcnt(0)
	s_waitcnt_vscnt null, 0x0
	buffer_gl1_inv
	buffer_gl0_inv
	v_cmpx_eq_u32_e32 0, v4
	s_cbranch_execz .LBB10_438
; %bb.437:                              ;   in Loop: Header=BB10_383 Depth=2
	s_bcnt1_i32_b32 vcc_lo, s31
	s_delay_alu instid0(SALU_CYCLE_1)
	v_mov_b32_e32 v36, vcc_lo
	ds_add_u64 v0, v[36:37]
	s_cbranch_execnz .LBB10_1377
.LBB10_438:                             ;   in Loop: Header=BB10_383 Depth=2
	s_or_b32 exec_lo, exec_lo, s30
	s_cbranch_execnz .LBB10_1355
; %bb.439:                              ;   in Loop: Header=BB10_383 Depth=2
	ds_load_b64 v[52:53], v0
	v_add_co_u32 v28, vcc_lo, v28, v82
	v_add_co_ci_u32_e32 v29, vcc_lo, 0, v29, vcc_lo
	s_mov_b32 s30, exec_lo
	s_waitcnt lgkmcnt(0)
	s_delay_alu instid0(VALU_DEP_1)
	v_cmpx_lt_u64_e64 v[52:53], v[28:29]
	s_cbranch_execz .LBB10_450
; %bb.440:                              ;   in Loop: Header=BB10_383 Depth=2
	s_mov_b32 s31, 0
	s_mov_b32 s36, 0
                                        ; implicit-def: $sgpr34
                                        ; implicit-def: $sgpr35
	s_branch .LBB10_442
.LBB10_441:                             ;   in Loop: Header=BB10_442 Depth=3
	s_or_b32 exec_lo, exec_lo, s38
	s_delay_alu instid0(SALU_CYCLE_1) | instskip(NEXT) | instid1(SALU_CYCLE_1)
	s_and_b32 vcc_lo, exec_lo, vcc_lo
	s_or_b32 s31, vcc_lo, s31
	s_and_not1_b32 vcc_lo, s34, exec_lo
	s_and_b32 s34, s35, exec_lo
	s_delay_alu instid0(SALU_CYCLE_1)
	s_or_b32 s34, vcc_lo, s34
	s_and_not1_b32 exec_lo, exec_lo, s31
	s_cbranch_execz .LBB10_448
.LBB10_442:                             ;   Parent Loop BB10_93 Depth=1
                                        ;     Parent Loop BB10_383 Depth=2
                                        ; =>    This Inner Loop Header: Depth=3
	s_add_i32 s36, s36, 1
                                        ; implicit-def: $sgpr38
	s_delay_alu instid0(SALU_CYCLE_1) | instskip(SKIP_1) | instid1(SALU_CYCLE_1)
	s_cmpk_lg_i32 s36, 0x2710
	s_cselect_b32 s37, -1, 0
	s_and_b32 vcc_lo, exec_lo, s37
	s_cbranch_vccz .LBB10_446
.LBB10_443:                             ;   in Loop: Header=BB10_442 Depth=3
	s_and_not1_b32 s35, s35, exec_lo
	s_and_b32 s38, s38, exec_lo
	s_mov_b32 vcc_lo, -1
	s_or_b32 s35, s35, s38
	s_and_saveexec_b32 s38, s37
	s_cbranch_execz .LBB10_441
; %bb.444:                              ;   in Loop: Header=BB10_442 Depth=3
	s_sleep 1
	s_cbranch_execnz .LBB10_1443
; %bb.445:                              ;   in Loop: Header=BB10_442 Depth=3
	ds_load_b64 v[52:53], v0
	s_and_not1_b32 s35, s35, exec_lo
	s_waitcnt lgkmcnt(0)
	v_cmp_ge_u64_e32 vcc_lo, v[52:53], v[28:29]
	s_or_not1_b32 vcc_lo, vcc_lo, exec_lo
	s_branch .LBB10_441
.LBB10_446:                             ;   in Loop: Header=BB10_442 Depth=3
	s_cbranch_execnz .LBB10_1472
; %bb.447:                              ;   in Loop: Header=BB10_442 Depth=3
	ds_load_b64 v[52:53], v0
	s_and_not1_b32 s37, s37, exec_lo
	s_mov_b32 s36, 0
	s_mov_b32 s38, -1
	s_waitcnt lgkmcnt(0)
	flat_load_b32 v4, v[52:53] glc
	s_waitcnt vmcnt(0) lgkmcnt(0)
	buffer_gl1_inv
	buffer_gl0_inv
	v_cmp_eq_u32_e32 vcc_lo, 0, v4
	s_and_b32 vcc_lo, vcc_lo, exec_lo
	s_delay_alu instid0(SALU_CYCLE_1)
	s_or_b32 s37, s37, vcc_lo
	s_branch .LBB10_443
.LBB10_448:                             ;   in Loop: Header=BB10_383 Depth=2
	s_or_b32 exec_lo, exec_lo, s31
	s_and_saveexec_b32 vcc_lo, s34
	s_delay_alu instid0(SALU_CYCLE_1)
	s_xor_b32 vcc_lo, exec_lo, vcc_lo
	s_cbranch_execz .LBB10_450
; %bb.449:                              ;   in Loop: Header=BB10_383 Depth=2
	ds_store_b32 v0, v117
	s_cbranch_execnz .LBB10_1590
.LBB10_450:                             ;   in Loop: Header=BB10_383 Depth=2
	s_or_b32 exec_lo, exec_lo, s30
	;;#ASMSTART
	s_wakeup
	;;#ASMEND
.LBB10_451:                             ;   in Loop: Header=BB10_383 Depth=2
	s_or_b32 exec_lo, exec_lo, vcc_hi
.LBB10_452:                             ;   in Loop: Header=BB10_383 Depth=2
	s_and_not1_saveexec_b32 s14, s14
	s_cbranch_execz .LBB10_454
; %bb.453:                              ;   in Loop: Header=BB10_383 Depth=2
	s_waitcnt lgkmcnt(0)
	s_waitcnt_vscnt null, 0x0
	buffer_gl1_inv
	buffer_gl0_inv
	s_barrier
.LBB10_454:                             ;   in Loop: Header=BB10_383 Depth=2
	s_or_b32 exec_lo, exec_lo, s14
.LBB10_455:                             ;   in Loop: Header=BB10_383 Depth=2
	s_delay_alu instid0(SALU_CYCLE_1)
	s_or_b32 exec_lo, exec_lo, s13
	s_cbranch_execnz .LBB10_1256
; %bb.456:                              ;   in Loop: Header=BB10_383 Depth=2
	ds_load_b64 v[52:53], v0
	v_mov_b32_e32 v54, 0
	s_waitcnt lgkmcnt(0)
	v_cmp_eq_u64_e32 vcc_lo, 0, v[52:53]
	s_or_b32 s13, vcc_lo, vcc_lo
	s_delay_alu instid0(SALU_CYCLE_1)
	s_and_b32 vcc_lo, exec_lo, s13
	s_cbranch_vccnz .LBB10_490
; %bb.457:                              ;   in Loop: Header=BB10_383 Depth=2
	s_mov_b32 s13, -1
	s_and_saveexec_b32 s14, s4
	s_cbranch_execz .LBB10_459
; %bb.458:                              ;   in Loop: Header=BB10_383 Depth=2
	ds_load_b32 v4, v0 offset:720
	s_waitcnt lgkmcnt(0)
	v_and_b32_e32 v4, 15, v4
	s_delay_alu instid0(VALU_DEP_1)
	v_cmp_eq_u32_e32 vcc_lo, 0, v4
	s_or_not1_b32 s13, vcc_lo, exec_lo
.LBB10_459:                             ;   in Loop: Header=BB10_383 Depth=2
	s_or_b32 exec_lo, exec_lo, s14
	s_and_saveexec_b32 s14, s11
	s_cbranch_execz .LBB10_461
; %bb.460:                              ;   in Loop: Header=BB10_383 Depth=2
	ds_load_b32 v4, v0 offset:784
	s_waitcnt lgkmcnt(0)
	v_and_b32_e32 v4, 15, v4
	s_delay_alu instid0(VALU_DEP_1) | instskip(SKIP_3) | instid1(SALU_CYCLE_1)
	v_cmp_eq_u32_e32 vcc_lo, 0, v4
	s_and_b32 vcc_lo, s13, vcc_lo
	s_and_not1_b32 s13, s13, exec_lo
	s_and_b32 vcc_lo, vcc_lo, exec_lo
	s_or_b32 s13, s13, vcc_lo
.LBB10_461:                             ;   in Loop: Header=BB10_383 Depth=2
	s_or_b32 exec_lo, exec_lo, s14
	v_cmp_eq_u32_e32 vcc_lo, 0, v3
	s_xor_b32 s13, s13, -1
	v_mov_b32_e32 v64, v0
	v_cndmask_b32_e64 v4, 0, 1, s13
	;;#ASMSTART
	;;#ASMEND
	v_dual_cndmask_b32 v54, 0, v2 :: v_dual_mov_b32 v129, v71
	s_delay_alu instid0(VALU_DEP_2) | instskip(SKIP_2) | instid1(VALU_DEP_3)
	v_cmp_ne_u32_e32 vcc_lo, 0, v4
	v_mov_b32_e32 v36, 0
	s_mov_b32 s13, -1
	v_mov_b32_e32 v55, v54
	s_cbranch_vccnz .LBB10_477
; %bb.462:                              ;   in Loop: Header=BB10_383 Depth=2
	v_ashrrev_i32_e32 v3, 31, v54
	s_mov_b32 s14, exec_lo
	s_delay_alu instid0(VALU_DEP_1) | instskip(NEXT) | instid1(VALU_DEP_1)
	v_lshrrev_b32_e32 v3, 21, v3
	v_add_nc_u32_e32 v3, v54, v3
	s_delay_alu instid0(VALU_DEP_1) | instskip(NEXT) | instid1(VALU_DEP_1)
	v_ashrrev_i32_e32 v36, 11, v3
	v_sub_nc_u32_e32 v65, v36, v71
	s_delay_alu instid0(VALU_DEP_1)
	v_cmpx_lt_i32_e32 0, v65
	s_cbranch_execz .LBB10_467
; %bb.463:                              ;   in Loop: Header=BB10_383 Depth=2
	s_cbranch_execnz .LBB10_1397
; %bb.464:                              ;   in Loop: Header=BB10_383 Depth=2
	ds_load_b64 v[3:4], v0
	s_mov_b32 vcc_hi, 0
	s_waitcnt lgkmcnt(0)
	v_dual_mov_b32 v53, v4 :: v_dual_mov_b32 v52, v3
	s_set_inst_prefetch_distance 0x1
.LBB10_465:                             ;   Parent Loop BB10_93 Depth=1
                                        ;     Parent Loop BB10_383 Depth=2
                                        ; =>    This Inner Loop Header: Depth=3
	s_delay_alu instid0(VALU_DEP_1) | instskip(NEXT) | instid1(VALU_DEP_2)
	v_add_co_u32 v148, vcc_lo, v103, v52
	v_add_co_ci_u32_e32 v149, vcc_lo, v114, v53, vcc_lo
	v_add_co_u32 v160, vcc_lo, v103, v3
	v_sub_nc_u32_e32 v65, v65, v82
	s_clause 0x3
	global_load_b128 v[128:131], v[148:149], off slc dlc
	global_load_b128 v[132:135], v[148:149], off offset:512 slc dlc
	global_load_b128 v[144:147], v[148:149], off offset:1024 slc dlc
	;; [unrolled: 1-line block ×3, first 2 shown]
	v_add_co_ci_u32_e32 v161, vcc_lo, v114, v4, vcc_lo
	v_add_co_u32 v52, vcc_lo, v52, v115
	v_add_co_ci_u32_e32 v53, vcc_lo, v53, v116, vcc_lo
	v_add_co_u32 v3, vcc_lo, v3, v115
	v_cmp_gt_i32_e64 s13, 1, v65
	v_add_co_ci_u32_e32 v4, vcc_lo, v4, v116, vcc_lo
	s_waitcnt vmcnt(3)
	global_store_b128 v[160:161], v[128:131], off glc slc dlc
	s_waitcnt vmcnt(2)
	global_store_b128 v[160:161], v[132:135], off offset:512 glc slc dlc
	s_waitcnt vmcnt(1)
	global_store_b128 v[160:161], v[144:147], off offset:1024 glc slc dlc
	;; [unrolled: 2-line block ×3, first 2 shown]
	s_or_b32 vcc_hi, s13, vcc_hi
	s_delay_alu instid0(SALU_CYCLE_1)
	s_and_not1_b32 exec_lo, exec_lo, vcc_hi
	s_cbranch_execnz .LBB10_465
; %bb.466:                              ;   in Loop: Header=BB10_383 Depth=2
	s_set_inst_prefetch_distance 0x2
	s_or_b32 exec_lo, exec_lo, vcc_hi
.LBB10_467:                             ;   in Loop: Header=BB10_383 Depth=2
	s_delay_alu instid0(SALU_CYCLE_1) | instskip(SKIP_4) | instid1(VALU_DEP_2)
	s_or_b32 exec_lo, exec_lo, s14
	v_lshlrev_b32_e32 v52, 11, v36
	v_mov_b32_e32 v36, 0
	s_mov_b32 s13, 0
	s_mov_b32 vcc_hi, exec_lo
                                        ; implicit-def: $vgpr55
                                        ; implicit-def: $vgpr64
                                        ; implicit-def: $vgpr129
	v_cmpx_ne_u32_e64 v54, v52
	s_cbranch_execz .LBB10_476
; %bb.468:                              ;   in Loop: Header=BB10_383 Depth=2
	v_lshlrev_b32_e32 v3, 5, v65
	v_sub_nc_u32_e32 v36, v54, v52
	s_mov_b32 s30, exec_lo
	s_delay_alu instid0(VALU_DEP_2) | instskip(NEXT) | instid1(VALU_DEP_2)
	v_sub_nc_u32_e32 v3, v81, v3
	v_ashrrev_i32_e32 v53, 31, v36
	s_delay_alu instid0(VALU_DEP_2) | instskip(NEXT) | instid1(VALU_DEP_2)
	v_ashrrev_i32_e32 v4, 31, v3
	v_lshrrev_b32_e32 v53, 23, v53
	s_delay_alu instid0(VALU_DEP_2) | instskip(NEXT) | instid1(VALU_DEP_2)
	v_lshrrev_b32_e32 v4, 27, v4
	v_add_nc_u32_e32 v64, v36, v53
	s_delay_alu instid0(VALU_DEP_2) | instskip(NEXT) | instid1(VALU_DEP_2)
	v_add_nc_u32_e32 v4, v3, v4
	v_and_b32_e32 v53, 0xfffffe00, v64
	v_ashrrev_i32_e32 v64, 9, v64
	s_delay_alu instid0(VALU_DEP_3) | instskip(NEXT) | instid1(VALU_DEP_3)
	v_and_b32_e32 v55, 0xffffffe0, v4
	v_sub_nc_u32_e32 v128, v36, v53
	s_delay_alu instid0(VALU_DEP_2) | instskip(SKIP_1) | instid1(VALU_DEP_3)
	v_sub_nc_u32_e32 v65, v3, v55
	v_ashrrev_i32_e32 v3, 5, v4
	v_cmp_lt_i32_e32 vcc_lo, 15, v128
	s_delay_alu instid0(VALU_DEP_3) | instskip(NEXT) | instid1(VALU_DEP_1)
	v_lshlrev_b32_e32 v4, 4, v65
	v_lshl_add_u32 v55, v3, 9, v4
	v_add_co_ci_u32_e64 v4, s13, 0, v64, vcc_lo
	s_delay_alu instid0(VALU_DEP_2) | instskip(NEXT) | instid1(VALU_DEP_2)
	v_sub_nc_u32_e32 v36, v36, v55
	v_sub_nc_u32_e32 v130, v4, v3
	s_delay_alu instid0(VALU_DEP_2)
	v_cmpx_lt_i32_e32 15, v36
	s_cbranch_execz .LBB10_473
; %bb.469:                              ;   in Loop: Header=BB10_383 Depth=2
	s_cbranch_execnz .LBB10_1478
; %bb.470:                              ;   in Loop: Header=BB10_383 Depth=2
	ds_load_b64 v[3:4], v0
	v_add_nc_u32_e32 v55, v55, v52
	s_mov_b32 s31, 0
	s_delay_alu instid0(VALU_DEP_1)
	v_ashrrev_i32_e32 v64, 31, v55
.LBB10_471:                             ;   Parent Loop BB10_93 Depth=1
                                        ;     Parent Loop BB10_383 Depth=2
                                        ; =>    This Inner Loop Header: Depth=3
	s_waitcnt lgkmcnt(0)
	v_add_co_u32 v144, s13, v3, v55
	s_delay_alu instid0(VALU_DEP_1)
	v_add_co_ci_u32_e64 v145, s13, v4, v64, s13
	v_sub_nc_u32_e32 v36, v36, v84
	v_add_co_u32 v55, s14, v55, v100
	global_load_b128 v[131:134], v[144:145], off slc dlc
	v_sub_nc_u32_e32 v130, v130, v82
	v_cmp_gt_i32_e64 s13, 16, v36
	v_add_co_ci_u32_e64 v64, s14, v64, v101, s14
	s_delay_alu instid0(VALU_DEP_2)
	s_or_b32 s31, s13, s31
	s_waitcnt vmcnt(0)
	global_store_b128 v[144:145], v[131:134], off glc slc dlc
	s_and_not1_b32 exec_lo, exec_lo, s31
	s_cbranch_execnz .LBB10_471
; %bb.472:                              ;   in Loop: Header=BB10_383 Depth=2
	s_or_b32 exec_lo, exec_lo, s31
.LBB10_473:                             ;   in Loop: Header=BB10_383 Depth=2
	s_delay_alu instid0(SALU_CYCLE_1) | instskip(SKIP_3) | instid1(VALU_DEP_1)
	s_or_b32 exec_lo, exec_lo, s30
	v_dual_mov_b32 v36, 0 :: v_dual_and_b32 v3, 15, v54
	s_mov_b32 s14, 0
	s_mov_b32 s30, exec_lo
                                        ; implicit-def: $vgpr64
                                        ; implicit-def: $vgpr129
	v_cndmask_b32_e32 v55, v128, v3, vcc_lo
	s_delay_alu instid0(VALU_DEP_1)
	v_cmpx_ne_u32_e32 0, v55
; %bb.474:                              ;   in Loop: Header=BB10_383 Depth=2
	v_cmp_lt_i32_e64 s13, 0, v130
	v_sub_nc_u32_e32 v3, v128, v3
	s_mov_b32 s14, exec_lo
	s_delay_alu instid0(VALU_DEP_2) | instskip(NEXT) | instid1(VALU_DEP_1)
	v_cndmask_b32_e64 v4, 0, v82, s13
	v_sub_nc_u32_e32 v4, v4, v130
	s_delay_alu instid0(VALU_DEP_1) | instskip(NEXT) | instid1(VALU_DEP_1)
	v_lshl_add_u32 v64, v4, 5, v65
	v_ashrrev_i32_e32 v4, 31, v64
	s_delay_alu instid0(VALU_DEP_1) | instskip(NEXT) | instid1(VALU_DEP_1)
	v_lshrrev_b32_e32 v4, 27, v4
	v_dual_cndmask_b32 v3, 0, v3 :: v_dual_add_nc_u32 v4, v64, v4
	s_delay_alu instid0(VALU_DEP_1) | instskip(NEXT) | instid1(VALU_DEP_2)
	v_add3_u32 v36, v53, v52, v3
	v_ashrrev_i32_e32 v129, 5, v4
; %bb.475:                              ;   in Loop: Header=BB10_383 Depth=2
	s_or_b32 exec_lo, exec_lo, s30
	s_delay_alu instid0(SALU_CYCLE_1)
	s_and_b32 s13, s14, exec_lo
.LBB10_476:                             ;   in Loop: Header=BB10_383 Depth=2
	s_or_b32 exec_lo, exec_lo, vcc_hi
.LBB10_477:                             ;   in Loop: Header=BB10_383 Depth=2
	s_and_saveexec_b32 s14, s13
	s_cbranch_execz .LBB10_489
; %bb.478:                              ;   in Loop: Header=BB10_383 Depth=2
	s_delay_alu instid0(VALU_DEP_1) | instskip(SKIP_1) | instid1(VALU_DEP_1)
	v_ashrrev_i32_e32 v3, 31, v55
	s_mov_b32 s13, exec_lo
	v_lshrrev_b32_e32 v3, 23, v3
	s_delay_alu instid0(VALU_DEP_1) | instskip(NEXT) | instid1(VALU_DEP_1)
	v_add_nc_u32_e32 v3, v55, v3
	v_ashrrev_i32_e32 v128, 9, v3
	s_delay_alu instid0(VALU_DEP_1) | instskip(NEXT) | instid1(VALU_DEP_1)
	v_sub_nc_u32_e32 v65, v128, v129
	v_cmpx_lt_i32_e32 0, v65
	s_cbranch_execz .LBB10_483
; %bb.479:                              ;   in Loop: Header=BB10_383 Depth=2
	s_cbranch_execnz .LBB10_1389
; %bb.480:                              ;   in Loop: Header=BB10_383 Depth=2
	v_ashrrev_i32_e32 v3, 31, v64
	s_mov_b32 vcc_hi, 0
	s_delay_alu instid0(VALU_DEP_1) | instskip(NEXT) | instid1(VALU_DEP_1)
	v_lshrrev_b32_e32 v3, 27, v3
	v_add_nc_u32_e32 v52, v64, v3
	ds_load_b64 v[3:4], v0
	v_lshlrev_b32_e32 v53, 9, v129
	v_and_b32_e32 v52, 0xffffffe0, v52
	s_delay_alu instid0(VALU_DEP_1) | instskip(NEXT) | instid1(VALU_DEP_1)
	v_sub_nc_u32_e32 v52, v64, v52
	v_add3_u32 v129, v36, v52, v53
	s_delay_alu instid0(VALU_DEP_1)
	v_ashrrev_i32_e32 v130, 31, v129
	s_waitcnt lgkmcnt(0)
	v_dual_mov_b32 v53, v4 :: v_dual_mov_b32 v52, v3
.LBB10_481:                             ;   Parent Loop BB10_93 Depth=1
                                        ;     Parent Loop BB10_383 Depth=2
                                        ; =>    This Inner Loop Header: Depth=3
	s_delay_alu instid0(VALU_DEP_1) | instskip(NEXT) | instid1(VALU_DEP_2)
	v_add_co_u32 v131, vcc_lo, v129, v52
	v_add_co_ci_u32_e32 v132, vcc_lo, v130, v53, vcc_lo
	v_sub_nc_u32_e32 v65, v65, v82
	s_clause 0xf
	flat_load_u8 v133, v[131:132] slc dlc
	flat_load_u8 v134, v[131:132] offset:32 slc dlc
	flat_load_u8 v135, v[131:132] offset:64 slc dlc
	;; [unrolled: 1-line block ×15, first 2 shown]
	v_add_co_u32 v131, vcc_lo, v129, v3
	v_add_co_ci_u32_e32 v132, vcc_lo, v130, v4, vcc_lo
	v_add_co_u32 v52, vcc_lo, v52, v100
	v_add_co_ci_u32_e32 v53, vcc_lo, v53, v101, vcc_lo
	;; [unrolled: 2-line block ×3, first 2 shown]
	v_cmp_gt_i32_e32 vcc_lo, 1, v65
	s_waitcnt vmcnt(15) lgkmcnt(15)
	flat_store_b8 v[131:132], v133 glc slc dlc
	s_waitcnt vmcnt(14) lgkmcnt(15)
	flat_store_b8 v[131:132], v134 offset:32 glc slc dlc
	s_waitcnt vmcnt(13) lgkmcnt(15)
	flat_store_b8 v[131:132], v135 offset:64 glc slc dlc
	;; [unrolled: 2-line block ×15, first 2 shown]
	s_or_b32 vcc_hi, vcc_lo, vcc_hi
	s_delay_alu instid0(SALU_CYCLE_1)
	s_and_not1_b32 exec_lo, exec_lo, vcc_hi
	s_cbranch_execnz .LBB10_481
; %bb.482:                              ;   in Loop: Header=BB10_383 Depth=2
	s_or_b32 exec_lo, exec_lo, vcc_hi
.LBB10_483:                             ;   in Loop: Header=BB10_383 Depth=2
	s_delay_alu instid0(SALU_CYCLE_1) | instskip(SKIP_2) | instid1(VALU_DEP_1)
	s_or_b32 exec_lo, exec_lo, s13
	v_lshlrev_b32_e32 v3, 9, v128
	s_mov_b32 vcc_hi, exec_lo
	v_cmpx_ne_u32_e64 v55, v3
	s_cbranch_execz .LBB10_488
; %bb.484:                              ;   in Loop: Header=BB10_383 Depth=2
	v_ashrrev_i32_e32 v4, 31, v64
	v_lshlrev_b32_e32 v52, 5, v65
	s_delay_alu instid0(VALU_DEP_2) | instskip(NEXT) | instid1(VALU_DEP_1)
	v_lshrrev_b32_e32 v4, 27, v4
	v_add_nc_u32_e32 v4, v64, v4
	s_delay_alu instid0(VALU_DEP_1) | instskip(NEXT) | instid1(VALU_DEP_1)
	v_and_b32_e32 v4, 0xffffffe0, v4
	v_sub_nc_u32_e32 v4, v64, v4
	s_delay_alu instid0(VALU_DEP_1) | instskip(NEXT) | instid1(VALU_DEP_1)
	v_sub_nc_u32_e32 v4, v4, v52
	v_add_nc_u32_e32 v53, v3, v4
	s_delay_alu instid0(VALU_DEP_1) | instskip(NEXT) | instid1(VALU_DEP_1)
	v_sub_nc_u32_e32 v52, v55, v53
	v_cmp_lt_i32_e32 vcc_lo, 0, v52
	s_and_b32 exec_lo, exec_lo, vcc_lo
	s_cbranch_execz .LBB10_488
; %bb.485:                              ;   in Loop: Header=BB10_383 Depth=2
	s_cbranch_execnz .LBB10_1474
; %bb.486:                              ;   in Loop: Header=BB10_383 Depth=2
	ds_load_b64 v[3:4], v0
	v_add_nc_u32_e32 v36, v53, v36
	s_mov_b32 s30, 0
	s_delay_alu instid0(VALU_DEP_1)
	v_ashrrev_i32_e32 v53, 31, v36
.LBB10_487:                             ;   Parent Loop BB10_93 Depth=1
                                        ;     Parent Loop BB10_383 Depth=2
                                        ; =>    This Inner Loop Header: Depth=3
	s_waitcnt lgkmcnt(0)
	v_add_co_u32 v64, vcc_lo, v3, v36
	s_delay_alu instid0(VALU_DEP_2)
	v_add_co_ci_u32_e32 v65, vcc_lo, v4, v53, vcc_lo
	v_sub_nc_u32_e32 v52, v52, v87
	v_add_co_u32 v36, s13, v36, v112
	flat_load_u8 v55, v[64:65] slc dlc
	v_add_co_ci_u32_e64 v53, s13, v53, v113, s13
	v_cmp_gt_i32_e32 vcc_lo, 1, v52
	s_or_b32 s30, vcc_lo, s30
	s_waitcnt vmcnt(0) lgkmcnt(0)
	flat_store_b8 v[64:65], v55 glc slc dlc
	s_and_not1_b32 exec_lo, exec_lo, s30
	s_cbranch_execnz .LBB10_487
.LBB10_488:                             ;   in Loop: Header=BB10_383 Depth=2
	s_or_b32 exec_lo, exec_lo, vcc_hi
.LBB10_489:                             ;   in Loop: Header=BB10_383 Depth=2
	s_delay_alu instid0(SALU_CYCLE_1)
	s_or_b32 exec_lo, exec_lo, s14
.LBB10_490:                             ;   in Loop: Header=BB10_383 Depth=2
	s_and_saveexec_b32 s13, s2
	s_cbranch_execz .LBB10_512
; %bb.491:                              ;   in Loop: Header=BB10_383 Depth=2
	s_and_saveexec_b32 s14, s3
	s_delay_alu instid0(SALU_CYCLE_1)
	s_xor_b32 s14, exec_lo, s14
	s_cbranch_execz .LBB10_509
; %bb.492:                              ;   in Loop: Header=BB10_383 Depth=2
	s_and_saveexec_b32 vcc_hi, s1
	s_cbranch_execz .LBB10_508
; %bb.493:                              ;   in Loop: Header=BB10_383 Depth=2
	s_mov_b32 s31, exec_lo
	s_mov_b32 s30, exec_lo
	v_mbcnt_lo_u32_b32 v3, s31, 0
	s_waitcnt lgkmcnt(0)
	s_waitcnt_vscnt null, 0x0
	buffer_gl1_inv
	buffer_gl0_inv
	v_cmpx_eq_u32_e32 0, v3
	s_cbranch_execz .LBB10_495
; %bb.494:                              ;   in Loop: Header=BB10_383 Depth=2
	s_bcnt1_i32_b32 vcc_lo, s31
	s_delay_alu instid0(SALU_CYCLE_1)
	v_mov_b32_e32 v36, vcc_lo
	ds_add_u64 v0, v[36:37]
	s_cbranch_execnz .LBB10_1445
.LBB10_495:                             ;   in Loop: Header=BB10_383 Depth=2
	s_or_b32 exec_lo, exec_lo, s30
	s_cbranch_execnz .LBB10_1409
; %bb.496:                              ;   in Loop: Header=BB10_383 Depth=2
	ds_load_b64 v[3:4], v0
	v_add_co_u32 v28, vcc_lo, v28, v82
	v_add_co_ci_u32_e32 v29, vcc_lo, 0, v29, vcc_lo
	s_mov_b32 s30, exec_lo
	s_waitcnt lgkmcnt(0)
	s_delay_alu instid0(VALU_DEP_1)
	v_cmpx_lt_u64_e64 v[3:4], v[28:29]
	s_cbranch_execz .LBB10_507
; %bb.497:                              ;   in Loop: Header=BB10_383 Depth=2
	s_mov_b32 s31, 0
	s_mov_b32 s36, 0
                                        ; implicit-def: $sgpr34
                                        ; implicit-def: $sgpr35
	s_branch .LBB10_499
.LBB10_498:                             ;   in Loop: Header=BB10_499 Depth=3
	s_or_b32 exec_lo, exec_lo, s38
	s_delay_alu instid0(SALU_CYCLE_1) | instskip(NEXT) | instid1(SALU_CYCLE_1)
	s_and_b32 vcc_lo, exec_lo, vcc_lo
	s_or_b32 s31, vcc_lo, s31
	s_and_not1_b32 vcc_lo, s34, exec_lo
	s_and_b32 s34, s35, exec_lo
	s_delay_alu instid0(SALU_CYCLE_1)
	s_or_b32 s34, vcc_lo, s34
	s_and_not1_b32 exec_lo, exec_lo, s31
	s_cbranch_execz .LBB10_505
.LBB10_499:                             ;   Parent Loop BB10_93 Depth=1
                                        ;     Parent Loop BB10_383 Depth=2
                                        ; =>    This Inner Loop Header: Depth=3
	s_add_i32 s36, s36, 1
                                        ; implicit-def: $sgpr38
	s_delay_alu instid0(SALU_CYCLE_1) | instskip(SKIP_1) | instid1(SALU_CYCLE_1)
	s_cmpk_lg_i32 s36, 0x2710
	s_cselect_b32 s37, -1, 0
	s_and_b32 vcc_lo, exec_lo, s37
	s_cbranch_vccz .LBB10_503
.LBB10_500:                             ;   in Loop: Header=BB10_499 Depth=3
	s_and_not1_b32 s35, s35, exec_lo
	s_and_b32 s38, s38, exec_lo
	s_mov_b32 vcc_lo, -1
	s_or_b32 s35, s35, s38
	s_and_saveexec_b32 s38, s37
	s_cbranch_execz .LBB10_498
; %bb.501:                              ;   in Loop: Header=BB10_499 Depth=3
	s_sleep 1
	s_cbranch_execnz .LBB10_1510
; %bb.502:                              ;   in Loop: Header=BB10_499 Depth=3
	ds_load_b64 v[3:4], v0
	s_and_not1_b32 s35, s35, exec_lo
	s_waitcnt lgkmcnt(0)
	v_cmp_ge_u64_e32 vcc_lo, v[3:4], v[28:29]
	s_or_not1_b32 vcc_lo, vcc_lo, exec_lo
	s_branch .LBB10_498
.LBB10_503:                             ;   in Loop: Header=BB10_499 Depth=3
	s_cbranch_execnz .LBB10_1526
; %bb.504:                              ;   in Loop: Header=BB10_499 Depth=3
	ds_load_b64 v[3:4], v0
	s_and_not1_b32 s37, s37, exec_lo
	s_mov_b32 s36, 0
	s_mov_b32 s38, -1
	s_waitcnt lgkmcnt(0)
	flat_load_b32 v3, v[3:4] glc
	s_waitcnt vmcnt(0) lgkmcnt(0)
	buffer_gl1_inv
	buffer_gl0_inv
	v_cmp_eq_u32_e32 vcc_lo, 0, v3
	s_and_b32 vcc_lo, vcc_lo, exec_lo
	s_delay_alu instid0(SALU_CYCLE_1)
	s_or_b32 s37, s37, vcc_lo
	s_branch .LBB10_500
.LBB10_505:                             ;   in Loop: Header=BB10_383 Depth=2
	s_or_b32 exec_lo, exec_lo, s31
	s_and_saveexec_b32 vcc_lo, s34
	s_delay_alu instid0(SALU_CYCLE_1)
	s_xor_b32 vcc_lo, exec_lo, vcc_lo
	s_cbranch_execz .LBB10_507
; %bb.506:                              ;   in Loop: Header=BB10_383 Depth=2
	ds_store_b32 v0, v117
	s_cbranch_execnz .LBB10_1600
.LBB10_507:                             ;   in Loop: Header=BB10_383 Depth=2
	s_or_b32 exec_lo, exec_lo, s30
	;;#ASMSTART
	s_wakeup
	;;#ASMEND
.LBB10_508:                             ;   in Loop: Header=BB10_383 Depth=2
	s_or_b32 exec_lo, exec_lo, vcc_hi
.LBB10_509:                             ;   in Loop: Header=BB10_383 Depth=2
	s_and_not1_saveexec_b32 s14, s14
	s_cbranch_execz .LBB10_511
; %bb.510:                              ;   in Loop: Header=BB10_383 Depth=2
	s_waitcnt lgkmcnt(0)
	s_waitcnt_vscnt null, 0x0
	buffer_gl1_inv
	buffer_gl0_inv
	s_barrier
.LBB10_511:                             ;   in Loop: Header=BB10_383 Depth=2
	s_or_b32 exec_lo, exec_lo, s14
.LBB10_512:                             ;   in Loop: Header=BB10_383 Depth=2
	s_delay_alu instid0(SALU_CYCLE_1) | instskip(SKIP_1) | instid1(SALU_CYCLE_1)
	s_or_b32 exec_lo, exec_lo, s13
                                        ; implicit-def: $vgpr3
	s_and_saveexec_b32 s13, s6
	s_xor_b32 s14, exec_lo, s13
	s_cbranch_execz .LBB10_516
; %bb.513:                              ;   in Loop: Header=BB10_383 Depth=2
	v_and_b32_e32 v3, 16, v30
	v_cmp_lt_i32_e32 vcc_lo, 0, v54
	s_delay_alu instid0(VALU_DEP_2) | instskip(SKIP_1) | instid1(VALU_DEP_2)
	v_cmp_ne_u32_e64 s13, 0, v3
	v_and_b32_e32 v3, 16, v30
	s_and_b32 vcc_lo, s13, vcc_lo
	s_delay_alu instid0(SALU_CYCLE_1)
	s_and_saveexec_b32 s13, vcc_lo
	s_cbranch_execz .LBB10_515
; %bb.514:                              ;   in Loop: Header=BB10_383 Depth=2
	v_mov_b32_e32 v3, 1
	s_waitcnt lgkmcnt(0)
	s_waitcnt_vscnt null, 0x0
	buffer_gl1_inv
	buffer_gl0_inv
.LBB10_515:                             ;   in Loop: Header=BB10_383 Depth=2
	s_or_b32 exec_lo, exec_lo, s13
.LBB10_516:                             ;   in Loop: Header=BB10_383 Depth=2
	s_and_not1_saveexec_b32 s13, s14
	s_cbranch_execz .LBB10_538
; %bb.517:                              ;   in Loop: Header=BB10_383 Depth=2
	s_and_saveexec_b32 s14, s3
	s_delay_alu instid0(SALU_CYCLE_1)
	s_xor_b32 s14, exec_lo, s14
	s_cbranch_execz .LBB10_535
; %bb.518:                              ;   in Loop: Header=BB10_383 Depth=2
	s_and_saveexec_b32 vcc_hi, s1
	s_cbranch_execz .LBB10_534
; %bb.519:                              ;   in Loop: Header=BB10_383 Depth=2
	s_mov_b32 s31, exec_lo
	s_mov_b32 s30, exec_lo
	v_mbcnt_lo_u32_b32 v3, s31, 0
	;;#ASMSTART
	s_waitcnt lgkmcnt(0) vmcnt(0)
	;;#ASMEND
	s_delay_alu instid0(VALU_DEP_1)
	v_cmpx_eq_u32_e32 0, v3
	s_cbranch_execz .LBB10_521
; %bb.520:                              ;   in Loop: Header=BB10_383 Depth=2
	s_bcnt1_i32_b32 vcc_lo, s31
	s_delay_alu instid0(SALU_CYCLE_1)
	v_mov_b32_e32 v36, vcc_lo
	ds_add_u64 v0, v[36:37]
	s_cbranch_execnz .LBB10_1464
.LBB10_521:                             ;   in Loop: Header=BB10_383 Depth=2
	s_or_b32 exec_lo, exec_lo, s30
	s_cbranch_execnz .LBB10_1417
; %bb.522:                              ;   in Loop: Header=BB10_383 Depth=2
	ds_load_b64 v[3:4], v0
	v_add_co_u32 v28, vcc_lo, v28, v82
	v_add_co_ci_u32_e32 v29, vcc_lo, 0, v29, vcc_lo
	s_mov_b32 s30, exec_lo
	s_waitcnt lgkmcnt(0)
	s_delay_alu instid0(VALU_DEP_1)
	v_cmpx_lt_u64_e64 v[3:4], v[28:29]
	s_cbranch_execz .LBB10_533
; %bb.523:                              ;   in Loop: Header=BB10_383 Depth=2
	s_mov_b32 s31, 0
	s_mov_b32 s36, 0
                                        ; implicit-def: $sgpr34
                                        ; implicit-def: $sgpr35
	s_branch .LBB10_525
.LBB10_524:                             ;   in Loop: Header=BB10_525 Depth=3
	s_or_b32 exec_lo, exec_lo, s38
	s_delay_alu instid0(SALU_CYCLE_1) | instskip(NEXT) | instid1(SALU_CYCLE_1)
	s_and_b32 vcc_lo, exec_lo, vcc_lo
	s_or_b32 s31, vcc_lo, s31
	s_and_not1_b32 vcc_lo, s34, exec_lo
	s_and_b32 s34, s35, exec_lo
	s_delay_alu instid0(SALU_CYCLE_1)
	s_or_b32 s34, vcc_lo, s34
	s_and_not1_b32 exec_lo, exec_lo, s31
	s_cbranch_execz .LBB10_531
.LBB10_525:                             ;   Parent Loop BB10_93 Depth=1
                                        ;     Parent Loop BB10_383 Depth=2
                                        ; =>    This Inner Loop Header: Depth=3
	s_add_i32 s36, s36, 1
                                        ; implicit-def: $sgpr38
	s_delay_alu instid0(SALU_CYCLE_1) | instskip(SKIP_1) | instid1(SALU_CYCLE_1)
	s_cmpk_lg_i32 s36, 0x2710
	s_cselect_b32 s37, -1, 0
	s_and_b32 vcc_lo, exec_lo, s37
	s_cbranch_vccz .LBB10_529
.LBB10_526:                             ;   in Loop: Header=BB10_525 Depth=3
	s_and_not1_b32 s35, s35, exec_lo
	s_and_b32 s38, s38, exec_lo
	s_mov_b32 vcc_lo, -1
	s_or_b32 s35, s35, s38
	s_and_saveexec_b32 s38, s37
	s_cbranch_execz .LBB10_524
; %bb.527:                              ;   in Loop: Header=BB10_525 Depth=3
	s_sleep 1
	s_cbranch_execnz .LBB10_1518
; %bb.528:                              ;   in Loop: Header=BB10_525 Depth=3
	ds_load_b64 v[3:4], v0
	s_and_not1_b32 s35, s35, exec_lo
	s_waitcnt lgkmcnt(0)
	v_cmp_ge_u64_e32 vcc_lo, v[3:4], v[28:29]
	s_or_not1_b32 vcc_lo, vcc_lo, exec_lo
	s_branch .LBB10_524
.LBB10_529:                             ;   in Loop: Header=BB10_525 Depth=3
	s_cbranch_execnz .LBB10_1528
; %bb.530:                              ;   in Loop: Header=BB10_525 Depth=3
	ds_load_b64 v[3:4], v0
	s_and_not1_b32 s37, s37, exec_lo
	s_mov_b32 s36, 0
	s_mov_b32 s38, -1
	s_waitcnt lgkmcnt(0)
	s_waitcnt_vscnt null, 0x0
	flat_load_b32 v3, v[3:4] glc
	s_waitcnt vmcnt(0) lgkmcnt(0)
	buffer_gl1_inv
	buffer_gl0_inv
	v_cmp_eq_u32_e32 vcc_lo, 0, v3
	s_and_b32 vcc_lo, vcc_lo, exec_lo
	s_delay_alu instid0(SALU_CYCLE_1)
	s_or_b32 s37, s37, vcc_lo
	s_branch .LBB10_526
.LBB10_531:                             ;   in Loop: Header=BB10_383 Depth=2
	s_or_b32 exec_lo, exec_lo, s31
	s_and_saveexec_b32 vcc_lo, s34
	s_delay_alu instid0(SALU_CYCLE_1)
	s_xor_b32 vcc_lo, exec_lo, vcc_lo
	s_cbranch_execz .LBB10_533
; %bb.532:                              ;   in Loop: Header=BB10_383 Depth=2
	ds_store_b32 v0, v117
	s_cbranch_execnz .LBB10_1602
.LBB10_533:                             ;   in Loop: Header=BB10_383 Depth=2
	s_or_b32 exec_lo, exec_lo, s30
	;;#ASMSTART
	s_wakeup
	;;#ASMEND
.LBB10_534:                             ;   in Loop: Header=BB10_383 Depth=2
	s_or_b32 exec_lo, exec_lo, vcc_hi
.LBB10_535:                             ;   in Loop: Header=BB10_383 Depth=2
	s_and_not1_saveexec_b32 s14, s14
	s_cbranch_execz .LBB10_537
; %bb.536:                              ;   in Loop: Header=BB10_383 Depth=2
	;;#ASMSTART
	s_waitcnt lgkmcnt(0) vmcnt(0)
	;;#ASMEND
	s_waitcnt lgkmcnt(0)
	s_waitcnt_vscnt null, 0x0
	s_barrier
.LBB10_537:                             ;   in Loop: Header=BB10_383 Depth=2
	s_or_b32 exec_lo, exec_lo, s14
	v_and_b32_e32 v3, 16, v30
.LBB10_538:                             ;   in Loop: Header=BB10_383 Depth=2
	s_or_b32 exec_lo, exec_lo, s13
	s_delay_alu instid0(SALU_CYCLE_1) | instskip(NEXT) | instid1(VALU_DEP_1)
	s_mov_b32 s13, exec_lo
	v_cmpx_ne_u32_e32 0, v3
	s_cbranch_execz .LBB10_542
; %bb.539:                              ;   in Loop: Header=BB10_383 Depth=2
	s_and_saveexec_b32 s14, s10
	s_cbranch_execz .LBB10_541
; %bb.540:                              ;   in Loop: Header=BB10_383 Depth=2
	s_waitcnt lgkmcnt(0)
	s_waitcnt_vscnt null, 0x0
	flat_store_b32 v[32:33], v117
.LBB10_541:                             ;   in Loop: Header=BB10_383 Depth=2
	s_or_b32 exec_lo, exec_lo, s14
	v_add_co_u32 v14, vcc_lo, v14, 2
	v_add_co_ci_u32_e32 v15, vcc_lo, 0, v15, vcc_lo
	s_waitcnt lgkmcnt(0)
	s_waitcnt_vscnt null, 0x0
	flat_store_b64 v[24:25], v[14:15]
.LBB10_542:                             ;   in Loop: Header=BB10_383 Depth=2
	s_or_b32 exec_lo, exec_lo, s13
	v_add_nc_u32_e32 v5, v2, v5
	s_xor_b32 s13, s28, -1
	v_mov_b32_e32 v3, s29
	s_mov_b32 s28, 0
	s_mov_b32 s29, 2
	v_cmp_ge_i32_e32 vcc_lo, v5, v118
	s_or_b32 s13, s13, vcc_lo
	s_delay_alu instid0(SALU_CYCLE_1) | instskip(NEXT) | instid1(SALU_CYCLE_1)
	s_and_b32 s13, exec_lo, s13
	s_or_b32 s17, s13, s17
	s_delay_alu instid0(SALU_CYCLE_1)
	s_and_not1_b32 exec_lo, exec_lo, s17
	s_cbranch_execnz .LBB10_383
; %bb.543:                              ;   in Loop: Header=BB10_93 Depth=1
	s_or_b32 exec_lo, exec_lo, s17
.LBB10_544:                             ;   in Loop: Header=BB10_93 Depth=1
	s_delay_alu instid0(SALU_CYCLE_1) | instskip(NEXT) | instid1(SALU_CYCLE_1)
	s_or_b32 exec_lo, exec_lo, s16
	s_mov_b32 s14, exec_lo
	v_cmpx_gt_i32_e32 2, v3
	s_cbranch_execz .LBB10_625
; %bb.545:                              ;   in Loop: Header=BB10_93 Depth=1
	v_cmp_eq_u32_e64 s13, 0, v3
	s_mov_b32 s16, 0
.LBB10_546:                             ;   Parent Loop BB10_93 Depth=1
                                        ; =>  This Loop Header: Depth=2
                                        ;       Child Loop BB10_552 Depth 3
                                        ;       Child Loop BB10_579 Depth 3
	;; [unrolled: 1-line block ×3, first 2 shown]
	v_and_b32_e32 v3, 8, v30
	s_mov_b32 s28, -1
	s_mov_b32 s17, exec_lo
	s_delay_alu instid0(VALU_DEP_1)
	v_cmpx_ne_u32_e32 0, v3
	s_cbranch_execz .LBB10_560
; %bb.547:                              ;   in Loop: Header=BB10_546 Depth=2
	v_add_co_u32 v52, vcc_lo, v34, 8
	v_add_co_ci_u32_e32 v53, vcc_lo, 0, v35, vcc_lo
	v_add_co_u32 v3, vcc_lo, v14, 2
	v_add_co_ci_u32_e32 v4, vcc_lo, 0, v15, vcc_lo
	v_mov_b32_e32 v36, 1
	s_mov_b32 s28, exec_lo
	s_delay_alu instid0(VALU_DEP_2)
	v_cmpx_lt_u64_e64 v[52:53], v[3:4]
	s_cbranch_execz .LBB10_559
; %bb.548:                              ;   in Loop: Header=BB10_546 Depth=2
	v_mov_b32_e32 v36, 0
	s_mov_b32 s29, 0
                                        ; implicit-def: $vcc_hi
	s_branch .LBB10_552
.LBB10_549:                             ;   in Loop: Header=BB10_552 Depth=3
	s_or_b32 exec_lo, exec_lo, s35
	v_mov_b32_e32 v52, 0
	s_or_not1_b32 s34, s34, exec_lo
.LBB10_550:                             ;   in Loop: Header=BB10_552 Depth=3
	s_or_b32 exec_lo, exec_lo, s31
	s_delay_alu instid0(VALU_DEP_1) | instskip(SKIP_2) | instid1(SALU_CYCLE_1)
	v_mov_b32_e32 v36, v52
	s_and_not1_b32 vcc_lo, vcc_hi, exec_lo
	s_and_b32 vcc_hi, s34, exec_lo
	s_or_b32 vcc_hi, vcc_lo, vcc_hi
.LBB10_551:                             ;   in Loop: Header=BB10_552 Depth=3
	s_or_b32 exec_lo, exec_lo, s30
	s_waitcnt vmcnt(0) lgkmcnt(0)
	v_add_co_u32 v52, vcc_lo, v34, 8
	v_add_co_ci_u32_e32 v53, vcc_lo, 0, v35, vcc_lo
	s_delay_alu instid0(VALU_DEP_1) | instskip(SKIP_1) | instid1(SALU_CYCLE_1)
	v_cmp_ge_u64_e32 vcc_lo, v[52:53], v[3:4]
	s_xor_b32 s30, vcc_hi, -1
	s_or_b32 vcc_lo, s30, vcc_lo
	s_delay_alu instid0(SALU_CYCLE_1) | instskip(NEXT) | instid1(SALU_CYCLE_1)
	s_and_b32 vcc_lo, exec_lo, vcc_lo
	s_or_b32 s29, vcc_lo, s29
	s_delay_alu instid0(SALU_CYCLE_1)
	s_and_not1_b32 exec_lo, exec_lo, s29
	s_cbranch_execz .LBB10_558
.LBB10_552:                             ;   Parent Loop BB10_93 Depth=1
                                        ;     Parent Loop BB10_546 Depth=2
                                        ; =>    This Inner Loop Header: Depth=3
	s_sleep 1
	flat_load_b64 v[34:35], v[24:25] glc
	v_and_b32_e32 v52, 64, v30
	s_and_not1_b32 vcc_hi, vcc_hi, exec_lo
	s_mov_b32 s30, exec_lo
	s_delay_alu instid0(VALU_DEP_1)
	v_cmpx_eq_u32_e32 0, v52
	s_cbranch_execz .LBB10_551
; %bb.553:                              ;   in Loop: Header=BB10_552 Depth=3
	v_add_nc_u32_e32 v52, 1, v36
	s_mov_b32 s34, -1
	s_mov_b32 s31, exec_lo
	v_cmpx_lt_i32_e32 0x270e, v36
	s_cbranch_execz .LBB10_550
; %bb.554:                              ;   in Loop: Header=BB10_552 Depth=3
	s_cbranch_execnz .LBB10_1250
; %bb.555:                              ;   in Loop: Header=BB10_552 Depth=3
	ds_load_b64 v[52:53], v0
	s_mov_b32 s35, exec_lo
	s_waitcnt vmcnt(0) lgkmcnt(0)
	s_waitcnt_vscnt null, 0x0
	flat_load_b32 v36, v[52:53] glc
	s_waitcnt vmcnt(0) lgkmcnt(0)
	buffer_gl1_inv
	buffer_gl0_inv
	v_cmpx_ne_u32_e32 0, v36
	s_cbranch_execz .LBB10_549
; %bb.556:                              ;   in Loop: Header=BB10_552 Depth=3
	ds_store_b32 v0, v36
	s_cbranch_execnz .LBB10_1297
; %bb.557:                              ;   in Loop: Header=BB10_552 Depth=3
	v_or_b32_e32 v30, 64, v30
	s_xor_b32 s34, exec_lo, -1
	s_branch .LBB10_549
.LBB10_558:                             ;   in Loop: Header=BB10_546 Depth=2
	s_or_b32 exec_lo, exec_lo, s29
	v_and_b32_e32 v36, 8, v30
.LBB10_559:                             ;   in Loop: Header=BB10_546 Depth=2
	s_or_b32 exec_lo, exec_lo, s28
	s_delay_alu instid0(VALU_DEP_1)
	v_cmp_eq_u32_e32 vcc_lo, 0, v36
	;;#ASMSTART
	s_wakeup
	;;#ASMEND
	s_or_not1_b32 s28, vcc_lo, exec_lo
.LBB10_560:                             ;   in Loop: Header=BB10_546 Depth=2
	s_or_b32 exec_lo, exec_lo, s17
	v_sub_nc_u32_e32 v3, v118, v5
	s_xor_b32 s13, s13, -1
	s_delay_alu instid0(SALU_CYCLE_1) | instskip(NEXT) | instid1(SALU_CYCLE_1)
	s_and_b32 s13, exec_lo, s13
	s_or_b32 s16, s13, s16
	s_delay_alu instid0(VALU_DEP_1) | instskip(SKIP_1) | instid1(SALU_CYCLE_1)
	v_min_i32_e32 v2, v2, v3
	s_xor_b32 s13, s28, -1
	s_and_saveexec_b32 s17, s13
	s_cbranch_execz .LBB10_570
; %bb.561:                              ;   in Loop: Header=BB10_546 Depth=2
	v_and_b32_e32 v3, 0x100, v30
	v_and_b32_e32 v36, 7, v14
	s_mov_b32 s13, -1
	s_delay_alu instid0(VALU_DEP_2)
	v_cmp_ne_u32_e32 vcc_lo, 0, v3
                                        ; implicit-def: $vgpr3_vgpr4
	s_and_saveexec_b32 s28, vcc_lo
	s_cbranch_execz .LBB10_565
; %bb.562:                              ;   in Loop: Header=BB10_546 Depth=2
	v_mad_u64_u32 v[52:53], null, v36, 24, v[12:13]
	v_ashrrev_i32_e32 v3, 31, v2
	flat_load_b32 v4, v[52:53]
	flat_store_b64 v[52:53], v[2:3] offset:8
	s_waitcnt vmcnt(0) lgkmcnt(1)
	v_cmp_ne_u32_e32 vcc_lo, 1, v4
	v_cmp_eq_u32_e64 s13, 1, v4
                                        ; implicit-def: $vgpr3_vgpr4
	s_delay_alu instid0(VALU_DEP_1)
	s_and_saveexec_b32 s29, s13
	s_cbranch_execz .LBB10_564
; %bb.563:                              ;   in Loop: Header=BB10_546 Depth=2
	flat_load_b32 v3, v[52:53] offset:4 glc
	s_waitcnt vmcnt(0) lgkmcnt(0)
	v_ashrrev_i32_e32 v4, 31, v3
.LBB10_564:                             ;   in Loop: Header=BB10_546 Depth=2
	s_or_b32 exec_lo, exec_lo, s29
	s_delay_alu instid0(SALU_CYCLE_1)
	s_or_not1_b32 s13, vcc_lo, exec_lo
.LBB10_565:                             ;   in Loop: Header=BB10_546 Depth=2
	s_or_b32 exec_lo, exec_lo, s28
	s_and_saveexec_b32 s28, s13
; %bb.566:                              ;   in Loop: Header=BB10_546 Depth=2
	v_mad_i64_i32 v[3:4], null, v36, v68, 0
; %bb.567:                              ;   in Loop: Header=BB10_546 Depth=2
	s_or_b32 exec_lo, exec_lo, s28
	s_delay_alu instid0(VALU_DEP_1) | instskip(SKIP_1) | instid1(VALU_DEP_3)
	v_add_co_u32 v3, vcc_lo, v26, v3
	v_and_b32_e32 v36, 0x2000, v30
	v_add_co_ci_u32_e32 v4, vcc_lo, v27, v4, vcc_lo
	s_mov_b32 s13, exec_lo
	ds_store_b64 v0, v[3:4] offset:784
	v_cmpx_ne_u32_e32 0, v36
	s_cbranch_execz .LBB10_569
; %bb.568:                              ;   in Loop: Header=BB10_546 Depth=2
	ds_load_b64 v[3:4], v0 offset:584
	s_waitcnt lgkmcnt(0)
	v_add_co_u32 v3, vcc_lo, v3, 1
	v_add_co_ci_u32_e32 v4, vcc_lo, 0, v4, vcc_lo
	ds_store_b64 v0, v[3:4] offset:584
.LBB10_569:                             ;   in Loop: Header=BB10_546 Depth=2
	s_or_b32 exec_lo, exec_lo, s13
	v_add_co_u32 v14, vcc_lo, v14, 2
	v_add_co_ci_u32_e32 v15, vcc_lo, 0, v15, vcc_lo
.LBB10_570:                             ;   in Loop: Header=BB10_546 Depth=2
	s_or_b32 exec_lo, exec_lo, s17
	s_and_saveexec_b32 s13, s2
	s_cbranch_execz .LBB10_592
; %bb.571:                              ;   in Loop: Header=BB10_546 Depth=2
	s_and_saveexec_b32 s17, s3
	s_delay_alu instid0(SALU_CYCLE_1)
	s_xor_b32 s17, exec_lo, s17
	s_cbranch_execz .LBB10_589
; %bb.572:                              ;   in Loop: Header=BB10_546 Depth=2
	s_and_saveexec_b32 s28, s1
	s_cbranch_execz .LBB10_588
; %bb.573:                              ;   in Loop: Header=BB10_546 Depth=2
	s_mov_b32 vcc_hi, exec_lo
	s_mov_b32 s29, exec_lo
	v_mbcnt_lo_u32_b32 v3, vcc_hi, 0
	s_waitcnt lgkmcnt(0)
	s_waitcnt_vscnt null, 0x0
	buffer_gl1_inv
	buffer_gl0_inv
	v_cmpx_eq_u32_e32 0, v3
	s_cbranch_execz .LBB10_575
; %bb.574:                              ;   in Loop: Header=BB10_546 Depth=2
	s_bcnt1_i32_b32 vcc_lo, vcc_hi
	s_delay_alu instid0(SALU_CYCLE_1)
	v_mov_b32_e32 v36, vcc_lo
	ds_add_u64 v0, v[36:37]
	s_cbranch_execnz .LBB10_1325
.LBB10_575:                             ;   in Loop: Header=BB10_546 Depth=2
	s_or_b32 exec_lo, exec_lo, s29
	s_cbranch_execnz .LBB10_1307
; %bb.576:                              ;   in Loop: Header=BB10_546 Depth=2
	ds_load_b64 v[3:4], v0
	v_add_co_u32 v28, vcc_lo, v28, v82
	v_add_co_ci_u32_e32 v29, vcc_lo, 0, v29, vcc_lo
	s_mov_b32 s29, exec_lo
	s_waitcnt lgkmcnt(0)
	s_delay_alu instid0(VALU_DEP_1)
	v_cmpx_lt_u64_e64 v[3:4], v[28:29]
	s_cbranch_execz .LBB10_587
; %bb.577:                              ;   in Loop: Header=BB10_546 Depth=2
	s_mov_b32 vcc_hi, 0
	s_mov_b32 s34, 0
                                        ; implicit-def: $sgpr30
                                        ; implicit-def: $sgpr31
	s_branch .LBB10_579
.LBB10_578:                             ;   in Loop: Header=BB10_579 Depth=3
	s_or_b32 exec_lo, exec_lo, s36
	s_delay_alu instid0(SALU_CYCLE_1) | instskip(NEXT) | instid1(SALU_CYCLE_1)
	s_and_b32 vcc_lo, exec_lo, vcc_lo
	s_or_b32 vcc_hi, vcc_lo, vcc_hi
	s_and_not1_b32 vcc_lo, s30, exec_lo
	s_and_b32 s30, s31, exec_lo
	s_delay_alu instid0(SALU_CYCLE_1)
	s_or_b32 s30, vcc_lo, s30
	s_and_not1_b32 exec_lo, exec_lo, vcc_hi
	s_cbranch_execz .LBB10_585
.LBB10_579:                             ;   Parent Loop BB10_93 Depth=1
                                        ;     Parent Loop BB10_546 Depth=2
                                        ; =>    This Inner Loop Header: Depth=3
	s_add_i32 s34, s34, 1
                                        ; implicit-def: $sgpr36
	s_delay_alu instid0(SALU_CYCLE_1) | instskip(SKIP_1) | instid1(SALU_CYCLE_1)
	s_cmpk_lg_i32 s34, 0x2710
	s_cselect_b32 s35, -1, 0
	s_and_b32 vcc_lo, exec_lo, s35
	s_cbranch_vccz .LBB10_583
.LBB10_580:                             ;   in Loop: Header=BB10_579 Depth=3
	s_and_not1_b32 s31, s31, exec_lo
	s_and_b32 s36, s36, exec_lo
	s_mov_b32 vcc_lo, -1
	s_or_b32 s31, s31, s36
	s_and_saveexec_b32 s36, s35
	s_cbranch_execz .LBB10_578
; %bb.581:                              ;   in Loop: Header=BB10_579 Depth=3
	s_sleep 1
	s_cbranch_execnz .LBB10_1375
; %bb.582:                              ;   in Loop: Header=BB10_579 Depth=3
	ds_load_b64 v[3:4], v0
	s_and_not1_b32 s31, s31, exec_lo
	s_waitcnt lgkmcnt(0)
	v_cmp_ge_u64_e32 vcc_lo, v[3:4], v[28:29]
	s_or_not1_b32 vcc_lo, vcc_lo, exec_lo
	s_branch .LBB10_578
.LBB10_583:                             ;   in Loop: Header=BB10_579 Depth=3
	s_cbranch_execnz .LBB10_1387
; %bb.584:                              ;   in Loop: Header=BB10_579 Depth=3
	ds_load_b64 v[3:4], v0
	s_and_not1_b32 s35, s35, exec_lo
	s_mov_b32 s34, 0
	s_mov_b32 s36, -1
	s_waitcnt lgkmcnt(0)
	flat_load_b32 v3, v[3:4] glc
	s_waitcnt vmcnt(0) lgkmcnt(0)
	buffer_gl1_inv
	buffer_gl0_inv
	v_cmp_eq_u32_e32 vcc_lo, 0, v3
	s_and_b32 vcc_lo, vcc_lo, exec_lo
	s_delay_alu instid0(SALU_CYCLE_1)
	s_or_b32 s35, s35, vcc_lo
	s_branch .LBB10_580
.LBB10_585:                             ;   in Loop: Header=BB10_546 Depth=2
	s_or_b32 exec_lo, exec_lo, vcc_hi
	s_and_saveexec_b32 vcc_lo, s30
	s_delay_alu instid0(SALU_CYCLE_1)
	s_xor_b32 vcc_lo, exec_lo, vcc_lo
	s_cbranch_execz .LBB10_587
; %bb.586:                              ;   in Loop: Header=BB10_546 Depth=2
	ds_store_b32 v0, v117
	s_cbranch_execnz .LBB10_1570
.LBB10_587:                             ;   in Loop: Header=BB10_546 Depth=2
	s_or_b32 exec_lo, exec_lo, s29
	;;#ASMSTART
	s_wakeup
	;;#ASMEND
.LBB10_588:                             ;   in Loop: Header=BB10_546 Depth=2
	s_or_b32 exec_lo, exec_lo, s28
.LBB10_589:                             ;   in Loop: Header=BB10_546 Depth=2
	s_and_not1_saveexec_b32 s17, s17
	s_cbranch_execz .LBB10_591
; %bb.590:                              ;   in Loop: Header=BB10_546 Depth=2
	s_waitcnt lgkmcnt(0)
	s_waitcnt_vscnt null, 0x0
	buffer_gl1_inv
	buffer_gl0_inv
	s_barrier
.LBB10_591:                             ;   in Loop: Header=BB10_546 Depth=2
	s_or_b32 exec_lo, exec_lo, s17
.LBB10_592:                             ;   in Loop: Header=BB10_546 Depth=2
	s_delay_alu instid0(SALU_CYCLE_1) | instskip(SKIP_1) | instid1(SALU_CYCLE_1)
	s_or_b32 exec_lo, exec_lo, s13
                                        ; implicit-def: $vgpr3
	s_and_saveexec_b32 s13, s6
	s_xor_b32 s17, exec_lo, s13
	s_cbranch_execz .LBB10_597
; %bb.593:                              ;   in Loop: Header=BB10_546 Depth=2
	s_cbranch_execnz .LBB10_1248
; %bb.594:                              ;   in Loop: Header=BB10_546 Depth=2
	ds_load_b32 v3, v0
	v_cmp_lt_i32_e32 vcc_lo, 0, v2
	s_waitcnt lgkmcnt(0)
	v_readfirstlane_b32 s13, v3
	v_and_b32_e32 v3, 16, v30
	s_delay_alu instid0(VALU_DEP_2) | instskip(NEXT) | instid1(VALU_DEP_1)
	s_cmp_eq_u32 s13, 0
	v_cmp_ne_u32_e64 s13, 0, v3
	s_cselect_b32 s28, -1, 0
	v_and_b32_e32 v3, 16, v30
	s_and_b32 s28, vcc_lo, s28
	s_delay_alu instid0(VALU_DEP_2) | instid1(SALU_CYCLE_1)
	s_and_b32 s28, s13, s28
	s_delay_alu instid0(SALU_CYCLE_1)
	s_and_saveexec_b32 s13, s28
	s_cbranch_execz .LBB10_596
; %bb.595:                              ;   in Loop: Header=BB10_546 Depth=2
	v_mov_b32_e32 v3, 1
	s_waitcnt_vscnt null, 0x0
	buffer_gl1_inv
	buffer_gl0_inv
.LBB10_596:                             ;   in Loop: Header=BB10_546 Depth=2
	s_or_b32 exec_lo, exec_lo, s13
.LBB10_597:                             ;   in Loop: Header=BB10_546 Depth=2
	s_and_not1_saveexec_b32 s13, s17
	s_cbranch_execz .LBB10_619
; %bb.598:                              ;   in Loop: Header=BB10_546 Depth=2
	s_and_saveexec_b32 s17, s3
	s_delay_alu instid0(SALU_CYCLE_1)
	s_xor_b32 s17, exec_lo, s17
	s_cbranch_execz .LBB10_616
; %bb.599:                              ;   in Loop: Header=BB10_546 Depth=2
	s_and_saveexec_b32 s28, s1
	s_cbranch_execz .LBB10_615
; %bb.600:                              ;   in Loop: Header=BB10_546 Depth=2
	s_mov_b32 vcc_hi, exec_lo
	s_mov_b32 s29, exec_lo
	v_mbcnt_lo_u32_b32 v3, vcc_hi, 0
	;;#ASMSTART
	s_waitcnt lgkmcnt(0) vmcnt(0)
	;;#ASMEND
	s_delay_alu instid0(VALU_DEP_1)
	v_cmpx_eq_u32_e32 0, v3
	s_cbranch_execz .LBB10_602
; %bb.601:                              ;   in Loop: Header=BB10_546 Depth=2
	s_bcnt1_i32_b32 vcc_lo, vcc_hi
	s_delay_alu instid0(SALU_CYCLE_1)
	v_mov_b32_e32 v36, vcc_lo
	ds_add_u64 v0, v[36:37]
	s_cbranch_execnz .LBB10_1345
.LBB10_602:                             ;   in Loop: Header=BB10_546 Depth=2
	s_or_b32 exec_lo, exec_lo, s29
	s_cbranch_execnz .LBB10_1323
; %bb.603:                              ;   in Loop: Header=BB10_546 Depth=2
	ds_load_b64 v[3:4], v0
	v_add_co_u32 v28, vcc_lo, v28, v82
	v_add_co_ci_u32_e32 v29, vcc_lo, 0, v29, vcc_lo
	s_mov_b32 s29, exec_lo
	s_waitcnt lgkmcnt(0)
	s_delay_alu instid0(VALU_DEP_1)
	v_cmpx_lt_u64_e64 v[3:4], v[28:29]
	s_cbranch_execz .LBB10_614
; %bb.604:                              ;   in Loop: Header=BB10_546 Depth=2
	s_mov_b32 vcc_hi, 0
	s_mov_b32 s34, 0
                                        ; implicit-def: $sgpr30
                                        ; implicit-def: $sgpr31
	s_branch .LBB10_606
.LBB10_605:                             ;   in Loop: Header=BB10_606 Depth=3
	s_or_b32 exec_lo, exec_lo, s36
	s_delay_alu instid0(SALU_CYCLE_1) | instskip(NEXT) | instid1(SALU_CYCLE_1)
	s_and_b32 vcc_lo, exec_lo, vcc_lo
	s_or_b32 vcc_hi, vcc_lo, vcc_hi
	s_and_not1_b32 vcc_lo, s30, exec_lo
	s_and_b32 s30, s31, exec_lo
	s_delay_alu instid0(SALU_CYCLE_1)
	s_or_b32 s30, vcc_lo, s30
	s_and_not1_b32 exec_lo, exec_lo, vcc_hi
	s_cbranch_execz .LBB10_612
.LBB10_606:                             ;   Parent Loop BB10_93 Depth=1
                                        ;     Parent Loop BB10_546 Depth=2
                                        ; =>    This Inner Loop Header: Depth=3
	s_add_i32 s34, s34, 1
                                        ; implicit-def: $sgpr36
	s_delay_alu instid0(SALU_CYCLE_1) | instskip(SKIP_1) | instid1(SALU_CYCLE_1)
	s_cmpk_lg_i32 s34, 0x2710
	s_cselect_b32 s35, -1, 0
	s_and_b32 vcc_lo, exec_lo, s35
	s_cbranch_vccz .LBB10_610
.LBB10_607:                             ;   in Loop: Header=BB10_606 Depth=3
	s_and_not1_b32 s31, s31, exec_lo
	s_and_b32 s36, s36, exec_lo
	s_mov_b32 vcc_lo, -1
	s_or_b32 s31, s31, s36
	s_and_saveexec_b32 s36, s35
	s_cbranch_execz .LBB10_605
; %bb.608:                              ;   in Loop: Header=BB10_606 Depth=3
	s_sleep 1
	s_cbranch_execnz .LBB10_1395
; %bb.609:                              ;   in Loop: Header=BB10_606 Depth=3
	ds_load_b64 v[3:4], v0
	s_and_not1_b32 s31, s31, exec_lo
	s_waitcnt lgkmcnt(0)
	v_cmp_ge_u64_e32 vcc_lo, v[3:4], v[28:29]
	s_or_not1_b32 vcc_lo, vcc_lo, exec_lo
	s_branch .LBB10_605
.LBB10_610:                             ;   in Loop: Header=BB10_606 Depth=3
	s_cbranch_execnz .LBB10_1413
; %bb.611:                              ;   in Loop: Header=BB10_606 Depth=3
	ds_load_b64 v[3:4], v0
	s_and_not1_b32 s35, s35, exec_lo
	s_mov_b32 s34, 0
	s_mov_b32 s36, -1
	s_waitcnt lgkmcnt(0)
	s_waitcnt_vscnt null, 0x0
	flat_load_b32 v3, v[3:4] glc
	s_waitcnt vmcnt(0) lgkmcnt(0)
	buffer_gl1_inv
	buffer_gl0_inv
	v_cmp_eq_u32_e32 vcc_lo, 0, v3
	s_and_b32 vcc_lo, vcc_lo, exec_lo
	s_delay_alu instid0(SALU_CYCLE_1)
	s_or_b32 s35, s35, vcc_lo
	s_branch .LBB10_607
.LBB10_612:                             ;   in Loop: Header=BB10_546 Depth=2
	s_or_b32 exec_lo, exec_lo, vcc_hi
	s_and_saveexec_b32 vcc_lo, s30
	s_delay_alu instid0(SALU_CYCLE_1)
	s_xor_b32 vcc_lo, exec_lo, vcc_lo
	s_cbranch_execz .LBB10_614
; %bb.613:                              ;   in Loop: Header=BB10_546 Depth=2
	ds_store_b32 v0, v117
	s_cbranch_execnz .LBB10_1574
.LBB10_614:                             ;   in Loop: Header=BB10_546 Depth=2
	s_or_b32 exec_lo, exec_lo, s29
	;;#ASMSTART
	s_wakeup
	;;#ASMEND
.LBB10_615:                             ;   in Loop: Header=BB10_546 Depth=2
	s_or_b32 exec_lo, exec_lo, s28
.LBB10_616:                             ;   in Loop: Header=BB10_546 Depth=2
	s_and_not1_saveexec_b32 s17, s17
	s_cbranch_execz .LBB10_618
; %bb.617:                              ;   in Loop: Header=BB10_546 Depth=2
	;;#ASMSTART
	s_waitcnt lgkmcnt(0) vmcnt(0)
	;;#ASMEND
	s_waitcnt lgkmcnt(0)
	s_waitcnt_vscnt null, 0x0
	s_barrier
.LBB10_618:                             ;   in Loop: Header=BB10_546 Depth=2
	s_or_b32 exec_lo, exec_lo, s17
	v_and_b32_e32 v3, 16, v30
.LBB10_619:                             ;   in Loop: Header=BB10_546 Depth=2
	s_or_b32 exec_lo, exec_lo, s13
	s_delay_alu instid0(SALU_CYCLE_1) | instskip(NEXT) | instid1(VALU_DEP_1)
	s_mov_b32 s13, exec_lo
	v_cmpx_ne_u32_e32 0, v3
	s_cbranch_execz .LBB10_623
; %bb.620:                              ;   in Loop: Header=BB10_546 Depth=2
	s_and_saveexec_b32 s17, s10
	s_cbranch_execz .LBB10_622
; %bb.621:                              ;   in Loop: Header=BB10_546 Depth=2
	s_waitcnt lgkmcnt(0)
	s_waitcnt_vscnt null, 0x0
	flat_store_b32 v[32:33], v117
.LBB10_622:                             ;   in Loop: Header=BB10_546 Depth=2
	s_or_b32 exec_lo, exec_lo, s17
	v_add_co_u32 v14, vcc_lo, v14, 2
	v_add_co_ci_u32_e32 v15, vcc_lo, 0, v15, vcc_lo
	s_waitcnt lgkmcnt(0)
	s_waitcnt_vscnt null, 0x0
	flat_store_b64 v[24:25], v[14:15]
.LBB10_623:                             ;   in Loop: Header=BB10_546 Depth=2
	s_or_b32 exec_lo, exec_lo, s13
	v_add_nc_u32_e32 v5, v2, v5
	s_mov_b32 s13, 0
	s_and_not1_b32 exec_lo, exec_lo, s16
	s_cbranch_execnz .LBB10_546
; %bb.624:                              ;   in Loop: Header=BB10_93 Depth=1
	s_or_b32 exec_lo, exec_lo, s16
.LBB10_625:                             ;   in Loop: Header=BB10_93 Depth=1
	s_delay_alu instid0(SALU_CYCLE_1)
	s_or_b32 exec_lo, exec_lo, s14
.LBB10_626:                             ;   in Loop: Header=BB10_93 Depth=1
	s_delay_alu instid0(SALU_CYCLE_1) | instskip(NEXT) | instid1(SALU_CYCLE_1)
	s_or_b32 exec_lo, exec_lo, s15
	s_and_not1_b32 vcc_lo, exec_lo, s24
	s_cbranch_vccnz .LBB10_925
; %bb.627:                              ;   in Loop: Header=BB10_93 Depth=1
	s_mov_b32 s28, 1
.LBB10_628:                             ;   Parent Loop BB10_93 Depth=1
                                        ; =>  This Loop Header: Depth=2
                                        ;       Child Loop BB10_630 Depth 3
                                        ;         Child Loop BB10_639 Depth 4
                                        ;         Child Loop BB10_671 Depth 4
                                        ;         Child Loop BB10_694 Depth 4
                                        ;         Child Loop BB10_719 Depth 4
                                        ;         Child Loop BB10_725 Depth 4
                                        ;           Child Loop BB10_726 Depth 5
                                        ;         Child Loop BB10_737 Depth 4
                                        ;         Child Loop BB10_743 Depth 4
                                        ;           Child Loop BB10_744 Depth 5
                                        ;         Child Loop BB10_758 Depth 4
                                        ;         Child Loop BB10_764 Depth 4
	;; [unrolled: 1-line block ×6, first 2 shown]
                                        ;       Child Loop BB10_839 Depth 3
                                        ;         Child Loop BB10_845 Depth 4
                                        ;         Child Loop BB10_877 Depth 4
	;; [unrolled: 1-line block ×3, first 2 shown]
	v_mov_b32_e32 v2, 0
	v_mov_b32_e32 v52, v119
	;; [unrolled: 1-line block ×3, first 2 shown]
	s_mov_b32 vcc_hi, 0
	s_and_saveexec_b32 s29, s12
	s_cbranch_execz .LBB10_837
; %bb.629:                              ;   in Loop: Header=BB10_628 Depth=2
	s_sub_i32 s14, s18, s28
	v_mov_b32_e32 v128, 0
	s_ashr_i32 s15, s14, 31
	v_mov_b32_e32 v52, v119
	s_lshl_b64 s[14:15], s[14:15], 2
	s_mov_b32 s16, -1
	v_add_co_u32 v2, vcc_lo, v18, s14
	v_add_co_ci_u32_e32 v3, vcc_lo, s15, v19, vcc_lo
	s_mov_b32 s15, 1
	flat_load_b32 v2, v[2:3]
	s_waitcnt vmcnt(0) lgkmcnt(0)
	v_ashrrev_i32_e32 v3, 31, v2
	v_mul_lo_u32 v4, v67, v2
	v_mad_u64_u32 v[54:55], null, v66, v2, v[50:51]
	s_delay_alu instid0(VALU_DEP_3) | instskip(NEXT) | instid1(VALU_DEP_1)
	v_mul_lo_u32 v2, v66, v3
	v_add3_u32 v55, v4, v55, v2
.LBB10_630:                             ;   Parent Loop BB10_93 Depth=1
                                        ;     Parent Loop BB10_628 Depth=2
                                        ; =>    This Loop Header: Depth=3
                                        ;         Child Loop BB10_639 Depth 4
                                        ;         Child Loop BB10_671 Depth 4
                                        ;         Child Loop BB10_694 Depth 4
                                        ;         Child Loop BB10_719 Depth 4
                                        ;         Child Loop BB10_725 Depth 4
                                        ;           Child Loop BB10_726 Depth 5
                                        ;         Child Loop BB10_737 Depth 4
                                        ;         Child Loop BB10_743 Depth 4
                                        ;           Child Loop BB10_744 Depth 5
                                        ;         Child Loop BB10_758 Depth 4
                                        ;         Child Loop BB10_764 Depth 4
	;; [unrolled: 1-line block ×6, first 2 shown]
	s_and_saveexec_b32 s14, s0
	s_cbranch_execz .LBB10_633
; %bb.631:                              ;   in Loop: Header=BB10_630 Depth=3
	s_cbranch_execnz .LBB10_1236
; %bb.632:                              ;   in Loop: Header=BB10_630 Depth=3
	ds_load_b128 v[2:5], v0
	v_ashrrev_i32_e32 v36, 31, v128
	s_waitcnt lgkmcnt(0)
	v_add_co_u32 v53, vcc_lo, v4, v54
	v_add_co_ci_u32_e32 v64, vcc_lo, v5, v55, vcc_lo
	v_add_co_u32 v2, vcc_lo, v2, v54
	v_add_co_ci_u32_e32 v3, vcc_lo, v3, v55, vcc_lo
	s_delay_alu instid0(VALU_DEP_4) | instskip(NEXT) | instid1(VALU_DEP_4)
	v_add_co_u32 v53, vcc_lo, v53, v128
	v_add_co_ci_u32_e32 v64, vcc_lo, v64, v36, vcc_lo
	v_cmp_ne_u64_e32 vcc_lo, 0, v[4:5]
	v_add_co_u32 v2, s13, v2, v128
	s_delay_alu instid0(VALU_DEP_1) | instskip(NEXT) | instid1(VALU_DEP_4)
	v_add_co_ci_u32_e64 v3, s13, v3, v36, s13
	v_dual_cndmask_b32 v5, 0, v64 :: v_dual_cndmask_b32 v4, 0, v53
	ds_store_b64 v0, v[2:3]
	ds_store_b64 v0, v[4:5]
.LBB10_633:                             ;   in Loop: Header=BB10_630 Depth=3
	s_or_b32 exec_lo, exec_lo, s14
	v_and_b32_e32 v2, 12, v30
	s_mov_b32 s17, -1
	s_mov_b32 s13, exec_lo
	s_delay_alu instid0(VALU_DEP_1)
	v_cmpx_ne_u32_e32 0, v2
	s_cbranch_execz .LBB10_647
; %bb.634:                              ;   in Loop: Header=BB10_630 Depth=3
	v_dual_mov_b32 v5, 1 :: v_dual_and_b32 v4, 8, v30
	s_mov_b32 s14, s15
	s_mov_b32 s15, s16
	s_mov_b32 s16, exec_lo
	s_delay_alu instid0(VALU_DEP_1) | instskip(SKIP_3) | instid1(VALU_DEP_1)
	v_add_co_u32 v64, vcc_lo, v34, v4
	v_add_co_ci_u32_e32 v65, vcc_lo, 0, v35, vcc_lo
	v_add_co_u32 v2, vcc_lo, v14, 2
	v_add_co_ci_u32_e32 v3, vcc_lo, 0, v15, vcc_lo
	v_cmpx_lt_u64_e64 v[64:65], v[2:3]
	s_cbranch_execz .LBB10_646
; %bb.635:                              ;   in Loop: Header=BB10_630 Depth=3
	v_mov_b32_e32 v5, 0
	s_mov_b32 s17, 0
                                        ; implicit-def: $sgpr30
	s_branch .LBB10_639
.LBB10_636:                             ;   in Loop: Header=BB10_639 Depth=4
	s_or_b32 exec_lo, exec_lo, s36
	v_mov_b32_e32 v36, 0
	s_or_not1_b32 s35, s35, exec_lo
.LBB10_637:                             ;   in Loop: Header=BB10_639 Depth=4
	s_or_b32 exec_lo, exec_lo, s34
	s_delay_alu instid0(VALU_DEP_1) | instskip(SKIP_2) | instid1(SALU_CYCLE_1)
	v_mov_b32_e32 v5, v36
	s_and_not1_b32 vcc_lo, s30, exec_lo
	s_and_b32 s30, s35, exec_lo
	s_or_b32 s30, vcc_lo, s30
.LBB10_638:                             ;   in Loop: Header=BB10_639 Depth=4
	s_or_b32 exec_lo, exec_lo, s31
	s_waitcnt vmcnt(0) lgkmcnt(0)
	v_add_co_u32 v64, vcc_lo, v34, v4
	v_add_co_ci_u32_e32 v65, vcc_lo, 0, v35, vcc_lo
	s_xor_b32 s31, s30, -1
	s_delay_alu instid0(VALU_DEP_1) | instskip(SKIP_1) | instid1(SALU_CYCLE_1)
	v_cmp_ge_u64_e32 vcc_lo, v[64:65], v[2:3]
	s_or_b32 vcc_lo, s31, vcc_lo
	s_and_b32 vcc_lo, exec_lo, vcc_lo
	s_delay_alu instid0(SALU_CYCLE_1) | instskip(NEXT) | instid1(SALU_CYCLE_1)
	s_or_b32 s17, vcc_lo, s17
	s_and_not1_b32 exec_lo, exec_lo, s17
	s_cbranch_execz .LBB10_645
.LBB10_639:                             ;   Parent Loop BB10_93 Depth=1
                                        ;     Parent Loop BB10_628 Depth=2
                                        ;       Parent Loop BB10_630 Depth=3
                                        ; =>      This Inner Loop Header: Depth=4
	s_sleep 1
	flat_load_b64 v[34:35], v[24:25] glc
	v_and_b32_e32 v36, 64, v30
	s_and_not1_b32 s30, s30, exec_lo
	s_mov_b32 s31, exec_lo
	s_delay_alu instid0(VALU_DEP_1)
	v_cmpx_eq_u32_e32 0, v36
	s_cbranch_execz .LBB10_638
; %bb.640:                              ;   in Loop: Header=BB10_639 Depth=4
	v_add_nc_u32_e32 v36, 1, v5
	s_mov_b32 s35, -1
	s_mov_b32 s34, exec_lo
	v_cmpx_lt_i32_e32 0x270e, v5
	s_cbranch_execz .LBB10_637
; %bb.641:                              ;   in Loop: Header=BB10_639 Depth=4
	s_cbranch_execnz .LBB10_1262
; %bb.642:                              ;   in Loop: Header=BB10_639 Depth=4
	ds_load_b64 v[64:65], v0
	s_mov_b32 s36, exec_lo
	s_waitcnt vmcnt(0) lgkmcnt(0)
	s_waitcnt_vscnt null, 0x0
	flat_load_b32 v5, v[64:65] glc
	s_waitcnt vmcnt(0) lgkmcnt(0)
	buffer_gl1_inv
	buffer_gl0_inv
	v_cmpx_ne_u32_e32 0, v5
	s_cbranch_execz .LBB10_636
; %bb.643:                              ;   in Loop: Header=BB10_639 Depth=4
	ds_store_b32 v0, v5
	s_cbranch_execnz .LBB10_1315
; %bb.644:                              ;   in Loop: Header=BB10_639 Depth=4
	v_or_b32_e32 v30, 64, v30
	s_xor_b32 s35, exec_lo, -1
	s_branch .LBB10_636
.LBB10_645:                             ;   in Loop: Header=BB10_630 Depth=3
	s_or_b32 exec_lo, exec_lo, s17
	v_and_b32_e32 v5, 12, v30
.LBB10_646:                             ;   in Loop: Header=BB10_630 Depth=3
	s_or_b32 exec_lo, exec_lo, s16
	s_delay_alu instid0(VALU_DEP_1)
	v_cmp_eq_u32_e32 vcc_lo, 0, v5
	s_mov_b32 s16, s15
	s_mov_b32 s15, s14
	;;#ASMSTART
	s_wakeup
	;;#ASMEND
	s_or_not1_b32 s17, vcc_lo, exec_lo
.LBB10_647:                             ;   in Loop: Header=BB10_630 Depth=3
	s_or_b32 exec_lo, exec_lo, s13
	v_sub_nc_u32_e32 v2, v118, v128
	s_xor_b32 s13, s17, -1
	s_delay_alu instid0(VALU_DEP_1)
	v_min_i32_e32 v52, v52, v2
	s_and_saveexec_b32 s14, s13
	s_cbranch_execz .LBB10_662
; %bb.648:                              ;   in Loop: Header=BB10_630 Depth=3
	v_and_b32_e32 v2, 0x108, v30
	s_mov_b32 s13, exec_lo
	s_delay_alu instid0(VALU_DEP_1)
	v_cmpx_ne_u32_e32 0x108, v2
	s_xor_b32 s13, exec_lo, s13
                                        ; implicit-def: $vgpr2_vgpr3
; %bb.649:                              ;   in Loop: Header=BB10_630 Depth=3
	v_and_b32_e32 v2, 7, v14
; %bb.650:                              ;   in Loop: Header=BB10_630 Depth=3
	s_and_not1_saveexec_b32 s13, s13
	s_cbranch_execz .LBB10_652
; %bb.651:                              ;   in Loop: Header=BB10_630 Depth=3
	v_and_b32_e32 v2, 7, v14
	v_ashrrev_i32_e32 v53, 31, v52
	s_delay_alu instid0(VALU_DEP_2)
	v_mad_u64_u32 v[3:4], null, v2, 24, v[12:13]
	flat_store_b64 v[3:4], v[52:53] offset:8
.LBB10_652:                             ;   in Loop: Header=BB10_630 Depth=3
	s_or_b32 exec_lo, exec_lo, s13
	v_and_b32_e32 v3, 0x100, v30
	s_mov_b32 s13, -1
	s_delay_alu instid0(VALU_DEP_1)
	v_cmp_ne_u32_e32 vcc_lo, 0, v3
                                        ; implicit-def: $vgpr3_vgpr4
	s_and_saveexec_b32 s17, vcc_lo
	s_cbranch_execnz .LBB10_655
; %bb.653:                              ;   in Loop: Header=BB10_630 Depth=3
	s_or_b32 exec_lo, exec_lo, s17
	s_and_saveexec_b32 s17, s13
	s_cbranch_execnz .LBB10_658
.LBB10_654:                             ;   in Loop: Header=BB10_630 Depth=3
	s_or_b32 exec_lo, exec_lo, s17
	s_cbranch_execnz .LBB10_1258
	s_branch .LBB10_659
.LBB10_655:                             ;   in Loop: Header=BB10_630 Depth=3
	v_mad_u64_u32 v[64:65], null, v2, 24, v[12:13]
	s_delay_alu instid0(VALU_DEP_1) | instskip(NEXT) | instid1(VALU_DEP_1)
	v_mov_b32_e32 v3, v65
	v_mad_u64_u32 v[4:5], null, v37, 24, v[3:4]
	s_delay_alu instid0(VALU_DEP_1) | instskip(SKIP_4) | instid1(VALU_DEP_1)
	v_mov_b32_e32 v65, v4
	flat_load_b32 v3, v[64:65]
	s_waitcnt vmcnt(0) lgkmcnt(0)
	v_cmp_ne_u32_e32 vcc_lo, 1, v3
	v_cmp_eq_u32_e64 s13, 1, v3
                                        ; implicit-def: $vgpr3_vgpr4
	s_and_saveexec_b32 s30, s13
	s_cbranch_execz .LBB10_657
; %bb.656:                              ;   in Loop: Header=BB10_630 Depth=3
	flat_load_b32 v3, v[64:65] offset:4 glc
	s_waitcnt vmcnt(0) lgkmcnt(0)
	v_ashrrev_i32_e32 v4, 31, v3
.LBB10_657:                             ;   in Loop: Header=BB10_630 Depth=3
	s_or_b32 exec_lo, exec_lo, s30
	s_delay_alu instid0(SALU_CYCLE_1)
	s_or_not1_b32 s13, vcc_lo, exec_lo
	s_or_b32 exec_lo, exec_lo, s17
	s_and_saveexec_b32 s17, s13
	s_cbranch_execz .LBB10_654
.LBB10_658:                             ;   in Loop: Header=BB10_630 Depth=3
	v_mul_lo_u32 v5, v37, v68
	v_mul_lo_u32 v36, v2, v80
	v_mad_u64_u32 v[3:4], null, v2, v68, 0
	s_delay_alu instid0(VALU_DEP_1)
	v_add3_u32 v4, v4, v36, v5
	s_or_b32 exec_lo, exec_lo, s17
	s_cbranch_execnz .LBB10_1258
.LBB10_659:                             ;   in Loop: Header=BB10_630 Depth=3
	s_delay_alu instid0(VALU_DEP_2)
	v_add_co_u32 v2, vcc_lo, v26, v3
	v_and_b32_e32 v5, 0x2000, v30
	v_add_co_ci_u32_e32 v3, vcc_lo, v27, v4, vcc_lo
	s_mov_b32 s13, exec_lo
	ds_store_b64 v0, v[2:3]
	v_cmpx_ne_u32_e32 0, v5
	s_cbranch_execz .LBB10_661
; %bb.660:                              ;   in Loop: Header=BB10_630 Depth=3
	ds_load_b64 v[2:3], v0 offset:584
	s_waitcnt lgkmcnt(0)
	v_add_co_u32 v2, vcc_lo, v2, 1
	v_add_co_ci_u32_e32 v3, vcc_lo, 0, v3, vcc_lo
	ds_store_b64 v0, v[2:3] offset:584
.LBB10_661:                             ;   in Loop: Header=BB10_630 Depth=3
	s_or_b32 exec_lo, exec_lo, s13
	v_add_co_u32 v14, vcc_lo, v14, 2
	v_add_co_ci_u32_e32 v15, vcc_lo, 0, v15, vcc_lo
.LBB10_662:                             ;   in Loop: Header=BB10_630 Depth=3
	v_writelane_b32 v45, s16, 2
	v_writelane_b32 v45, s15, 3
	s_or_b32 exec_lo, exec_lo, s14
	s_and_saveexec_b32 s13, s2
	s_cbranch_execz .LBB10_684
; %bb.663:                              ;   in Loop: Header=BB10_630 Depth=3
	s_and_saveexec_b32 s14, s3
	s_delay_alu instid0(SALU_CYCLE_1)
	s_xor_b32 s14, exec_lo, s14
	s_cbranch_execz .LBB10_681
; %bb.664:                              ;   in Loop: Header=BB10_630 Depth=3
	s_and_saveexec_b32 s15, s1
	s_cbranch_execz .LBB10_680
; %bb.665:                              ;   in Loop: Header=BB10_630 Depth=3
	s_mov_b32 s17, exec_lo
	s_mov_b32 s16, exec_lo
	v_mbcnt_lo_u32_b32 v2, s17, 0
	s_waitcnt lgkmcnt(0)
	s_waitcnt_vscnt null, 0x0
	buffer_gl1_inv
	buffer_gl0_inv
	v_cmpx_eq_u32_e32 0, v2
	s_cbranch_execz .LBB10_667
; %bb.666:                              ;   in Loop: Header=BB10_630 Depth=3
	s_bcnt1_i32_b32 s17, s17
	s_delay_alu instid0(SALU_CYCLE_1)
	v_mov_b32_e32 v36, s17
	ds_add_u64 v0, v[36:37]
	s_cbranch_execnz .LBB10_1361
.LBB10_667:                             ;   in Loop: Header=BB10_630 Depth=3
	s_or_b32 exec_lo, exec_lo, s16
	s_cbranch_execnz .LBB10_1339
; %bb.668:                              ;   in Loop: Header=BB10_630 Depth=3
	ds_load_b64 v[2:3], v0
	v_add_co_u32 v28, vcc_lo, v28, v82
	v_add_co_ci_u32_e32 v29, vcc_lo, 0, v29, vcc_lo
	s_mov_b32 s16, exec_lo
	s_waitcnt lgkmcnt(0)
	s_delay_alu instid0(VALU_DEP_1)
	v_cmpx_lt_u64_e64 v[2:3], v[28:29]
	s_cbranch_execz .LBB10_679
; %bb.669:                              ;   in Loop: Header=BB10_630 Depth=3
	s_mov_b32 s17, 0
	s_mov_b32 s34, 0
                                        ; implicit-def: $sgpr30
                                        ; implicit-def: $sgpr31
	s_branch .LBB10_671
.LBB10_670:                             ;   in Loop: Header=BB10_671 Depth=4
	s_or_b32 exec_lo, exec_lo, s36
	s_delay_alu instid0(SALU_CYCLE_1) | instskip(NEXT) | instid1(SALU_CYCLE_1)
	s_and_b32 vcc_lo, exec_lo, vcc_lo
	s_or_b32 s17, vcc_lo, s17
	s_and_not1_b32 vcc_lo, s30, exec_lo
	s_and_b32 s30, s31, exec_lo
	s_delay_alu instid0(SALU_CYCLE_1)
	s_or_b32 s30, vcc_lo, s30
	s_and_not1_b32 exec_lo, exec_lo, s17
	s_cbranch_execz .LBB10_677
.LBB10_671:                             ;   Parent Loop BB10_93 Depth=1
                                        ;     Parent Loop BB10_628 Depth=2
                                        ;       Parent Loop BB10_630 Depth=3
                                        ; =>      This Inner Loop Header: Depth=4
	s_add_i32 s34, s34, 1
                                        ; implicit-def: $sgpr36
	s_delay_alu instid0(SALU_CYCLE_1) | instskip(SKIP_1) | instid1(SALU_CYCLE_1)
	s_cmpk_lg_i32 s34, 0x2710
	s_cselect_b32 s35, -1, 0
	s_and_b32 vcc_lo, exec_lo, s35
	s_cbranch_vccz .LBB10_675
.LBB10_672:                             ;   in Loop: Header=BB10_671 Depth=4
	s_and_not1_b32 s31, s31, exec_lo
	s_and_b32 s36, s36, exec_lo
	s_mov_b32 vcc_lo, -1
	s_or_b32 s31, s31, s36
	s_and_saveexec_b32 s36, s35
	s_cbranch_execz .LBB10_670
; %bb.673:                              ;   in Loop: Header=BB10_671 Depth=4
	s_sleep 1
	s_cbranch_execnz .LBB10_1415
; %bb.674:                              ;   in Loop: Header=BB10_671 Depth=4
	ds_load_b64 v[2:3], v0
	s_and_not1_b32 s31, s31, exec_lo
	s_waitcnt lgkmcnt(0)
	v_cmp_ge_u64_e32 vcc_lo, v[2:3], v[28:29]
	s_or_not1_b32 vcc_lo, vcc_lo, exec_lo
	s_branch .LBB10_670
.LBB10_675:                             ;   in Loop: Header=BB10_671 Depth=4
	s_cbranch_execnz .LBB10_1439
; %bb.676:                              ;   in Loop: Header=BB10_671 Depth=4
	ds_load_b64 v[2:3], v0
	s_and_not1_b32 s35, s35, exec_lo
	s_mov_b32 s34, 0
	s_mov_b32 s36, -1
	s_waitcnt lgkmcnt(0)
	flat_load_b32 v2, v[2:3] glc
	s_waitcnt vmcnt(0) lgkmcnt(0)
	buffer_gl1_inv
	buffer_gl0_inv
	v_cmp_eq_u32_e32 vcc_lo, 0, v2
	s_and_b32 vcc_lo, vcc_lo, exec_lo
	s_delay_alu instid0(SALU_CYCLE_1)
	s_or_b32 s35, s35, vcc_lo
	s_branch .LBB10_672
.LBB10_677:                             ;   in Loop: Header=BB10_630 Depth=3
	s_or_b32 exec_lo, exec_lo, s17
	s_and_saveexec_b32 s17, s30
	s_delay_alu instid0(SALU_CYCLE_1)
	s_xor_b32 s17, exec_lo, s17
	s_cbranch_execz .LBB10_679
; %bb.678:                              ;   in Loop: Header=BB10_630 Depth=3
	ds_store_b32 v0, v117
	s_cbranch_execnz .LBB10_1582
.LBB10_679:                             ;   in Loop: Header=BB10_630 Depth=3
	s_or_b32 exec_lo, exec_lo, s16
	;;#ASMSTART
	s_wakeup
	;;#ASMEND
.LBB10_680:                             ;   in Loop: Header=BB10_630 Depth=3
	s_or_b32 exec_lo, exec_lo, s15
.LBB10_681:                             ;   in Loop: Header=BB10_630 Depth=3
	s_and_not1_saveexec_b32 s14, s14
	s_cbranch_execz .LBB10_683
; %bb.682:                              ;   in Loop: Header=BB10_630 Depth=3
	s_waitcnt lgkmcnt(0)
	s_waitcnt_vscnt null, 0x0
	buffer_gl1_inv
	buffer_gl0_inv
	s_barrier
.LBB10_683:                             ;   in Loop: Header=BB10_630 Depth=3
	s_or_b32 exec_lo, exec_lo, s14
.LBB10_684:                             ;   in Loop: Header=BB10_630 Depth=3
	s_delay_alu instid0(SALU_CYCLE_1)
	s_or_b32 exec_lo, exec_lo, s13
	s_cbranch_execnz .LBB10_1244
; %bb.685:                              ;   in Loop: Header=BB10_630 Depth=3
	ds_load_b32 v2, v0
	v_and_b32_e32 v3, 0x4000, v30
	s_delay_alu instid0(VALU_DEP_1) | instskip(SKIP_1) | instid1(SALU_CYCLE_1)
	v_cmp_ne_u32_e32 vcc_lo, 0, v3
	s_and_b32 s14, s27, vcc_lo
	s_and_saveexec_b32 s13, s14
	s_cbranch_execz .LBB10_707
; %bb.686:                              ;   in Loop: Header=BB10_630 Depth=3
	s_and_saveexec_b32 s14, s3
	s_delay_alu instid0(SALU_CYCLE_1)
	s_xor_b32 s14, exec_lo, s14
	s_cbranch_execz .LBB10_704
; %bb.687:                              ;   in Loop: Header=BB10_630 Depth=3
	s_and_saveexec_b32 s15, s1
	s_cbranch_execz .LBB10_703
; %bb.688:                              ;   in Loop: Header=BB10_630 Depth=3
	s_mov_b32 s17, exec_lo
	s_mov_b32 s16, exec_lo
	v_mbcnt_lo_u32_b32 v3, s17, 0
	s_waitcnt lgkmcnt(0)
	s_waitcnt_vscnt null, 0x0
	buffer_gl1_inv
	buffer_gl0_inv
	v_cmpx_eq_u32_e32 0, v3
	s_cbranch_execz .LBB10_690
; %bb.689:                              ;   in Loop: Header=BB10_630 Depth=3
	s_bcnt1_i32_b32 s17, s17
	s_delay_alu instid0(SALU_CYCLE_1)
	v_mov_b32_e32 v36, s17
	ds_add_u64 v0, v[36:37]
	s_cbranch_execnz .LBB10_1407
.LBB10_690:                             ;   in Loop: Header=BB10_630 Depth=3
	s_or_b32 exec_lo, exec_lo, s16
	s_cbranch_execnz .LBB10_1381
; %bb.691:                              ;   in Loop: Header=BB10_630 Depth=3
	ds_load_b64 v[3:4], v0
	v_add_co_u32 v28, vcc_lo, v28, v82
	v_add_co_ci_u32_e32 v29, vcc_lo, 0, v29, vcc_lo
	s_mov_b32 s16, exec_lo
	s_waitcnt lgkmcnt(0)
	s_delay_alu instid0(VALU_DEP_1)
	v_cmpx_lt_u64_e64 v[3:4], v[28:29]
	s_cbranch_execz .LBB10_702
; %bb.692:                              ;   in Loop: Header=BB10_630 Depth=3
	s_mov_b32 s17, 0
	s_mov_b32 s34, 0
                                        ; implicit-def: $sgpr30
                                        ; implicit-def: $sgpr31
	s_branch .LBB10_694
.LBB10_693:                             ;   in Loop: Header=BB10_694 Depth=4
	s_or_b32 exec_lo, exec_lo, s36
	s_delay_alu instid0(SALU_CYCLE_1) | instskip(NEXT) | instid1(SALU_CYCLE_1)
	s_and_b32 vcc_lo, exec_lo, vcc_lo
	s_or_b32 s17, vcc_lo, s17
	s_and_not1_b32 vcc_lo, s30, exec_lo
	s_and_b32 s30, s31, exec_lo
	s_delay_alu instid0(SALU_CYCLE_1)
	s_or_b32 s30, vcc_lo, s30
	s_and_not1_b32 exec_lo, exec_lo, s17
	s_cbranch_execz .LBB10_700
.LBB10_694:                             ;   Parent Loop BB10_93 Depth=1
                                        ;     Parent Loop BB10_628 Depth=2
                                        ;       Parent Loop BB10_630 Depth=3
                                        ; =>      This Inner Loop Header: Depth=4
	s_add_i32 s34, s34, 1
                                        ; implicit-def: $sgpr36
	s_delay_alu instid0(SALU_CYCLE_1) | instskip(SKIP_1) | instid1(SALU_CYCLE_1)
	s_cmpk_lg_i32 s34, 0x2710
	s_cselect_b32 s35, -1, 0
	s_and_b32 vcc_lo, exec_lo, s35
	s_cbranch_vccz .LBB10_698
.LBB10_695:                             ;   in Loop: Header=BB10_694 Depth=4
	s_and_not1_b32 s31, s31, exec_lo
	s_and_b32 s36, s36, exec_lo
	s_mov_b32 vcc_lo, -1
	s_or_b32 s31, s31, s36
	s_and_saveexec_b32 s36, s35
	s_cbranch_execz .LBB10_693
; %bb.696:                              ;   in Loop: Header=BB10_694 Depth=4
	s_sleep 1
	s_cbranch_execnz .LBB10_1488
; %bb.697:                              ;   in Loop: Header=BB10_694 Depth=4
	ds_load_b64 v[3:4], v0
	s_and_not1_b32 s31, s31, exec_lo
	s_waitcnt lgkmcnt(0)
	v_cmp_ge_u64_e32 vcc_lo, v[3:4], v[28:29]
	s_or_not1_b32 vcc_lo, vcc_lo, exec_lo
	s_branch .LBB10_693
.LBB10_698:                             ;   in Loop: Header=BB10_694 Depth=4
	s_cbranch_execnz .LBB10_1496
; %bb.699:                              ;   in Loop: Header=BB10_694 Depth=4
	ds_load_b64 v[3:4], v0
	s_and_not1_b32 s35, s35, exec_lo
	s_mov_b32 s34, 0
	s_mov_b32 s36, -1
	s_waitcnt lgkmcnt(0)
	flat_load_b32 v3, v[3:4] glc
	s_waitcnt vmcnt(0) lgkmcnt(0)
	buffer_gl1_inv
	buffer_gl0_inv
	v_cmp_eq_u32_e32 vcc_lo, 0, v3
	s_and_b32 vcc_lo, vcc_lo, exec_lo
	s_delay_alu instid0(SALU_CYCLE_1)
	s_or_b32 s35, s35, vcc_lo
	s_branch .LBB10_695
.LBB10_700:                             ;   in Loop: Header=BB10_630 Depth=3
	s_or_b32 exec_lo, exec_lo, s17
	s_and_saveexec_b32 s17, s30
	s_delay_alu instid0(SALU_CYCLE_1)
	s_xor_b32 s17, exec_lo, s17
	s_cbranch_execz .LBB10_702
; %bb.701:                              ;   in Loop: Header=BB10_630 Depth=3
	ds_store_b32 v0, v117
	s_cbranch_execnz .LBB10_1594
.LBB10_702:                             ;   in Loop: Header=BB10_630 Depth=3
	s_or_b32 exec_lo, exec_lo, s16
	;;#ASMSTART
	s_wakeup
	;;#ASMEND
.LBB10_703:                             ;   in Loop: Header=BB10_630 Depth=3
	s_or_b32 exec_lo, exec_lo, s15
.LBB10_704:                             ;   in Loop: Header=BB10_630 Depth=3
	s_and_not1_saveexec_b32 s14, s14
	s_cbranch_execz .LBB10_706
; %bb.705:                              ;   in Loop: Header=BB10_630 Depth=3
	s_waitcnt lgkmcnt(0)
	s_waitcnt_vscnt null, 0x0
	buffer_gl1_inv
	buffer_gl0_inv
	s_barrier
.LBB10_706:                             ;   in Loop: Header=BB10_630 Depth=3
	s_or_b32 exec_lo, exec_lo, s14
.LBB10_707:                             ;   in Loop: Header=BB10_630 Depth=3
	s_delay_alu instid0(SALU_CYCLE_1)
	s_or_b32 exec_lo, exec_lo, s13
	s_cbranch_execnz .LBB10_1283
; %bb.708:                              ;   in Loop: Header=BB10_630 Depth=3
	ds_load_b64 v[3:4], v0
	v_mov_b32_e32 v53, 0
	s_waitcnt lgkmcnt(0)
	v_cmp_eq_u64_e32 vcc_lo, 0, v[3:4]
	s_or_b32 s13, vcc_lo, vcc_lo
	s_delay_alu instid0(SALU_CYCLE_1)
	s_and_b32 vcc_lo, exec_lo, s13
	s_cbranch_vccnz .LBB10_783
; %bb.709:                              ;   in Loop: Header=BB10_630 Depth=3
	v_cmp_eq_u32_e32 vcc_lo, 0, v2
	s_cbranch_execnz .LBB10_1335
; %bb.710:                              ;   in Loop: Header=BB10_630 Depth=3
	ds_load_b64 v[2:3], v0
	v_cndmask_b32_e32 v53, 0, v52, vcc_lo
	s_waitcnt lgkmcnt(0)
	v_cmp_ne_u64_e64 s13, 0, v[2:3]
	s_delay_alu instid0(VALU_DEP_1)
	s_and_b32 vcc_lo, exec_lo, s13
	s_cbranch_vccz .LBB10_748
; %bb.711:                              ;   in Loop: Header=BB10_630 Depth=3
	s_mov_b32 s13, -1
	s_and_saveexec_b32 s14, s11
	s_cbranch_execz .LBB10_713
; %bb.712:                              ;   in Loop: Header=BB10_630 Depth=3
	ds_load_b32 v2, v0 offset:720
	s_waitcnt lgkmcnt(0)
	v_and_b32_e32 v2, 15, v2
	s_delay_alu instid0(VALU_DEP_1)
	v_cmp_eq_u32_e32 vcc_lo, 0, v2
	s_or_not1_b32 s13, vcc_lo, exec_lo
.LBB10_713:                             ;   in Loop: Header=BB10_630 Depth=3
	s_or_b32 exec_lo, exec_lo, s14
	s_and_saveexec_b32 s14, s5
	s_cbranch_execz .LBB10_715
; %bb.714:                              ;   in Loop: Header=BB10_630 Depth=3
	ds_load_b32 v2, v0 offset:784
	s_waitcnt lgkmcnt(0)
	v_and_b32_e32 v2, 15, v2
	s_delay_alu instid0(VALU_DEP_1) | instskip(SKIP_3) | instid1(SALU_CYCLE_1)
	v_cmp_eq_u32_e32 vcc_lo, 0, v2
	s_and_b32 s15, s13, vcc_lo
	s_and_not1_b32 s13, s13, exec_lo
	s_and_b32 s15, s15, exec_lo
	s_or_b32 s13, s13, s15
.LBB10_715:                             ;   in Loop: Header=BB10_630 Depth=3
	s_or_b32 exec_lo, exec_lo, s14
	s_xor_b32 s13, s13, -1
	v_dual_mov_b32 v36, 0 :: v_dual_mov_b32 v129, v53
	v_cndmask_b32_e64 v2, 0, 1, s13
	;;#ASMSTART
	;;#ASMEND
	s_delay_alu instid0(VALU_DEP_1)
	v_cmp_ne_u32_e32 vcc_lo, 0, v2
	v_mov_b32_e32 v130, v0
	v_mov_b32_e32 v2, v71
	s_mov_b32 s13, -1
	s_cbranch_vccnz .LBB10_733
; %bb.716:                              ;   in Loop: Header=BB10_630 Depth=3
	v_ashrrev_i32_e32 v2, 31, v53
	s_mov_b32 s14, exec_lo
	s_delay_alu instid0(VALU_DEP_1) | instskip(NEXT) | instid1(VALU_DEP_1)
	v_lshrrev_b32_e32 v2, 22, v2
	v_add_nc_u32_e32 v2, v53, v2
	s_delay_alu instid0(VALU_DEP_1) | instskip(NEXT) | instid1(VALU_DEP_1)
	v_ashrrev_i32_e32 v36, 10, v2
	v_sub_nc_u32_e32 v132, v36, v71
	s_delay_alu instid0(VALU_DEP_1)
	v_cmpx_lt_i32_e32 0, v132
	s_cbranch_execz .LBB10_721
; %bb.717:                              ;   in Loop: Header=BB10_630 Depth=3
	s_cbranch_execnz .LBB10_1522
; %bb.718:                              ;   in Loop: Header=BB10_630 Depth=3
	ds_load_b64 v[2:3], v0
	ds_load_b128 v[144:147], v0
	s_mov_b32 s15, 0
	s_waitcnt lgkmcnt(1)
	v_add_co_u32 v2, vcc_lo, v2, v83
	v_add_co_ci_u32_e32 v3, vcc_lo, v3, v85, vcc_lo
	s_waitcnt lgkmcnt(0)
	v_add_co_u32 v4, vcc_lo, v144, v83
	v_add_co_ci_u32_e32 v5, vcc_lo, v145, v85, vcc_lo
	v_add_co_u32 v64, vcc_lo, v146, v83
	v_add_co_ci_u32_e32 v65, vcc_lo, v147, v85, vcc_lo
.LBB10_719:                             ;   Parent Loop BB10_93 Depth=1
                                        ;     Parent Loop BB10_628 Depth=2
                                        ;       Parent Loop BB10_630 Depth=3
                                        ; =>      This Inner Loop Header: Depth=4
	s_clause 0x1
	global_load_b128 v[144:147], v[2:3], off slc dlc
	global_load_b128 v[148:151], v[2:3], off offset:512 slc dlc
	v_sub_nc_u32_e32 v132, v132, v82
	v_add_co_u32 v2, vcc_lo, v2, v96
	v_add_co_ci_u32_e32 v3, vcc_lo, v3, v97, vcc_lo
	s_delay_alu instid0(VALU_DEP_3)
	v_cmp_gt_i32_e32 vcc_lo, 1, v132
	s_waitcnt vmcnt(1)
	global_store_b128 v[4:5], v[144:147], off glc slc dlc
	s_waitcnt vmcnt(0)
	global_store_b128 v[4:5], v[148:151], off offset:512 glc slc dlc
	s_clause 0x1
	global_store_b128 v[64:65], v[144:147], off glc slc dlc
	global_store_b128 v[64:65], v[148:151], off offset:512 glc slc dlc
	v_add_co_u32 v4, s13, v4, v96
	s_delay_alu instid0(VALU_DEP_1) | instskip(SKIP_1) | instid1(VALU_DEP_1)
	v_add_co_ci_u32_e64 v5, s13, v5, v97, s13
	v_add_co_u32 v64, s13, v64, v96
	v_add_co_ci_u32_e64 v65, s13, v65, v97, s13
	s_or_b32 s15, vcc_lo, s15
	s_delay_alu instid0(SALU_CYCLE_1)
	s_and_not1_b32 exec_lo, exec_lo, s15
	s_cbranch_execnz .LBB10_719
; %bb.720:                              ;   in Loop: Header=BB10_630 Depth=3
	s_or_b32 exec_lo, exec_lo, s15
.LBB10_721:                             ;   in Loop: Header=BB10_630 Depth=3
	s_delay_alu instid0(SALU_CYCLE_1) | instskip(SKIP_3) | instid1(VALU_DEP_1)
	s_or_b32 exec_lo, exec_lo, s14
	v_dual_mov_b32 v36, 0 :: v_dual_lshlrev_b32 v131, 10, v36
	s_mov_b32 s13, 0
	s_mov_b32 s16, exec_lo
                                        ; implicit-def: $vgpr129
                                        ; implicit-def: $vgpr130
                                        ; implicit-def: $vgpr2
	v_cmpx_ne_u32_e64 v53, v131
	s_cbranch_execz .LBB10_732
; %bb.722:                              ;   in Loop: Header=BB10_630 Depth=3
	v_lshlrev_b32_e32 v2, 5, v132
	v_sub_nc_u32_e32 v4, v53, v131
	s_mov_b32 s17, exec_lo
	s_delay_alu instid0(VALU_DEP_2) | instskip(NEXT) | instid1(VALU_DEP_2)
	v_sub_nc_u32_e32 v2, v81, v2
	v_ashrrev_i32_e32 v5, 31, v4
	s_delay_alu instid0(VALU_DEP_2) | instskip(NEXT) | instid1(VALU_DEP_2)
	v_ashrrev_i32_e32 v3, 31, v2
	v_lshrrev_b32_e32 v5, 23, v5
	s_delay_alu instid0(VALU_DEP_2) | instskip(NEXT) | instid1(VALU_DEP_2)
	v_lshrrev_b32_e32 v3, 27, v3
	v_add_nc_u32_e32 v5, v4, v5
	s_delay_alu instid0(VALU_DEP_2) | instskip(NEXT) | instid1(VALU_DEP_2)
	v_add_nc_u32_e32 v3, v2, v3
	v_and_b32_e32 v132, 0xfffffe00, v5
	v_ashrrev_i32_e32 v5, 9, v5
	s_delay_alu instid0(VALU_DEP_3) | instskip(NEXT) | instid1(VALU_DEP_3)
	v_and_b32_e32 v36, 0xffffffe0, v3
	v_sub_nc_u32_e32 v134, v4, v132
	v_ashrrev_i32_e32 v3, 5, v3
	s_delay_alu instid0(VALU_DEP_3) | instskip(NEXT) | instid1(VALU_DEP_3)
	v_sub_nc_u32_e32 v133, v2, v36
	v_cmp_lt_i32_e64 s13, 15, v134
	s_delay_alu instid0(VALU_DEP_2) | instskip(NEXT) | instid1(VALU_DEP_2)
	v_lshlrev_b32_e32 v2, 4, v133
	v_add_co_ci_u32_e64 v5, vcc_lo, 0, v5, s13
	s_delay_alu instid0(VALU_DEP_2) | instskip(NEXT) | instid1(VALU_DEP_2)
	v_lshl_add_u32 v2, v3, 9, v2
	v_sub_nc_u32_e32 v135, v5, v3
	s_delay_alu instid0(VALU_DEP_2) | instskip(NEXT) | instid1(VALU_DEP_1)
	v_sub_nc_u32_e32 v36, v4, v2
	v_cmpx_lt_i32_e32 15, v36
	s_cbranch_execz .LBB10_729
; %bb.723:                              ;   in Loop: Header=BB10_630 Depth=3
	s_cbranch_execnz .LBB10_1558
; %bb.724:                              ;   in Loop: Header=BB10_630 Depth=3
	ds_load_b64 v[3:4], v0
	ds_load_b128 v[144:147], v0
	v_add_nc_u32_e32 v2, v2, v131
	s_mov_b32 s30, 0
	s_delay_alu instid0(VALU_DEP_1) | instskip(SKIP_2) | instid1(VALU_DEP_2)
	v_ashrrev_i32_e32 v5, 31, v2
	s_waitcnt lgkmcnt(1)
	v_add_co_u32 v64, vcc_lo, v3, v2
	v_add_co_ci_u32_e32 v65, vcc_lo, v4, v5, vcc_lo
	s_waitcnt lgkmcnt(0)
	v_add_co_u32 v129, vcc_lo, v144, v2
	v_add_co_ci_u32_e32 v130, vcc_lo, v145, v5, vcc_lo
	v_add_co_u32 v144, vcc_lo, v146, v2
	v_add_co_ci_u32_e32 v145, vcc_lo, v147, v5, vcc_lo
.LBB10_725:                             ;   Parent Loop BB10_93 Depth=1
                                        ;     Parent Loop BB10_628 Depth=2
                                        ;       Parent Loop BB10_630 Depth=3
                                        ; =>      This Loop Header: Depth=4
                                        ;           Child Loop BB10_726 Depth 5
	global_load_b128 v[2:5], v[64:65], off slc dlc
	s_mov_b64 s[14:15], 0
	s_mov_b32 s31, -1
.LBB10_726:                             ;   Parent Loop BB10_93 Depth=1
                                        ;     Parent Loop BB10_628 Depth=2
                                        ;       Parent Loop BB10_630 Depth=3
                                        ;         Parent Loop BB10_725 Depth=4
                                        ; =>        This Inner Loop Header: Depth=5
	s_cmp_eq_u32 s14, 0
	v_cndmask_b32_e64 v148, 0, 1, s31
	s_cselect_b32 vcc_lo, -1, 0
	s_cmp_eq_u32 s14, 1
	s_mov_b32 s31, 0
	s_cselect_b32 s14, -1, 0
	s_delay_alu instid0(SALU_CYCLE_1) | instskip(SKIP_1) | instid1(VALU_DEP_2)
	v_cndmask_b32_e64 v146, v129, v144, s14
	v_cndmask_b32_e64 v147, v130, v145, s14
	v_add_co_u32 v149, s15, 0x200, v146
	s_delay_alu instid0(VALU_DEP_1) | instskip(SKIP_1) | instid1(VALU_DEP_3)
	v_add_co_ci_u32_e64 v150, s15, 0, v147, s15
	v_cmp_ne_u32_e64 s15, 1, v148
	v_cndmask_b32_e64 v144, v144, v149, s14
	v_cndmask_b32_e32 v129, v129, v149, vcc_lo
	s_delay_alu instid0(VALU_DEP_4)
	v_cndmask_b32_e64 v145, v145, v150, s14
	v_cndmask_b32_e32 v130, v130, v150, vcc_lo
	s_and_b32 vcc_lo, exec_lo, s15
	s_mov_b64 s[14:15], 1
	s_waitcnt vmcnt(0)
	global_store_b128 v[146:147], v[2:5], off glc slc dlc
	s_cbranch_vccz .LBB10_726
; %bb.727:                              ;   in Loop: Header=BB10_725 Depth=4
	v_add_co_u32 v129, vcc_lo, v129, v86
	v_sub_nc_u32_e32 v36, v36, v84
	v_add_co_ci_u32_e32 v130, vcc_lo, v130, v98, vcc_lo
	v_add_co_u32 v144, vcc_lo, v144, v86
	v_add_co_ci_u32_e32 v145, vcc_lo, v145, v98, vcc_lo
	s_delay_alu instid0(VALU_DEP_4) | instskip(SKIP_1) | instid1(VALU_DEP_1)
	v_cmp_gt_i32_e32 vcc_lo, 16, v36
	v_add_co_u32 v64, s14, v100, v64
	v_add_co_ci_u32_e64 v65, s14, v101, v65, s14
	v_sub_nc_u32_e32 v135, v135, v82
	s_or_b32 s30, vcc_lo, s30
	s_delay_alu instid0(SALU_CYCLE_1)
	s_and_not1_b32 exec_lo, exec_lo, s30
	s_cbranch_execnz .LBB10_725
; %bb.728:                              ;   in Loop: Header=BB10_630 Depth=3
	s_or_b32 exec_lo, exec_lo, s30
.LBB10_729:                             ;   in Loop: Header=BB10_630 Depth=3
	s_delay_alu instid0(SALU_CYCLE_1) | instskip(SKIP_3) | instid1(VALU_DEP_1)
	s_or_b32 exec_lo, exec_lo, s17
	v_dual_mov_b32 v36, 0 :: v_dual_and_b32 v3, 15, v53
	s_mov_b32 s14, 0
	s_mov_b32 s15, exec_lo
                                        ; implicit-def: $vgpr130
                                        ; implicit-def: $vgpr2
	v_cndmask_b32_e64 v129, v134, v3, s13
	s_delay_alu instid0(VALU_DEP_1)
	v_cmpx_ne_u32_e32 0, v129
	s_cbranch_execz .LBB10_731
; %bb.730:                              ;   in Loop: Header=BB10_630 Depth=3
	v_cmp_lt_i32_e32 vcc_lo, 0, v135
	v_sub_nc_u32_e32 v3, v134, v3
	s_mov_b32 s14, exec_lo
	v_cndmask_b32_e32 v2, 0, v82, vcc_lo
	s_delay_alu instid0(VALU_DEP_2) | instskip(NEXT) | instid1(VALU_DEP_2)
	v_cndmask_b32_e64 v3, 0, v3, s13
	v_sub_nc_u32_e32 v2, v2, v135
	s_delay_alu instid0(VALU_DEP_2) | instskip(NEXT) | instid1(VALU_DEP_2)
	v_add3_u32 v36, v132, v131, v3
	v_lshl_add_u32 v130, v2, 5, v133
	s_delay_alu instid0(VALU_DEP_1) | instskip(NEXT) | instid1(VALU_DEP_1)
	v_ashrrev_i32_e32 v2, 31, v130
	v_lshrrev_b32_e32 v2, 27, v2
	s_delay_alu instid0(VALU_DEP_1) | instskip(NEXT) | instid1(VALU_DEP_1)
	v_add_nc_u32_e32 v2, v130, v2
	v_ashrrev_i32_e32 v2, 5, v2
.LBB10_731:                             ;   in Loop: Header=BB10_630 Depth=3
	s_or_b32 exec_lo, exec_lo, s15
	s_delay_alu instid0(SALU_CYCLE_1)
	s_and_b32 s13, s14, exec_lo
.LBB10_732:                             ;   in Loop: Header=BB10_630 Depth=3
	s_or_b32 exec_lo, exec_lo, s16
.LBB10_733:                             ;   in Loop: Header=BB10_630 Depth=3
	s_and_saveexec_b32 s15, s13
	s_cbranch_execz .LBB10_747
; %bb.734:                              ;   in Loop: Header=BB10_630 Depth=3
	v_ashrrev_i32_e32 v3, 31, v129
	s_mov_b32 s14, exec_lo
	s_delay_alu instid0(VALU_DEP_1) | instskip(NEXT) | instid1(VALU_DEP_1)
	v_lshrrev_b32_e32 v3, 23, v3
	v_add_nc_u32_e32 v3, v129, v3
	s_delay_alu instid0(VALU_DEP_1) | instskip(NEXT) | instid1(VALU_DEP_1)
	v_ashrrev_i32_e32 v132, 9, v3
	v_sub_nc_u32_e32 v131, v132, v2
	s_delay_alu instid0(VALU_DEP_1)
	v_cmpx_lt_i32_e32 0, v131
	s_cbranch_execz .LBB10_739
; %bb.735:                              ;   in Loop: Header=BB10_630 Depth=3
	s_cbranch_execnz .LBB10_1514
; %bb.736:                              ;   in Loop: Header=BB10_630 Depth=3
	v_ashrrev_i32_e32 v3, 31, v130
	v_lshlrev_b32_e32 v2, 9, v2
	s_mov_b32 s16, 0
	ds_load_b128 v[144:147], v0
	v_lshrrev_b32_e32 v3, 27, v3
	s_delay_alu instid0(VALU_DEP_1) | instskip(SKIP_2) | instid1(VALU_DEP_1)
	v_add_nc_u32_e32 v5, v130, v3
	ds_load_b64 v[3:4], v0
	v_and_b32_e32 v5, 0xffffffe0, v5
	v_sub_nc_u32_e32 v5, v130, v5
	s_delay_alu instid0(VALU_DEP_1) | instskip(NEXT) | instid1(VALU_DEP_1)
	v_add3_u32 v64, v36, v5, v2
	v_ashrrev_i32_e32 v65, 31, v64
	s_waitcnt lgkmcnt(0)
	v_add_co_u32 v133, vcc_lo, 0x1e0, v3
	v_add_co_ci_u32_e32 v134, vcc_lo, 0, v4, vcc_lo
	v_add_co_u32 v2, vcc_lo, v144, v64
	v_add_co_ci_u32_e32 v3, vcc_lo, v145, v65, vcc_lo
	;; [unrolled: 2-line block ×4, first 2 shown]
.LBB10_737:                             ;   Parent Loop BB10_93 Depth=1
                                        ;     Parent Loop BB10_628 Depth=2
                                        ;       Parent Loop BB10_630 Depth=3
                                        ; =>      This Inner Loop Header: Depth=4
	s_delay_alu instid0(VALU_DEP_2) | instskip(NEXT) | instid1(VALU_DEP_2)
	v_add_co_u32 v133, vcc_lo, 0xfffffe20, v64
	v_add_co_ci_u32_e32 v134, vcc_lo, -1, v65, vcc_lo
	v_add_co_u32 v144, vcc_lo, 0xfffffe40, v64
	v_add_co_ci_u32_e32 v145, vcc_lo, -1, v65, vcc_lo
	;; [unrolled: 2-line block ×15, first 2 shown]
	flat_load_u8 v135, v[64:65] slc dlc
	flat_load_u8 v133, v[133:134] slc dlc
	;; [unrolled: 1-line block ×16, first 2 shown]
	v_sub_nc_u32_e32 v131, v131, v82
	v_add_co_u32 v64, vcc_lo, v64, v100
	v_add_co_ci_u32_e32 v65, vcc_lo, v65, v101, vcc_lo
	s_delay_alu instid0(VALU_DEP_3)
	v_cmp_gt_i32_e32 vcc_lo, 1, v131
	s_waitcnt vmcnt(14) lgkmcnt(14)
	flat_store_b8 v[2:3], v133 glc slc dlc
	s_waitcnt vmcnt(13) lgkmcnt(14)
	flat_store_b8 v[2:3], v134 offset:32 glc slc dlc
	s_waitcnt vmcnt(12) lgkmcnt(14)
	flat_store_b8 v[2:3], v144 offset:64 glc slc dlc
	;; [unrolled: 2-line block ×13, first 2 shown]
	s_waitcnt vmcnt(0) lgkmcnt(14)
	s_clause 0x1
	flat_store_b8 v[2:3], v164 offset:448 glc slc dlc
	flat_store_b8 v[2:3], v135 offset:480 glc slc dlc
	s_clause 0xf
	flat_store_b8 v[4:5], v133 glc slc dlc
	flat_store_b8 v[4:5], v134 offset:32 glc slc dlc
	flat_store_b8 v[4:5], v144 offset:64 glc slc dlc
	;; [unrolled: 1-line block ×15, first 2 shown]
	v_add_co_u32 v2, s13, v2, v100
	s_delay_alu instid0(VALU_DEP_1) | instskip(SKIP_1) | instid1(VALU_DEP_1)
	v_add_co_ci_u32_e64 v3, s13, v3, v101, s13
	v_add_co_u32 v4, s13, v4, v100
	v_add_co_ci_u32_e64 v5, s13, v5, v101, s13
	s_or_b32 s16, vcc_lo, s16
	s_delay_alu instid0(SALU_CYCLE_1)
	s_and_not1_b32 exec_lo, exec_lo, s16
	s_cbranch_execnz .LBB10_737
; %bb.738:                              ;   in Loop: Header=BB10_630 Depth=3
	s_or_b32 exec_lo, exec_lo, s16
.LBB10_739:                             ;   in Loop: Header=BB10_630 Depth=3
	s_delay_alu instid0(SALU_CYCLE_1) | instskip(SKIP_2) | instid1(VALU_DEP_1)
	s_or_b32 exec_lo, exec_lo, s14
	v_lshlrev_b32_e32 v2, 9, v132
	s_mov_b32 s30, exec_lo
	v_cmpx_ne_u32_e64 v129, v2
	s_cbranch_execz .LBB10_746
; %bb.740:                              ;   in Loop: Header=BB10_630 Depth=3
	v_ashrrev_i32_e32 v3, 31, v130
	v_lshlrev_b32_e32 v4, 5, v131
	s_delay_alu instid0(VALU_DEP_2) | instskip(NEXT) | instid1(VALU_DEP_1)
	v_lshrrev_b32_e32 v3, 27, v3
	v_add_nc_u32_e32 v3, v130, v3
	s_delay_alu instid0(VALU_DEP_1) | instskip(NEXT) | instid1(VALU_DEP_1)
	v_and_b32_e32 v3, 0xffffffe0, v3
	v_sub_nc_u32_e32 v3, v130, v3
	s_delay_alu instid0(VALU_DEP_1) | instskip(NEXT) | instid1(VALU_DEP_1)
	v_sub_nc_u32_e32 v3, v3, v4
	v_add_nc_u32_e32 v2, v2, v3
	s_delay_alu instid0(VALU_DEP_1) | instskip(NEXT) | instid1(VALU_DEP_1)
	v_sub_nc_u32_e32 v4, v129, v2
	v_cmp_lt_i32_e32 vcc_lo, 0, v4
	s_and_b32 exec_lo, exec_lo, vcc_lo
	s_cbranch_execz .LBB10_746
; %bb.741:                              ;   in Loop: Header=BB10_630 Depth=3
	s_cbranch_execnz .LBB10_1554
; %bb.742:                              ;   in Loop: Header=BB10_630 Depth=3
	ds_load_b64 v[64:65], v0
	ds_load_b128 v[129:132], v0
	v_add_nc_u32_e32 v133, v2, v36
	s_mov_b32 s31, 0
	s_delay_alu instid0(VALU_DEP_1) | instskip(SKIP_2) | instid1(VALU_DEP_2)
	v_ashrrev_i32_e32 v134, 31, v133
	s_waitcnt lgkmcnt(1)
	v_add_co_u32 v2, vcc_lo, v64, v133
	v_add_co_ci_u32_e32 v3, vcc_lo, v65, v134, vcc_lo
	s_waitcnt lgkmcnt(0)
	v_add_co_u32 v5, vcc_lo, v129, v133
	v_add_co_ci_u32_e32 v36, vcc_lo, v130, v134, vcc_lo
	v_add_co_u32 v64, vcc_lo, v131, v133
	v_add_co_ci_u32_e32 v65, vcc_lo, v132, v134, vcc_lo
	s_set_inst_prefetch_distance 0x1
.LBB10_743:                             ;   Parent Loop BB10_93 Depth=1
                                        ;     Parent Loop BB10_628 Depth=2
                                        ;       Parent Loop BB10_630 Depth=3
                                        ; =>      This Loop Header: Depth=4
                                        ;           Child Loop BB10_744 Depth 5
	flat_load_u8 v129, v[2:3] slc dlc
	s_mov_b64 s[16:17], 0
	s_mov_b32 s34, -1
.LBB10_744:                             ;   Parent Loop BB10_93 Depth=1
                                        ;     Parent Loop BB10_628 Depth=2
                                        ;       Parent Loop BB10_630 Depth=3
                                        ;         Parent Loop BB10_743 Depth=4
                                        ; =>        This Inner Loop Header: Depth=5
	s_cmp_eq_u32 s16, 1
	s_cselect_b32 vcc_lo, -1, 0
	s_cmp_eq_u32 s16, 0
	v_dual_cndmask_b32 v131, v36, v65 :: v_dual_cndmask_b32 v130, v5, v64
	s_mov_b64 s[16:17], 1
	s_delay_alu instid0(VALU_DEP_1) | instskip(NEXT) | instid1(VALU_DEP_1)
	v_add_co_u32 v132, s13, v130, 32
	v_add_co_ci_u32_e64 v133, s13, 0, v131, s13
	s_cselect_b32 s13, -1, 0
	s_and_b32 s14, exec_lo, s34
	s_delay_alu instid0(VALU_DEP_1)
	v_dual_cndmask_b32 v64, v64, v132 :: v_dual_cndmask_b32 v65, v65, v133
	v_cndmask_b32_e64 v36, v36, v133, s13
	v_cndmask_b32_e64 v5, v5, v132, s13
	s_mov_b32 s34, 0
	s_mov_b32 vcc_lo, s14
	s_waitcnt vmcnt(0) lgkmcnt(0)
	flat_store_b8 v[130:131], v129 glc slc dlc
	s_cbranch_vccnz .LBB10_744
; %bb.745:                              ;   in Loop: Header=BB10_743 Depth=4
	v_add_co_u32 v5, vcc_lo, v5, v99
	v_sub_nc_u32_e32 v4, v4, v87
	v_add_co_ci_u32_e32 v36, vcc_lo, v36, v102, vcc_lo
	v_add_co_u32 v64, vcc_lo, v64, v99
	v_add_co_ci_u32_e32 v65, vcc_lo, v65, v102, vcc_lo
	s_delay_alu instid0(VALU_DEP_4) | instskip(SKIP_1) | instid1(VALU_DEP_1)
	v_cmp_gt_i32_e32 vcc_lo, 1, v4
	v_add_co_u32 v2, s13, v112, v2
	v_add_co_ci_u32_e64 v3, s13, v113, v3, s13
	s_or_b32 s31, vcc_lo, s31
	s_delay_alu instid0(SALU_CYCLE_1)
	s_and_not1_b32 exec_lo, exec_lo, s31
	s_cbranch_execnz .LBB10_743
.LBB10_746:                             ;   in Loop: Header=BB10_630 Depth=3
	s_set_inst_prefetch_distance 0x2
	s_or_b32 exec_lo, exec_lo, s30
.LBB10_747:                             ;   in Loop: Header=BB10_630 Depth=3
	s_delay_alu instid0(SALU_CYCLE_1)
	s_or_b32 exec_lo, exec_lo, s15
	s_mov_b32 s13, 0
	s_branch .LBB10_749
.LBB10_748:                             ;   in Loop: Header=BB10_630 Depth=3
	s_mov_b32 s13, -1
.LBB10_749:                             ;   in Loop: Header=BB10_630 Depth=3
	s_delay_alu instid0(SALU_CYCLE_1)
	s_and_b32 vcc_lo, exec_lo, s13
	s_cbranch_vccz .LBB10_783
; %bb.750:                              ;   in Loop: Header=BB10_630 Depth=3
	s_mov_b32 s13, -1
	s_and_saveexec_b32 s14, s11
	s_cbranch_execz .LBB10_752
; %bb.751:                              ;   in Loop: Header=BB10_630 Depth=3
	ds_load_b32 v2, v0 offset:720
	s_waitcnt lgkmcnt(0)
	v_and_b32_e32 v2, 15, v2
	s_delay_alu instid0(VALU_DEP_1)
	v_cmp_eq_u32_e32 vcc_lo, 0, v2
	s_or_not1_b32 s13, vcc_lo, exec_lo
.LBB10_752:                             ;   in Loop: Header=BB10_630 Depth=3
	s_or_b32 exec_lo, exec_lo, s14
	s_and_saveexec_b32 s14, s4
	s_cbranch_execz .LBB10_754
; %bb.753:                              ;   in Loop: Header=BB10_630 Depth=3
	ds_load_b32 v2, v0 offset:784
	s_waitcnt lgkmcnt(0)
	v_and_b32_e32 v2, 15, v2
	s_delay_alu instid0(VALU_DEP_1) | instskip(SKIP_3) | instid1(SALU_CYCLE_1)
	v_cmp_eq_u32_e32 vcc_lo, 0, v2
	s_and_b32 s15, s13, vcc_lo
	s_and_not1_b32 s13, s13, exec_lo
	s_and_b32 s15, s15, exec_lo
	s_or_b32 s13, s13, s15
.LBB10_754:                             ;   in Loop: Header=BB10_630 Depth=3
	s_or_b32 exec_lo, exec_lo, s14
	s_xor_b32 s13, s13, -1
	v_dual_mov_b32 v36, 0 :: v_dual_mov_b32 v65, v0
	v_cndmask_b32_e64 v2, 0, 1, s13
	;;#ASMSTART
	;;#ASMEND
	s_delay_alu instid0(VALU_DEP_1)
	v_cmp_ne_u32_e32 vcc_lo, 0, v2
	v_dual_mov_b32 v64, v53 :: v_dual_mov_b32 v131, v71
	s_mov_b32 s13, -1
	s_cbranch_vccnz .LBB10_770
; %bb.755:                              ;   in Loop: Header=BB10_630 Depth=3
	v_ashrrev_i32_e32 v2, 31, v53
	s_mov_b32 s14, exec_lo
	s_delay_alu instid0(VALU_DEP_1) | instskip(NEXT) | instid1(VALU_DEP_1)
	v_lshrrev_b32_e32 v2, 21, v2
	v_add_nc_u32_e32 v2, v53, v2
	s_delay_alu instid0(VALU_DEP_1) | instskip(NEXT) | instid1(VALU_DEP_1)
	v_ashrrev_i32_e32 v36, 11, v2
	v_sub_nc_u32_e32 v129, v36, v71
	s_delay_alu instid0(VALU_DEP_1)
	v_cmpx_lt_i32_e32 0, v129
	s_cbranch_execz .LBB10_760
; %bb.756:                              ;   in Loop: Header=BB10_630 Depth=3
	s_cbranch_execnz .LBB10_1540
; %bb.757:                              ;   in Loop: Header=BB10_630 Depth=3
	ds_load_b64 v[2:3], v0
	s_mov_b32 s15, 0
	s_waitcnt lgkmcnt(0)
	v_dual_mov_b32 v5, v3 :: v_dual_mov_b32 v4, v2
	s_set_inst_prefetch_distance 0x1
.LBB10_758:                             ;   Parent Loop BB10_93 Depth=1
                                        ;     Parent Loop BB10_628 Depth=2
                                        ;       Parent Loop BB10_630 Depth=3
                                        ; =>      This Inner Loop Header: Depth=4
	s_delay_alu instid0(VALU_DEP_1) | instskip(NEXT) | instid1(VALU_DEP_2)
	v_add_co_u32 v64, vcc_lo, v103, v4
	v_add_co_ci_u32_e32 v65, vcc_lo, v114, v5, vcc_lo
	v_sub_nc_u32_e32 v129, v129, v82
	s_clause 0x3
	global_load_b128 v[130:133], v[64:65], off slc dlc
	global_load_b128 v[144:147], v[64:65], off offset:512 slc dlc
	global_load_b128 v[148:151], v[64:65], off offset:1024 slc dlc
	;; [unrolled: 1-line block ×3, first 2 shown]
	v_add_co_u32 v64, vcc_lo, v103, v2
	v_add_co_ci_u32_e32 v65, vcc_lo, v114, v3, vcc_lo
	v_add_co_u32 v4, vcc_lo, v4, v115
	v_add_co_ci_u32_e32 v5, vcc_lo, v5, v116, vcc_lo
	v_add_co_u32 v2, vcc_lo, v2, v115
	v_cmp_gt_i32_e64 s13, 1, v129
	v_add_co_ci_u32_e32 v3, vcc_lo, v3, v116, vcc_lo
	s_waitcnt vmcnt(3)
	global_store_b128 v[64:65], v[130:133], off glc slc dlc
	s_waitcnt vmcnt(2)
	global_store_b128 v[64:65], v[144:147], off offset:512 glc slc dlc
	s_waitcnt vmcnt(1)
	global_store_b128 v[64:65], v[148:151], off offset:1024 glc slc dlc
	;; [unrolled: 2-line block ×3, first 2 shown]
	s_or_b32 s15, s13, s15
	s_delay_alu instid0(SALU_CYCLE_1)
	s_and_not1_b32 exec_lo, exec_lo, s15
	s_cbranch_execnz .LBB10_758
; %bb.759:                              ;   in Loop: Header=BB10_630 Depth=3
	s_set_inst_prefetch_distance 0x2
	s_or_b32 exec_lo, exec_lo, s15
.LBB10_760:                             ;   in Loop: Header=BB10_630 Depth=3
	s_delay_alu instid0(SALU_CYCLE_1) | instskip(SKIP_4) | instid1(VALU_DEP_2)
	s_or_b32 exec_lo, exec_lo, s14
	v_lshlrev_b32_e32 v4, 11, v36
	v_mov_b32_e32 v36, 0
	s_mov_b32 s13, 0
	s_mov_b32 s15, exec_lo
                                        ; implicit-def: $vgpr64
                                        ; implicit-def: $vgpr65
                                        ; implicit-def: $vgpr131
	v_cmpx_ne_u32_e64 v53, v4
	s_cbranch_execz .LBB10_769
; %bb.761:                              ;   in Loop: Header=BB10_630 Depth=3
	v_lshlrev_b32_e32 v2, 5, v129
	v_sub_nc_u32_e32 v36, v53, v4
	s_mov_b32 s16, exec_lo
	s_delay_alu instid0(VALU_DEP_2) | instskip(NEXT) | instid1(VALU_DEP_2)
	v_sub_nc_u32_e32 v2, v81, v2
	v_ashrrev_i32_e32 v5, 31, v36
	s_delay_alu instid0(VALU_DEP_2) | instskip(NEXT) | instid1(VALU_DEP_2)
	v_ashrrev_i32_e32 v3, 31, v2
	v_lshrrev_b32_e32 v5, 23, v5
	s_delay_alu instid0(VALU_DEP_2) | instskip(NEXT) | instid1(VALU_DEP_2)
	v_lshrrev_b32_e32 v3, 27, v3
	v_add_nc_u32_e32 v65, v36, v5
	s_delay_alu instid0(VALU_DEP_2) | instskip(NEXT) | instid1(VALU_DEP_2)
	v_add_nc_u32_e32 v3, v2, v3
	v_and_b32_e32 v5, 0xfffffe00, v65
	v_ashrrev_i32_e32 v65, 9, v65
	s_delay_alu instid0(VALU_DEP_3) | instskip(NEXT) | instid1(VALU_DEP_3)
	v_and_b32_e32 v64, 0xffffffe0, v3
	v_sub_nc_u32_e32 v130, v36, v5
	s_delay_alu instid0(VALU_DEP_2) | instskip(SKIP_1) | instid1(VALU_DEP_3)
	v_sub_nc_u32_e32 v129, v2, v64
	v_ashrrev_i32_e32 v2, 5, v3
	v_cmp_lt_i32_e32 vcc_lo, 15, v130
	s_delay_alu instid0(VALU_DEP_3) | instskip(NEXT) | instid1(VALU_DEP_1)
	v_lshlrev_b32_e32 v3, 4, v129
	v_lshl_add_u32 v64, v2, 9, v3
	v_add_co_ci_u32_e64 v3, s13, 0, v65, vcc_lo
	s_delay_alu instid0(VALU_DEP_2) | instskip(NEXT) | instid1(VALU_DEP_2)
	v_sub_nc_u32_e32 v36, v36, v64
	v_sub_nc_u32_e32 v132, v3, v2
	s_delay_alu instid0(VALU_DEP_2)
	v_cmpx_lt_i32_e32 15, v36
	s_cbranch_execz .LBB10_766
; %bb.762:                              ;   in Loop: Header=BB10_630 Depth=3
	s_cbranch_execnz .LBB10_1566
; %bb.763:                              ;   in Loop: Header=BB10_630 Depth=3
	ds_load_b64 v[2:3], v0
	v_add_nc_u32_e32 v64, v64, v4
	s_mov_b32 s17, 0
	s_delay_alu instid0(VALU_DEP_1)
	v_ashrrev_i32_e32 v65, 31, v64
.LBB10_764:                             ;   Parent Loop BB10_93 Depth=1
                                        ;     Parent Loop BB10_628 Depth=2
                                        ;       Parent Loop BB10_630 Depth=3
                                        ; =>      This Inner Loop Header: Depth=4
	s_waitcnt lgkmcnt(0)
	v_add_co_u32 v133, s13, v2, v64
	s_delay_alu instid0(VALU_DEP_1)
	v_add_co_ci_u32_e64 v134, s13, v3, v65, s13
	v_sub_nc_u32_e32 v36, v36, v84
	v_add_co_u32 v64, s14, v64, v100
	global_load_b128 v[144:147], v[133:134], off slc dlc
	v_sub_nc_u32_e32 v132, v132, v82
	v_cmp_gt_i32_e64 s13, 16, v36
	v_add_co_ci_u32_e64 v65, s14, v65, v101, s14
	s_delay_alu instid0(VALU_DEP_2)
	s_or_b32 s17, s13, s17
	s_waitcnt vmcnt(0)
	global_store_b128 v[133:134], v[144:147], off glc slc dlc
	s_and_not1_b32 exec_lo, exec_lo, s17
	s_cbranch_execnz .LBB10_764
; %bb.765:                              ;   in Loop: Header=BB10_630 Depth=3
	s_or_b32 exec_lo, exec_lo, s17
.LBB10_766:                             ;   in Loop: Header=BB10_630 Depth=3
	s_delay_alu instid0(SALU_CYCLE_1) | instskip(SKIP_4) | instid1(VALU_DEP_2)
	s_or_b32 exec_lo, exec_lo, s16
	v_and_b32_e32 v2, 15, v53
	v_mov_b32_e32 v36, 0
	s_mov_b32 s14, 0
	s_mov_b32 s16, exec_lo
                                        ; implicit-def: $vgpr65
                                        ; implicit-def: $vgpr131
	v_cndmask_b32_e32 v64, v130, v2, vcc_lo
	s_delay_alu instid0(VALU_DEP_1)
	v_cmpx_ne_u32_e32 0, v64
; %bb.767:                              ;   in Loop: Header=BB10_630 Depth=3
	v_cmp_lt_i32_e64 s13, 0, v132
	v_sub_nc_u32_e32 v2, v130, v2
	s_mov_b32 s14, exec_lo
	s_delay_alu instid0(VALU_DEP_2) | instskip(NEXT) | instid1(VALU_DEP_1)
	v_cndmask_b32_e64 v3, 0, v82, s13
	v_sub_nc_u32_e32 v3, v3, v132
	s_delay_alu instid0(VALU_DEP_1) | instskip(NEXT) | instid1(VALU_DEP_1)
	v_lshl_add_u32 v65, v3, 5, v129
	v_ashrrev_i32_e32 v3, 31, v65
	s_delay_alu instid0(VALU_DEP_1) | instskip(NEXT) | instid1(VALU_DEP_1)
	v_lshrrev_b32_e32 v3, 27, v3
	v_dual_cndmask_b32 v2, 0, v2 :: v_dual_add_nc_u32 v3, v65, v3
	s_delay_alu instid0(VALU_DEP_1) | instskip(NEXT) | instid1(VALU_DEP_2)
	v_add3_u32 v36, v5, v4, v2
	v_ashrrev_i32_e32 v131, 5, v3
; %bb.768:                              ;   in Loop: Header=BB10_630 Depth=3
	s_or_b32 exec_lo, exec_lo, s16
	s_delay_alu instid0(SALU_CYCLE_1)
	s_and_b32 s13, s14, exec_lo
.LBB10_769:                             ;   in Loop: Header=BB10_630 Depth=3
	s_or_b32 exec_lo, exec_lo, s15
.LBB10_770:                             ;   in Loop: Header=BB10_630 Depth=3
	s_and_saveexec_b32 s14, s13
	s_cbranch_execz .LBB10_782
; %bb.771:                              ;   in Loop: Header=BB10_630 Depth=3
	v_ashrrev_i32_e32 v2, 31, v64
	s_mov_b32 s13, exec_lo
	s_delay_alu instid0(VALU_DEP_1) | instskip(NEXT) | instid1(VALU_DEP_1)
	v_lshrrev_b32_e32 v2, 23, v2
	v_add_nc_u32_e32 v2, v64, v2
	s_delay_alu instid0(VALU_DEP_1) | instskip(NEXT) | instid1(VALU_DEP_1)
	v_ashrrev_i32_e32 v130, 9, v2
	v_sub_nc_u32_e32 v129, v130, v131
	s_delay_alu instid0(VALU_DEP_1)
	v_cmpx_lt_i32_e32 0, v129
	s_cbranch_execz .LBB10_776
; %bb.772:                              ;   in Loop: Header=BB10_630 Depth=3
	s_cbranch_execnz .LBB10_1530
; %bb.773:                              ;   in Loop: Header=BB10_630 Depth=3
	v_ashrrev_i32_e32 v2, 31, v65
	s_mov_b32 s15, 0
	s_delay_alu instid0(VALU_DEP_1) | instskip(NEXT) | instid1(VALU_DEP_1)
	v_lshrrev_b32_e32 v2, 27, v2
	v_add_nc_u32_e32 v4, v65, v2
	ds_load_b64 v[2:3], v0
	v_lshlrev_b32_e32 v5, 9, v131
	v_and_b32_e32 v4, 0xffffffe0, v4
	s_delay_alu instid0(VALU_DEP_1) | instskip(NEXT) | instid1(VALU_DEP_1)
	v_sub_nc_u32_e32 v4, v65, v4
	v_add3_u32 v131, v36, v4, v5
	s_delay_alu instid0(VALU_DEP_1)
	v_ashrrev_i32_e32 v132, 31, v131
	s_waitcnt lgkmcnt(0)
	v_dual_mov_b32 v5, v3 :: v_dual_mov_b32 v4, v2
.LBB10_774:                             ;   Parent Loop BB10_93 Depth=1
                                        ;     Parent Loop BB10_628 Depth=2
                                        ;       Parent Loop BB10_630 Depth=3
                                        ; =>      This Inner Loop Header: Depth=4
	s_delay_alu instid0(VALU_DEP_1) | instskip(NEXT) | instid1(VALU_DEP_2)
	v_add_co_u32 v133, vcc_lo, v131, v4
	v_add_co_ci_u32_e32 v134, vcc_lo, v132, v5, vcc_lo
	v_sub_nc_u32_e32 v129, v129, v82
	s_clause 0xf
	flat_load_u8 v135, v[133:134] slc dlc
	flat_load_u8 v144, v[133:134] offset:32 slc dlc
	flat_load_u8 v145, v[133:134] offset:64 slc dlc
	;; [unrolled: 1-line block ×15, first 2 shown]
	v_add_co_u32 v133, vcc_lo, v131, v2
	v_add_co_ci_u32_e32 v134, vcc_lo, v132, v3, vcc_lo
	v_add_co_u32 v4, vcc_lo, v4, v100
	v_add_co_ci_u32_e32 v5, vcc_lo, v5, v101, vcc_lo
	;; [unrolled: 2-line block ×3, first 2 shown]
	v_cmp_gt_i32_e32 vcc_lo, 1, v129
	s_waitcnt vmcnt(15) lgkmcnt(15)
	flat_store_b8 v[133:134], v135 glc slc dlc
	s_waitcnt vmcnt(14) lgkmcnt(15)
	flat_store_b8 v[133:134], v144 offset:32 glc slc dlc
	s_waitcnt vmcnt(13) lgkmcnt(15)
	flat_store_b8 v[133:134], v145 offset:64 glc slc dlc
	;; [unrolled: 2-line block ×15, first 2 shown]
	s_or_b32 s15, vcc_lo, s15
	s_delay_alu instid0(SALU_CYCLE_1)
	s_and_not1_b32 exec_lo, exec_lo, s15
	s_cbranch_execnz .LBB10_774
; %bb.775:                              ;   in Loop: Header=BB10_630 Depth=3
	s_or_b32 exec_lo, exec_lo, s15
.LBB10_776:                             ;   in Loop: Header=BB10_630 Depth=3
	s_delay_alu instid0(SALU_CYCLE_1) | instskip(SKIP_2) | instid1(VALU_DEP_1)
	s_or_b32 exec_lo, exec_lo, s13
	v_lshlrev_b32_e32 v2, 9, v130
	s_mov_b32 s15, exec_lo
	v_cmpx_ne_u32_e64 v64, v2
	s_cbranch_execz .LBB10_781
; %bb.777:                              ;   in Loop: Header=BB10_630 Depth=3
	v_ashrrev_i32_e32 v3, 31, v65
	v_lshlrev_b32_e32 v4, 5, v129
	s_delay_alu instid0(VALU_DEP_2) | instskip(NEXT) | instid1(VALU_DEP_1)
	v_lshrrev_b32_e32 v3, 27, v3
	v_add_nc_u32_e32 v3, v65, v3
	s_delay_alu instid0(VALU_DEP_1) | instskip(NEXT) | instid1(VALU_DEP_1)
	v_and_b32_e32 v3, 0xffffffe0, v3
	v_sub_nc_u32_e32 v3, v65, v3
	s_delay_alu instid0(VALU_DEP_1) | instskip(NEXT) | instid1(VALU_DEP_1)
	v_sub_nc_u32_e32 v3, v3, v4
	v_add_nc_u32_e32 v5, v2, v3
	s_delay_alu instid0(VALU_DEP_1) | instskip(NEXT) | instid1(VALU_DEP_1)
	v_sub_nc_u32_e32 v4, v64, v5
	v_cmp_lt_i32_e32 vcc_lo, 0, v4
	s_and_b32 exec_lo, exec_lo, vcc_lo
	s_cbranch_execz .LBB10_781
; %bb.778:                              ;   in Loop: Header=BB10_630 Depth=3
	s_cbranch_execnz .LBB10_1562
; %bb.779:                              ;   in Loop: Header=BB10_630 Depth=3
	ds_load_b64 v[2:3], v0
	v_add_nc_u32_e32 v5, v5, v36
	s_mov_b32 s16, 0
	s_delay_alu instid0(VALU_DEP_1)
	v_ashrrev_i32_e32 v36, 31, v5
.LBB10_780:                             ;   Parent Loop BB10_93 Depth=1
                                        ;     Parent Loop BB10_628 Depth=2
                                        ;       Parent Loop BB10_630 Depth=3
                                        ; =>      This Inner Loop Header: Depth=4
	s_waitcnt lgkmcnt(0)
	v_add_co_u32 v64, vcc_lo, v2, v5
	s_delay_alu instid0(VALU_DEP_2)
	v_add_co_ci_u32_e32 v65, vcc_lo, v3, v36, vcc_lo
	v_sub_nc_u32_e32 v4, v4, v87
	v_add_co_u32 v5, s13, v5, v112
	flat_load_u8 v129, v[64:65] slc dlc
	v_add_co_ci_u32_e64 v36, s13, v36, v113, s13
	v_cmp_gt_i32_e32 vcc_lo, 1, v4
	s_or_b32 s16, vcc_lo, s16
	s_waitcnt vmcnt(0) lgkmcnt(0)
	flat_store_b8 v[64:65], v129 glc slc dlc
	s_and_not1_b32 exec_lo, exec_lo, s16
	s_cbranch_execnz .LBB10_780
.LBB10_781:                             ;   in Loop: Header=BB10_630 Depth=3
	s_or_b32 exec_lo, exec_lo, s15
.LBB10_782:                             ;   in Loop: Header=BB10_630 Depth=3
	s_delay_alu instid0(SALU_CYCLE_1)
	s_or_b32 exec_lo, exec_lo, s14
.LBB10_783:                             ;   in Loop: Header=BB10_630 Depth=3
	s_and_saveexec_b32 s13, s2
	s_cbranch_execz .LBB10_805
; %bb.784:                              ;   in Loop: Header=BB10_630 Depth=3
	s_and_saveexec_b32 s14, s3
	s_delay_alu instid0(SALU_CYCLE_1)
	s_xor_b32 s14, exec_lo, s14
	s_cbranch_execz .LBB10_802
; %bb.785:                              ;   in Loop: Header=BB10_630 Depth=3
	s_and_saveexec_b32 s15, s1
	s_cbranch_execz .LBB10_801
; %bb.786:                              ;   in Loop: Header=BB10_630 Depth=3
	s_mov_b32 s17, exec_lo
	s_mov_b32 s16, exec_lo
	v_mbcnt_lo_u32_b32 v2, s17, 0
	s_waitcnt lgkmcnt(0)
	s_waitcnt_vscnt null, 0x0
	buffer_gl1_inv
	buffer_gl0_inv
	v_cmpx_eq_u32_e32 0, v2
	s_cbranch_execz .LBB10_788
; %bb.787:                              ;   in Loop: Header=BB10_630 Depth=3
	s_bcnt1_i32_b32 s17, s17
	s_delay_alu instid0(SALU_CYCLE_1)
	v_mov_b32_e32 v36, s17
	ds_add_u64 v0, v[36:37]
	s_cbranch_execnz .LBB10_1502
.LBB10_788:                             ;   in Loop: Header=BB10_630 Depth=3
	s_or_b32 exec_lo, exec_lo, s16
	s_cbranch_execnz .LBB10_1476
; %bb.789:                              ;   in Loop: Header=BB10_630 Depth=3
	ds_load_b64 v[2:3], v0
	v_add_co_u32 v28, vcc_lo, v28, v82
	v_add_co_ci_u32_e32 v29, vcc_lo, 0, v29, vcc_lo
	s_mov_b32 s16, exec_lo
	s_waitcnt lgkmcnt(0)
	s_delay_alu instid0(VALU_DEP_1)
	v_cmpx_lt_u64_e64 v[2:3], v[28:29]
	s_cbranch_execz .LBB10_800
; %bb.790:                              ;   in Loop: Header=BB10_630 Depth=3
	s_mov_b32 s17, 0
	s_mov_b32 s34, 0
                                        ; implicit-def: $sgpr30
                                        ; implicit-def: $sgpr31
	s_branch .LBB10_792
.LBB10_791:                             ;   in Loop: Header=BB10_792 Depth=4
	s_or_b32 exec_lo, exec_lo, s36
	s_delay_alu instid0(SALU_CYCLE_1) | instskip(NEXT) | instid1(SALU_CYCLE_1)
	s_and_b32 vcc_lo, exec_lo, vcc_lo
	s_or_b32 s17, vcc_lo, s17
	s_and_not1_b32 vcc_lo, s30, exec_lo
	s_and_b32 s30, s31, exec_lo
	s_delay_alu instid0(SALU_CYCLE_1)
	s_or_b32 s30, vcc_lo, s30
	s_and_not1_b32 exec_lo, exec_lo, s17
	s_cbranch_execz .LBB10_798
.LBB10_792:                             ;   Parent Loop BB10_93 Depth=1
                                        ;     Parent Loop BB10_628 Depth=2
                                        ;       Parent Loop BB10_630 Depth=3
                                        ; =>      This Inner Loop Header: Depth=4
	s_add_i32 s34, s34, 1
                                        ; implicit-def: $sgpr36
	s_delay_alu instid0(SALU_CYCLE_1) | instskip(SKIP_1) | instid1(SALU_CYCLE_1)
	s_cmpk_lg_i32 s34, 0x2710
	s_cselect_b32 s35, -1, 0
	s_and_b32 vcc_lo, exec_lo, s35
	s_cbranch_vccz .LBB10_796
.LBB10_793:                             ;   in Loop: Header=BB10_792 Depth=4
	s_and_not1_b32 s31, s31, exec_lo
	s_and_b32 s36, s36, exec_lo
	s_mov_b32 vcc_lo, -1
	s_or_b32 s31, s31, s36
	s_and_saveexec_b32 s36, s35
	s_cbranch_execz .LBB10_791
; %bb.794:                              ;   in Loop: Header=BB10_792 Depth=4
	s_sleep 1
	s_cbranch_execnz .LBB10_1546
; %bb.795:                              ;   in Loop: Header=BB10_792 Depth=4
	ds_load_b64 v[2:3], v0
	s_and_not1_b32 s31, s31, exec_lo
	s_waitcnt lgkmcnt(0)
	v_cmp_ge_u64_e32 vcc_lo, v[2:3], v[28:29]
	s_or_not1_b32 vcc_lo, vcc_lo, exec_lo
	s_branch .LBB10_791
.LBB10_796:                             ;   in Loop: Header=BB10_792 Depth=4
	s_cbranch_execnz .LBB10_1552
; %bb.797:                              ;   in Loop: Header=BB10_792 Depth=4
	ds_load_b64 v[2:3], v0
	s_and_not1_b32 s35, s35, exec_lo
	s_mov_b32 s34, 0
	s_mov_b32 s36, -1
	s_waitcnt lgkmcnt(0)
	flat_load_b32 v2, v[2:3] glc
	s_waitcnt vmcnt(0) lgkmcnt(0)
	buffer_gl1_inv
	buffer_gl0_inv
	v_cmp_eq_u32_e32 vcc_lo, 0, v2
	s_and_b32 vcc_lo, vcc_lo, exec_lo
	s_delay_alu instid0(SALU_CYCLE_1)
	s_or_b32 s35, s35, vcc_lo
	s_branch .LBB10_793
.LBB10_798:                             ;   in Loop: Header=BB10_630 Depth=3
	s_or_b32 exec_lo, exec_lo, s17
	s_and_saveexec_b32 s17, s30
	s_delay_alu instid0(SALU_CYCLE_1)
	s_xor_b32 s17, exec_lo, s17
	s_cbranch_execz .LBB10_800
; %bb.799:                              ;   in Loop: Header=BB10_630 Depth=3
	ds_store_b32 v0, v117
	s_cbranch_execnz .LBB10_1608
.LBB10_800:                             ;   in Loop: Header=BB10_630 Depth=3
	s_or_b32 exec_lo, exec_lo, s16
	;;#ASMSTART
	s_wakeup
	;;#ASMEND
.LBB10_801:                             ;   in Loop: Header=BB10_630 Depth=3
	s_or_b32 exec_lo, exec_lo, s15
.LBB10_802:                             ;   in Loop: Header=BB10_630 Depth=3
	s_and_not1_saveexec_b32 s14, s14
	s_cbranch_execz .LBB10_804
; %bb.803:                              ;   in Loop: Header=BB10_630 Depth=3
	s_waitcnt lgkmcnt(0)
	s_waitcnt_vscnt null, 0x0
	buffer_gl1_inv
	buffer_gl0_inv
	s_barrier
.LBB10_804:                             ;   in Loop: Header=BB10_630 Depth=3
	s_or_b32 exec_lo, exec_lo, s14
.LBB10_805:                             ;   in Loop: Header=BB10_630 Depth=3
	s_delay_alu instid0(SALU_CYCLE_1) | instskip(SKIP_1) | instid1(SALU_CYCLE_1)
	s_or_b32 exec_lo, exec_lo, s13
                                        ; implicit-def: $vgpr2
	s_and_saveexec_b32 s13, s6
	s_xor_b32 s14, exec_lo, s13
	s_cbranch_execz .LBB10_809
; %bb.806:                              ;   in Loop: Header=BB10_630 Depth=3
	v_and_b32_e32 v2, 16, v30
	v_cmp_lt_i32_e32 vcc_lo, 0, v53
	s_delay_alu instid0(VALU_DEP_2) | instskip(SKIP_1) | instid1(VALU_DEP_2)
	v_cmp_ne_u32_e64 s13, 0, v2
	v_and_b32_e32 v2, 16, v30
	s_and_b32 s15, s13, vcc_lo
	s_delay_alu instid0(SALU_CYCLE_1)
	s_and_saveexec_b32 s13, s15
	s_cbranch_execz .LBB10_808
; %bb.807:                              ;   in Loop: Header=BB10_630 Depth=3
	v_mov_b32_e32 v2, 1
	s_waitcnt lgkmcnt(0)
	s_waitcnt_vscnt null, 0x0
	buffer_gl1_inv
	buffer_gl0_inv
.LBB10_808:                             ;   in Loop: Header=BB10_630 Depth=3
	s_or_b32 exec_lo, exec_lo, s13
.LBB10_809:                             ;   in Loop: Header=BB10_630 Depth=3
	s_and_not1_saveexec_b32 s13, s14
	s_cbranch_execz .LBB10_831
; %bb.810:                              ;   in Loop: Header=BB10_630 Depth=3
	s_and_saveexec_b32 s14, s3
	s_delay_alu instid0(SALU_CYCLE_1)
	s_xor_b32 s14, exec_lo, s14
	s_cbranch_execz .LBB10_828
; %bb.811:                              ;   in Loop: Header=BB10_630 Depth=3
	s_and_saveexec_b32 s15, s1
	s_cbranch_execz .LBB10_827
; %bb.812:                              ;   in Loop: Header=BB10_630 Depth=3
	s_mov_b32 s17, exec_lo
	s_mov_b32 s16, exec_lo
	v_mbcnt_lo_u32_b32 v2, s17, 0
	;;#ASMSTART
	s_waitcnt lgkmcnt(0) vmcnt(0)
	;;#ASMEND
	s_delay_alu instid0(VALU_DEP_1)
	v_cmpx_eq_u32_e32 0, v2
	s_cbranch_execz .LBB10_814
; %bb.813:                              ;   in Loop: Header=BB10_630 Depth=3
	s_bcnt1_i32_b32 s17, s17
	s_delay_alu instid0(SALU_CYCLE_1)
	v_mov_b32_e32 v36, s17
	ds_add_u64 v0, v[36:37]
	s_cbranch_execnz .LBB10_1506
.LBB10_814:                             ;   in Loop: Header=BB10_630 Depth=3
	s_or_b32 exec_lo, exec_lo, s16
	s_cbranch_execnz .LBB10_1484
; %bb.815:                              ;   in Loop: Header=BB10_630 Depth=3
	ds_load_b64 v[2:3], v0
	v_add_co_u32 v28, vcc_lo, v28, v82
	v_add_co_ci_u32_e32 v29, vcc_lo, 0, v29, vcc_lo
	s_mov_b32 s16, exec_lo
	s_waitcnt lgkmcnt(0)
	s_delay_alu instid0(VALU_DEP_1)
	v_cmpx_lt_u64_e64 v[2:3], v[28:29]
	s_cbranch_execz .LBB10_826
; %bb.816:                              ;   in Loop: Header=BB10_630 Depth=3
	s_mov_b32 s17, 0
	s_mov_b32 s34, 0
                                        ; implicit-def: $sgpr30
                                        ; implicit-def: $sgpr31
	s_branch .LBB10_818
.LBB10_817:                             ;   in Loop: Header=BB10_818 Depth=4
	s_or_b32 exec_lo, exec_lo, s36
	s_delay_alu instid0(SALU_CYCLE_1) | instskip(NEXT) | instid1(SALU_CYCLE_1)
	s_and_b32 vcc_lo, exec_lo, vcc_lo
	s_or_b32 s17, vcc_lo, s17
	s_and_not1_b32 vcc_lo, s30, exec_lo
	s_and_b32 s30, s31, exec_lo
	s_delay_alu instid0(SALU_CYCLE_1)
	s_or_b32 s30, vcc_lo, s30
	s_and_not1_b32 exec_lo, exec_lo, s17
	s_cbranch_execz .LBB10_824
.LBB10_818:                             ;   Parent Loop BB10_93 Depth=1
                                        ;     Parent Loop BB10_628 Depth=2
                                        ;       Parent Loop BB10_630 Depth=3
                                        ; =>      This Inner Loop Header: Depth=4
	s_add_i32 s34, s34, 1
                                        ; implicit-def: $sgpr36
	s_delay_alu instid0(SALU_CYCLE_1) | instskip(SKIP_1) | instid1(SALU_CYCLE_1)
	s_cmpk_lg_i32 s34, 0x2710
	s_cselect_b32 s35, -1, 0
	s_and_b32 vcc_lo, exec_lo, s35
	s_cbranch_vccz .LBB10_822
.LBB10_819:                             ;   in Loop: Header=BB10_818 Depth=4
	s_and_not1_b32 s31, s31, exec_lo
	s_and_b32 s36, s36, exec_lo
	s_mov_b32 vcc_lo, -1
	s_or_b32 s31, s31, s36
	s_and_saveexec_b32 s36, s35
	s_cbranch_execz .LBB10_817
; %bb.820:                              ;   in Loop: Header=BB10_818 Depth=4
	s_sleep 1
	s_cbranch_execnz .LBB10_1550
; %bb.821:                              ;   in Loop: Header=BB10_818 Depth=4
	ds_load_b64 v[2:3], v0
	s_and_not1_b32 s31, s31, exec_lo
	s_waitcnt lgkmcnt(0)
	v_cmp_ge_u64_e32 vcc_lo, v[2:3], v[28:29]
	s_or_not1_b32 vcc_lo, vcc_lo, exec_lo
	s_branch .LBB10_817
.LBB10_822:                             ;   in Loop: Header=BB10_818 Depth=4
	s_cbranch_execnz .LBB10_1556
; %bb.823:                              ;   in Loop: Header=BB10_818 Depth=4
	ds_load_b64 v[2:3], v0
	s_and_not1_b32 s35, s35, exec_lo
	s_mov_b32 s34, 0
	s_mov_b32 s36, -1
	s_waitcnt lgkmcnt(0)
	s_waitcnt_vscnt null, 0x0
	flat_load_b32 v2, v[2:3] glc
	s_waitcnt vmcnt(0) lgkmcnt(0)
	buffer_gl1_inv
	buffer_gl0_inv
	v_cmp_eq_u32_e32 vcc_lo, 0, v2
	s_and_b32 vcc_lo, vcc_lo, exec_lo
	s_delay_alu instid0(SALU_CYCLE_1)
	s_or_b32 s35, s35, vcc_lo
	s_branch .LBB10_819
.LBB10_824:                             ;   in Loop: Header=BB10_630 Depth=3
	s_or_b32 exec_lo, exec_lo, s17
	s_and_saveexec_b32 s17, s30
	s_delay_alu instid0(SALU_CYCLE_1)
	s_xor_b32 s17, exec_lo, s17
	s_cbranch_execz .LBB10_826
; %bb.825:                              ;   in Loop: Header=BB10_630 Depth=3
	ds_store_b32 v0, v117
	s_cbranch_execnz .LBB10_1610
.LBB10_826:                             ;   in Loop: Header=BB10_630 Depth=3
	s_or_b32 exec_lo, exec_lo, s16
	;;#ASMSTART
	s_wakeup
	;;#ASMEND
.LBB10_827:                             ;   in Loop: Header=BB10_630 Depth=3
	s_or_b32 exec_lo, exec_lo, s15
.LBB10_828:                             ;   in Loop: Header=BB10_630 Depth=3
	s_and_not1_saveexec_b32 s14, s14
	s_cbranch_execz .LBB10_830
; %bb.829:                              ;   in Loop: Header=BB10_630 Depth=3
	;;#ASMSTART
	s_waitcnt lgkmcnt(0) vmcnt(0)
	;;#ASMEND
	s_waitcnt lgkmcnt(0)
	s_waitcnt_vscnt null, 0x0
	s_barrier
.LBB10_830:                             ;   in Loop: Header=BB10_630 Depth=3
	s_or_b32 exec_lo, exec_lo, s14
	v_and_b32_e32 v2, 16, v30
.LBB10_831:                             ;   in Loop: Header=BB10_630 Depth=3
	s_or_b32 exec_lo, exec_lo, s13
	s_delay_alu instid0(VALU_DEP_1) | instskip(SKIP_1) | instid1(SALU_CYCLE_1)
	v_cmp_ne_u32_e32 vcc_lo, 0, v2
	s_xor_b32 s13, s7, -1
	s_and_b32 s14, vcc_lo, s13
	s_delay_alu instid0(SALU_CYCLE_1)
	s_and_saveexec_b32 s13, s14
	s_cbranch_execz .LBB10_833
; %bb.832:                              ;   in Loop: Header=BB10_630 Depth=3
	s_waitcnt lgkmcnt(0)
	s_waitcnt_vscnt null, 0x0
	flat_store_b32 v[32:33], v117
.LBB10_833:                             ;   in Loop: Header=BB10_630 Depth=3
	s_or_b32 exec_lo, exec_lo, s13
	v_and_b32_e32 v2, 48, v30
	s_mov_b32 s13, exec_lo
	s_delay_alu instid0(VALU_DEP_1)
	v_cmpx_ne_u32_e32 0, v2
	s_cbranch_execz .LBB10_835
; %bb.834:                              ;   in Loop: Header=BB10_630 Depth=3
	v_add_co_u32 v14, vcc_lo, v14, 2
	v_add_co_ci_u32_e32 v15, vcc_lo, 0, v15, vcc_lo
	s_waitcnt lgkmcnt(0)
	s_waitcnt_vscnt null, 0x0
	flat_store_b64 v[24:25], v[14:15]
.LBB10_835:                             ;   in Loop: Header=BB10_630 Depth=3
	s_or_b32 exec_lo, exec_lo, s13
	v_add_nc_u32_e32 v128, v52, v128
	v_readlane_b32 s13, v45, 2
	s_mov_b32 s16, 0
	s_mov_b32 s15, 2
	s_delay_alu instid0(VALU_DEP_2) | instskip(NEXT) | instid1(VALU_DEP_2)
	v_cmp_ge_i32_e32 vcc_lo, v128, v118
	s_xor_b32 s13, s13, -1
	s_delay_alu instid0(SALU_CYCLE_1) | instskip(NEXT) | instid1(SALU_CYCLE_1)
	s_or_b32 s13, s13, vcc_lo
	s_and_b32 s14, exec_lo, s13
	v_readlane_b32 s13, v45, 3
	s_or_b32 vcc_hi, s14, vcc_hi
	s_delay_alu instid0(VALU_DEP_1)
	v_mov_b32_e32 v2, s13
	s_and_not1_b32 exec_lo, exec_lo, vcc_hi
	s_cbranch_execnz .LBB10_630
; %bb.836:                              ;   in Loop: Header=BB10_628 Depth=2
	s_or_b32 exec_lo, exec_lo, vcc_hi
.LBB10_837:                             ;   in Loop: Header=BB10_628 Depth=2
	s_delay_alu instid0(SALU_CYCLE_1) | instskip(NEXT) | instid1(SALU_CYCLE_1)
	s_or_b32 exec_lo, exec_lo, s29
	s_mov_b32 s14, exec_lo
	v_cmpx_gt_i32_e32 2, v2
	s_cbranch_execz .LBB10_923
; %bb.838:                              ;   in Loop: Header=BB10_628 Depth=2
	v_cmp_eq_u32_e64 s13, 0, v2
	s_mov_b32 s15, 0
.LBB10_839:                             ;   Parent Loop BB10_93 Depth=1
                                        ;     Parent Loop BB10_628 Depth=2
                                        ; =>    This Loop Header: Depth=3
                                        ;         Child Loop BB10_845 Depth 4
                                        ;         Child Loop BB10_877 Depth 4
	;; [unrolled: 1-line block ×3, first 2 shown]
	v_and_b32_e32 v2, 12, v30
	s_mov_b32 s17, -1
	s_mov_b32 s16, exec_lo
	s_delay_alu instid0(VALU_DEP_1)
	v_cmpx_ne_u32_e32 0, v2
	s_cbranch_execz .LBB10_853
; %bb.840:                              ;   in Loop: Header=BB10_839 Depth=3
	v_dual_mov_b32 v5, 1 :: v_dual_and_b32 v4, 8, v30
	s_mov_b32 s17, exec_lo
	s_delay_alu instid0(VALU_DEP_1) | instskip(SKIP_3) | instid1(VALU_DEP_1)
	v_add_co_u32 v53, vcc_lo, v34, v4
	v_add_co_ci_u32_e32 v54, vcc_lo, 0, v35, vcc_lo
	v_add_co_u32 v2, vcc_lo, v14, 2
	v_add_co_ci_u32_e32 v3, vcc_lo, 0, v15, vcc_lo
	v_cmpx_lt_u64_e64 v[53:54], v[2:3]
	s_cbranch_execz .LBB10_852
; %bb.841:                              ;   in Loop: Header=BB10_839 Depth=3
	v_mov_b32_e32 v5, 0
	s_mov_b32 s29, 0
                                        ; implicit-def: $vcc_hi
	s_branch .LBB10_845
.LBB10_842:                             ;   in Loop: Header=BB10_845 Depth=4
	s_or_b32 exec_lo, exec_lo, s35
	v_mov_b32_e32 v36, 0
	s_or_not1_b32 s34, s34, exec_lo
.LBB10_843:                             ;   in Loop: Header=BB10_845 Depth=4
	s_or_b32 exec_lo, exec_lo, s31
	s_delay_alu instid0(VALU_DEP_1) | instskip(SKIP_2) | instid1(SALU_CYCLE_1)
	v_mov_b32_e32 v5, v36
	s_and_not1_b32 vcc_lo, vcc_hi, exec_lo
	s_and_b32 vcc_hi, s34, exec_lo
	s_or_b32 vcc_hi, vcc_lo, vcc_hi
.LBB10_844:                             ;   in Loop: Header=BB10_845 Depth=4
	s_or_b32 exec_lo, exec_lo, s30
	s_waitcnt vmcnt(0) lgkmcnt(0)
	v_add_co_u32 v53, vcc_lo, v34, v4
	v_add_co_ci_u32_e32 v54, vcc_lo, 0, v35, vcc_lo
	s_delay_alu instid0(VALU_DEP_1) | instskip(SKIP_1) | instid1(SALU_CYCLE_1)
	v_cmp_ge_u64_e32 vcc_lo, v[53:54], v[2:3]
	s_xor_b32 s30, vcc_hi, -1
	s_or_b32 vcc_lo, s30, vcc_lo
	s_delay_alu instid0(SALU_CYCLE_1) | instskip(NEXT) | instid1(SALU_CYCLE_1)
	s_and_b32 vcc_lo, exec_lo, vcc_lo
	s_or_b32 s29, vcc_lo, s29
	s_delay_alu instid0(SALU_CYCLE_1)
	s_and_not1_b32 exec_lo, exec_lo, s29
	s_cbranch_execz .LBB10_851
.LBB10_845:                             ;   Parent Loop BB10_93 Depth=1
                                        ;     Parent Loop BB10_628 Depth=2
                                        ;       Parent Loop BB10_839 Depth=3
                                        ; =>      This Inner Loop Header: Depth=4
	s_sleep 1
	flat_load_b64 v[34:35], v[24:25] glc
	v_and_b32_e32 v36, 64, v30
	s_and_not1_b32 vcc_hi, vcc_hi, exec_lo
	s_mov_b32 s30, exec_lo
	s_delay_alu instid0(VALU_DEP_1)
	v_cmpx_eq_u32_e32 0, v36
	s_cbranch_execz .LBB10_844
; %bb.846:                              ;   in Loop: Header=BB10_845 Depth=4
	v_add_nc_u32_e32 v36, 1, v5
	s_mov_b32 s34, -1
	s_mov_b32 s31, exec_lo
	v_cmpx_lt_i32_e32 0x270e, v5
	s_cbranch_execz .LBB10_843
; %bb.847:                              ;   in Loop: Header=BB10_845 Depth=4
	s_cbranch_execnz .LBB10_1264
; %bb.848:                              ;   in Loop: Header=BB10_845 Depth=4
	ds_load_b64 v[53:54], v0
	s_mov_b32 s35, exec_lo
	s_waitcnt vmcnt(0) lgkmcnt(0)
	s_waitcnt_vscnt null, 0x0
	flat_load_b32 v5, v[53:54] glc
	s_waitcnt vmcnt(0) lgkmcnt(0)
	buffer_gl1_inv
	buffer_gl0_inv
	v_cmpx_ne_u32_e32 0, v5
	s_cbranch_execz .LBB10_842
; %bb.849:                              ;   in Loop: Header=BB10_845 Depth=4
	ds_store_b32 v0, v5
	s_cbranch_execnz .LBB10_1317
; %bb.850:                              ;   in Loop: Header=BB10_845 Depth=4
	v_or_b32_e32 v30, 64, v30
	s_xor_b32 s34, exec_lo, -1
	s_branch .LBB10_842
.LBB10_851:                             ;   in Loop: Header=BB10_839 Depth=3
	s_or_b32 exec_lo, exec_lo, s29
	v_and_b32_e32 v5, 12, v30
.LBB10_852:                             ;   in Loop: Header=BB10_839 Depth=3
	s_or_b32 exec_lo, exec_lo, s17
	s_delay_alu instid0(VALU_DEP_1)
	v_cmp_eq_u32_e32 vcc_lo, 0, v5
	;;#ASMSTART
	s_wakeup
	;;#ASMEND
	s_or_not1_b32 s17, vcc_lo, exec_lo
.LBB10_853:                             ;   in Loop: Header=BB10_839 Depth=3
	s_or_b32 exec_lo, exec_lo, s16
	v_sub_nc_u32_e32 v2, v118, v128
	s_xor_b32 s13, s13, -1
	s_delay_alu instid0(SALU_CYCLE_1) | instskip(NEXT) | instid1(SALU_CYCLE_1)
	s_and_b32 s13, exec_lo, s13
	s_or_b32 s15, s13, s15
	s_delay_alu instid0(VALU_DEP_1) | instskip(SKIP_1) | instid1(SALU_CYCLE_1)
	v_min_i32_e32 v52, v52, v2
	s_xor_b32 s13, s17, -1
	s_and_saveexec_b32 s16, s13
	s_cbranch_execz .LBB10_868
; %bb.854:                              ;   in Loop: Header=BB10_839 Depth=3
	v_and_b32_e32 v2, 0x108, v30
	s_mov_b32 s13, exec_lo
	s_delay_alu instid0(VALU_DEP_1)
	v_cmpx_ne_u32_e32 0x108, v2
	s_xor_b32 s13, exec_lo, s13
                                        ; implicit-def: $vgpr2_vgpr3
; %bb.855:                              ;   in Loop: Header=BB10_839 Depth=3
	v_and_b32_e32 v2, 7, v14
; %bb.856:                              ;   in Loop: Header=BB10_839 Depth=3
	s_and_not1_saveexec_b32 s13, s13
	s_cbranch_execz .LBB10_858
; %bb.857:                              ;   in Loop: Header=BB10_839 Depth=3
	v_and_b32_e32 v2, 7, v14
	v_ashrrev_i32_e32 v53, 31, v52
	s_delay_alu instid0(VALU_DEP_2)
	v_mad_u64_u32 v[3:4], null, v2, 24, v[12:13]
	flat_store_b64 v[3:4], v[52:53] offset:8
.LBB10_858:                             ;   in Loop: Header=BB10_839 Depth=3
	s_or_b32 exec_lo, exec_lo, s13
	v_and_b32_e32 v3, 0x100, v30
	s_mov_b32 s13, -1
	s_delay_alu instid0(VALU_DEP_1)
	v_cmp_ne_u32_e32 vcc_lo, 0, v3
                                        ; implicit-def: $vgpr3_vgpr4
	s_and_saveexec_b32 s17, vcc_lo
	s_cbranch_execnz .LBB10_861
; %bb.859:                              ;   in Loop: Header=BB10_839 Depth=3
	s_or_b32 exec_lo, exec_lo, s17
	s_and_saveexec_b32 s17, s13
	s_cbranch_execnz .LBB10_864
.LBB10_860:                             ;   in Loop: Header=BB10_839 Depth=3
	s_or_b32 exec_lo, exec_lo, s17
	s_cbranch_execnz .LBB10_1260
	s_branch .LBB10_865
.LBB10_861:                             ;   in Loop: Header=BB10_839 Depth=3
	v_mad_u64_u32 v[53:54], null, v2, 24, v[12:13]
	s_delay_alu instid0(VALU_DEP_1) | instskip(NEXT) | instid1(VALU_DEP_1)
	v_mov_b32_e32 v3, v54
	v_mad_u64_u32 v[4:5], null, v37, 24, v[3:4]
	s_delay_alu instid0(VALU_DEP_1) | instskip(SKIP_4) | instid1(VALU_DEP_1)
	v_mov_b32_e32 v54, v4
	flat_load_b32 v3, v[53:54]
	s_waitcnt vmcnt(0) lgkmcnt(0)
	v_cmp_ne_u32_e32 vcc_lo, 1, v3
	v_cmp_eq_u32_e64 s13, 1, v3
                                        ; implicit-def: $vgpr3_vgpr4
	s_and_saveexec_b32 s29, s13
	s_cbranch_execz .LBB10_863
; %bb.862:                              ;   in Loop: Header=BB10_839 Depth=3
	flat_load_b32 v3, v[53:54] offset:4 glc
	s_waitcnt vmcnt(0) lgkmcnt(0)
	v_ashrrev_i32_e32 v4, 31, v3
.LBB10_863:                             ;   in Loop: Header=BB10_839 Depth=3
	s_or_b32 exec_lo, exec_lo, s29
	s_delay_alu instid0(SALU_CYCLE_1)
	s_or_not1_b32 s13, vcc_lo, exec_lo
	s_or_b32 exec_lo, exec_lo, s17
	s_and_saveexec_b32 s17, s13
	s_cbranch_execz .LBB10_860
.LBB10_864:                             ;   in Loop: Header=BB10_839 Depth=3
	v_mul_lo_u32 v5, v37, v68
	v_mul_lo_u32 v36, v2, v80
	v_mad_u64_u32 v[3:4], null, v2, v68, 0
	s_delay_alu instid0(VALU_DEP_1)
	v_add3_u32 v4, v4, v36, v5
	s_or_b32 exec_lo, exec_lo, s17
	s_cbranch_execnz .LBB10_1260
.LBB10_865:                             ;   in Loop: Header=BB10_839 Depth=3
	s_delay_alu instid0(VALU_DEP_2)
	v_add_co_u32 v2, vcc_lo, v26, v3
	v_and_b32_e32 v5, 0x2000, v30
	v_add_co_ci_u32_e32 v3, vcc_lo, v27, v4, vcc_lo
	s_mov_b32 s13, exec_lo
	ds_store_b64 v0, v[2:3]
	v_cmpx_ne_u32_e32 0, v5
	s_cbranch_execz .LBB10_867
; %bb.866:                              ;   in Loop: Header=BB10_839 Depth=3
	ds_load_b64 v[2:3], v0 offset:584
	s_waitcnt lgkmcnt(0)
	v_add_co_u32 v2, vcc_lo, v2, 1
	v_add_co_ci_u32_e32 v3, vcc_lo, 0, v3, vcc_lo
	ds_store_b64 v0, v[2:3] offset:584
.LBB10_867:                             ;   in Loop: Header=BB10_839 Depth=3
	s_or_b32 exec_lo, exec_lo, s13
	v_add_co_u32 v14, vcc_lo, v14, 2
	v_add_co_ci_u32_e32 v15, vcc_lo, 0, v15, vcc_lo
.LBB10_868:                             ;   in Loop: Header=BB10_839 Depth=3
	s_or_b32 exec_lo, exec_lo, s16
	s_and_saveexec_b32 s13, s2
	s_cbranch_execz .LBB10_890
; %bb.869:                              ;   in Loop: Header=BB10_839 Depth=3
	s_and_saveexec_b32 s16, s3
	s_delay_alu instid0(SALU_CYCLE_1)
	s_xor_b32 s16, exec_lo, s16
	s_cbranch_execz .LBB10_887
; %bb.870:                              ;   in Loop: Header=BB10_839 Depth=3
	s_and_saveexec_b32 s17, s1
	s_cbranch_execz .LBB10_886
; %bb.871:                              ;   in Loop: Header=BB10_839 Depth=3
	s_mov_b32 vcc_hi, exec_lo
	s_mov_b32 s29, exec_lo
	v_mbcnt_lo_u32_b32 v2, vcc_hi, 0
	s_waitcnt lgkmcnt(0)
	s_waitcnt_vscnt null, 0x0
	buffer_gl1_inv
	buffer_gl0_inv
	v_cmpx_eq_u32_e32 0, v2
	s_cbranch_execz .LBB10_873
; %bb.872:                              ;   in Loop: Header=BB10_839 Depth=3
	s_bcnt1_i32_b32 vcc_lo, vcc_hi
	s_delay_alu instid0(SALU_CYCLE_1)
	v_mov_b32_e32 v36, vcc_lo
	ds_add_u64 v0, v[36:37]
	s_cbranch_execnz .LBB10_1363
.LBB10_873:                             ;   in Loop: Header=BB10_839 Depth=3
	s_or_b32 exec_lo, exec_lo, s29
	s_cbranch_execnz .LBB10_1341
; %bb.874:                              ;   in Loop: Header=BB10_839 Depth=3
	ds_load_b64 v[2:3], v0
	v_add_co_u32 v28, vcc_lo, v28, v82
	v_add_co_ci_u32_e32 v29, vcc_lo, 0, v29, vcc_lo
	s_mov_b32 s29, exec_lo
	s_waitcnt lgkmcnt(0)
	s_delay_alu instid0(VALU_DEP_1)
	v_cmpx_lt_u64_e64 v[2:3], v[28:29]
	s_cbranch_execz .LBB10_885
; %bb.875:                              ;   in Loop: Header=BB10_839 Depth=3
	s_mov_b32 vcc_hi, 0
	s_mov_b32 s34, 0
                                        ; implicit-def: $sgpr30
                                        ; implicit-def: $sgpr31
	s_branch .LBB10_877
.LBB10_876:                             ;   in Loop: Header=BB10_877 Depth=4
	s_or_b32 exec_lo, exec_lo, s36
	s_delay_alu instid0(SALU_CYCLE_1) | instskip(NEXT) | instid1(SALU_CYCLE_1)
	s_and_b32 vcc_lo, exec_lo, vcc_lo
	s_or_b32 vcc_hi, vcc_lo, vcc_hi
	s_and_not1_b32 vcc_lo, s30, exec_lo
	s_and_b32 s30, s31, exec_lo
	s_delay_alu instid0(SALU_CYCLE_1)
	s_or_b32 s30, vcc_lo, s30
	s_and_not1_b32 exec_lo, exec_lo, vcc_hi
	s_cbranch_execz .LBB10_883
.LBB10_877:                             ;   Parent Loop BB10_93 Depth=1
                                        ;     Parent Loop BB10_628 Depth=2
                                        ;       Parent Loop BB10_839 Depth=3
                                        ; =>      This Inner Loop Header: Depth=4
	s_add_i32 s34, s34, 1
                                        ; implicit-def: $sgpr36
	s_delay_alu instid0(SALU_CYCLE_1) | instskip(SKIP_1) | instid1(SALU_CYCLE_1)
	s_cmpk_lg_i32 s34, 0x2710
	s_cselect_b32 s35, -1, 0
	s_and_b32 vcc_lo, exec_lo, s35
	s_cbranch_vccz .LBB10_881
.LBB10_878:                             ;   in Loop: Header=BB10_877 Depth=4
	s_and_not1_b32 s31, s31, exec_lo
	s_and_b32 s36, s36, exec_lo
	s_mov_b32 vcc_lo, -1
	s_or_b32 s31, s31, s36
	s_and_saveexec_b32 s36, s35
	s_cbranch_execz .LBB10_876
; %bb.879:                              ;   in Loop: Header=BB10_877 Depth=4
	s_sleep 1
	s_cbranch_execnz .LBB10_1419
; %bb.880:                              ;   in Loop: Header=BB10_877 Depth=4
	ds_load_b64 v[2:3], v0
	s_and_not1_b32 s31, s31, exec_lo
	s_waitcnt lgkmcnt(0)
	v_cmp_ge_u64_e32 vcc_lo, v[2:3], v[28:29]
	s_or_not1_b32 vcc_lo, vcc_lo, exec_lo
	s_branch .LBB10_876
.LBB10_881:                             ;   in Loop: Header=BB10_877 Depth=4
	s_cbranch_execnz .LBB10_1441
; %bb.882:                              ;   in Loop: Header=BB10_877 Depth=4
	ds_load_b64 v[2:3], v0
	s_and_not1_b32 s35, s35, exec_lo
	s_mov_b32 s34, 0
	s_mov_b32 s36, -1
	s_waitcnt lgkmcnt(0)
	flat_load_b32 v2, v[2:3] glc
	s_waitcnt vmcnt(0) lgkmcnt(0)
	buffer_gl1_inv
	buffer_gl0_inv
	v_cmp_eq_u32_e32 vcc_lo, 0, v2
	s_and_b32 vcc_lo, vcc_lo, exec_lo
	s_delay_alu instid0(SALU_CYCLE_1)
	s_or_b32 s35, s35, vcc_lo
	s_branch .LBB10_878
.LBB10_883:                             ;   in Loop: Header=BB10_839 Depth=3
	s_or_b32 exec_lo, exec_lo, vcc_hi
	s_and_saveexec_b32 vcc_lo, s30
	s_delay_alu instid0(SALU_CYCLE_1)
	s_xor_b32 vcc_lo, exec_lo, vcc_lo
	s_cbranch_execz .LBB10_885
; %bb.884:                              ;   in Loop: Header=BB10_839 Depth=3
	ds_store_b32 v0, v117
	s_cbranch_execnz .LBB10_1584
.LBB10_885:                             ;   in Loop: Header=BB10_839 Depth=3
	s_or_b32 exec_lo, exec_lo, s29
	;;#ASMSTART
	s_wakeup
	;;#ASMEND
.LBB10_886:                             ;   in Loop: Header=BB10_839 Depth=3
	s_or_b32 exec_lo, exec_lo, s17
.LBB10_887:                             ;   in Loop: Header=BB10_839 Depth=3
	s_and_not1_saveexec_b32 s16, s16
	s_cbranch_execz .LBB10_889
; %bb.888:                              ;   in Loop: Header=BB10_839 Depth=3
	s_waitcnt lgkmcnt(0)
	s_waitcnt_vscnt null, 0x0
	buffer_gl1_inv
	buffer_gl0_inv
	s_barrier
.LBB10_889:                             ;   in Loop: Header=BB10_839 Depth=3
	s_or_b32 exec_lo, exec_lo, s16
.LBB10_890:                             ;   in Loop: Header=BB10_839 Depth=3
	s_delay_alu instid0(SALU_CYCLE_1) | instskip(SKIP_1) | instid1(SALU_CYCLE_1)
	s_or_b32 exec_lo, exec_lo, s13
                                        ; implicit-def: $vgpr2
	s_and_saveexec_b32 s13, s25
	s_xor_b32 s13, exec_lo, s13
	s_cbranch_execz .LBB10_912
; %bb.891:                              ;   in Loop: Header=BB10_839 Depth=3
	s_and_saveexec_b32 s16, s3
	s_delay_alu instid0(SALU_CYCLE_1)
	s_xor_b32 s16, exec_lo, s16
	s_cbranch_execz .LBB10_909
; %bb.892:                              ;   in Loop: Header=BB10_839 Depth=3
	s_and_saveexec_b32 s17, s1
	s_cbranch_execz .LBB10_908
; %bb.893:                              ;   in Loop: Header=BB10_839 Depth=3
	s_mov_b32 vcc_hi, exec_lo
	s_mov_b32 s29, exec_lo
	v_mbcnt_lo_u32_b32 v2, vcc_hi, 0
	;;#ASMSTART
	s_waitcnt lgkmcnt(0) vmcnt(0)
	;;#ASMEND
	s_delay_alu instid0(VALU_DEP_1)
	v_cmpx_eq_u32_e32 0, v2
	s_cbranch_execz .LBB10_895
; %bb.894:                              ;   in Loop: Header=BB10_839 Depth=3
	s_bcnt1_i32_b32 vcc_lo, vcc_hi
	s_delay_alu instid0(SALU_CYCLE_1)
	v_mov_b32_e32 v36, vcc_lo
	ds_add_u64 v0, v[36:37]
	s_cbranch_execnz .LBB10_1367
.LBB10_895:                             ;   in Loop: Header=BB10_839 Depth=3
	s_or_b32 exec_lo, exec_lo, s29
	s_cbranch_execnz .LBB10_1343
; %bb.896:                              ;   in Loop: Header=BB10_839 Depth=3
	ds_load_b64 v[2:3], v0
	v_add_co_u32 v28, vcc_lo, v28, v82
	v_add_co_ci_u32_e32 v29, vcc_lo, 0, v29, vcc_lo
	s_mov_b32 s29, exec_lo
	s_waitcnt lgkmcnt(0)
	s_delay_alu instid0(VALU_DEP_1)
	v_cmpx_lt_u64_e64 v[2:3], v[28:29]
	s_cbranch_execz .LBB10_907
; %bb.897:                              ;   in Loop: Header=BB10_839 Depth=3
	s_mov_b32 vcc_hi, 0
	s_mov_b32 s34, 0
                                        ; implicit-def: $sgpr30
                                        ; implicit-def: $sgpr31
	s_branch .LBB10_899
.LBB10_898:                             ;   in Loop: Header=BB10_899 Depth=4
	s_or_b32 exec_lo, exec_lo, s36
	s_delay_alu instid0(SALU_CYCLE_1) | instskip(NEXT) | instid1(SALU_CYCLE_1)
	s_and_b32 vcc_lo, exec_lo, vcc_lo
	s_or_b32 vcc_hi, vcc_lo, vcc_hi
	s_and_not1_b32 vcc_lo, s30, exec_lo
	s_and_b32 s30, s31, exec_lo
	s_delay_alu instid0(SALU_CYCLE_1)
	s_or_b32 s30, vcc_lo, s30
	s_and_not1_b32 exec_lo, exec_lo, vcc_hi
	s_cbranch_execz .LBB10_905
.LBB10_899:                             ;   Parent Loop BB10_93 Depth=1
                                        ;     Parent Loop BB10_628 Depth=2
                                        ;       Parent Loop BB10_839 Depth=3
                                        ; =>      This Inner Loop Header: Depth=4
	s_add_i32 s34, s34, 1
                                        ; implicit-def: $sgpr36
	s_delay_alu instid0(SALU_CYCLE_1) | instskip(SKIP_1) | instid1(SALU_CYCLE_1)
	s_cmpk_lg_i32 s34, 0x2710
	s_cselect_b32 s35, -1, 0
	s_and_b32 vcc_lo, exec_lo, s35
	s_cbranch_vccz .LBB10_903
.LBB10_900:                             ;   in Loop: Header=BB10_899 Depth=4
	s_and_not1_b32 s31, s31, exec_lo
	s_and_b32 s36, s36, exec_lo
	s_mov_b32 vcc_lo, -1
	s_or_b32 s31, s31, s36
	s_and_saveexec_b32 s36, s35
	s_cbranch_execz .LBB10_898
; %bb.901:                              ;   in Loop: Header=BB10_899 Depth=4
	s_sleep 1
	s_cbranch_execnz .LBB10_1429
; %bb.902:                              ;   in Loop: Header=BB10_899 Depth=4
	ds_load_b64 v[2:3], v0
	s_and_not1_b32 s31, s31, exec_lo
	s_waitcnt lgkmcnt(0)
	v_cmp_ge_u64_e32 vcc_lo, v[2:3], v[28:29]
	s_or_not1_b32 vcc_lo, vcc_lo, exec_lo
	s_branch .LBB10_898
.LBB10_903:                             ;   in Loop: Header=BB10_899 Depth=4
	s_cbranch_execnz .LBB10_1449
; %bb.904:                              ;   in Loop: Header=BB10_899 Depth=4
	ds_load_b64 v[2:3], v0
	s_and_not1_b32 s35, s35, exec_lo
	s_mov_b32 s34, 0
	s_mov_b32 s36, -1
	s_waitcnt lgkmcnt(0)
	s_waitcnt_vscnt null, 0x0
	flat_load_b32 v2, v[2:3] glc
	s_waitcnt vmcnt(0) lgkmcnt(0)
	buffer_gl1_inv
	buffer_gl0_inv
	v_cmp_eq_u32_e32 vcc_lo, 0, v2
	s_and_b32 vcc_lo, vcc_lo, exec_lo
	s_delay_alu instid0(SALU_CYCLE_1)
	s_or_b32 s35, s35, vcc_lo
	s_branch .LBB10_900
.LBB10_905:                             ;   in Loop: Header=BB10_839 Depth=3
	s_or_b32 exec_lo, exec_lo, vcc_hi
	s_and_saveexec_b32 vcc_lo, s30
	s_delay_alu instid0(SALU_CYCLE_1)
	s_xor_b32 vcc_lo, exec_lo, vcc_lo
	s_cbranch_execz .LBB10_907
; %bb.906:                              ;   in Loop: Header=BB10_839 Depth=3
	ds_store_b32 v0, v117
	s_cbranch_execnz .LBB10_1586
.LBB10_907:                             ;   in Loop: Header=BB10_839 Depth=3
	s_or_b32 exec_lo, exec_lo, s29
	;;#ASMSTART
	s_wakeup
	;;#ASMEND
.LBB10_908:                             ;   in Loop: Header=BB10_839 Depth=3
	s_or_b32 exec_lo, exec_lo, s17
.LBB10_909:                             ;   in Loop: Header=BB10_839 Depth=3
	s_and_not1_saveexec_b32 s16, s16
	s_cbranch_execz .LBB10_911
; %bb.910:                              ;   in Loop: Header=BB10_839 Depth=3
	;;#ASMSTART
	s_waitcnt lgkmcnt(0) vmcnt(0)
	;;#ASMEND
	s_waitcnt lgkmcnt(0)
	s_waitcnt_vscnt null, 0x0
	s_barrier
.LBB10_911:                             ;   in Loop: Header=BB10_839 Depth=3
	s_or_b32 exec_lo, exec_lo, s16
	v_and_b32_e32 v2, 16, v30
.LBB10_912:                             ;   in Loop: Header=BB10_839 Depth=3
	s_and_not1_saveexec_b32 s16, s13
	s_cbranch_execz .LBB10_917
; %bb.913:                              ;   in Loop: Header=BB10_839 Depth=3
	s_cbranch_execnz .LBB10_1285
; %bb.914:                              ;   in Loop: Header=BB10_839 Depth=3
	ds_load_b32 v2, v0
	v_cmp_lt_i32_e32 vcc_lo, 0, v52
	s_waitcnt lgkmcnt(0)
	v_readfirstlane_b32 s13, v2
	v_and_b32_e32 v2, 16, v30
	s_delay_alu instid0(VALU_DEP_2) | instskip(NEXT) | instid1(VALU_DEP_1)
	s_cmp_eq_u32 s13, 0
	v_cmp_ne_u32_e64 s13, 0, v2
	s_cselect_b32 s17, -1, 0
	v_and_b32_e32 v2, 16, v30
	s_and_b32 s17, vcc_lo, s17
	s_delay_alu instid0(VALU_DEP_2) | instid1(SALU_CYCLE_1)
	s_and_b32 s17, s13, s17
	s_delay_alu instid0(SALU_CYCLE_1)
	s_and_saveexec_b32 s13, s17
	s_cbranch_execz .LBB10_916
; %bb.915:                              ;   in Loop: Header=BB10_839 Depth=3
	v_mov_b32_e32 v2, 1
	s_waitcnt_vscnt null, 0x0
	buffer_gl1_inv
	buffer_gl0_inv
.LBB10_916:                             ;   in Loop: Header=BB10_839 Depth=3
	s_or_b32 exec_lo, exec_lo, s13
.LBB10_917:                             ;   in Loop: Header=BB10_839 Depth=3
	s_delay_alu instid0(SALU_CYCLE_1) | instskip(NEXT) | instid1(VALU_DEP_1)
	s_or_b32 exec_lo, exec_lo, s16
	v_cmp_ne_u32_e32 vcc_lo, 0, v2
	s_xor_b32 s13, s7, -1
	s_delay_alu instid0(SALU_CYCLE_1) | instskip(NEXT) | instid1(SALU_CYCLE_1)
	s_and_b32 s16, vcc_lo, s13
	s_and_saveexec_b32 s13, s16
	s_cbranch_execz .LBB10_919
; %bb.918:                              ;   in Loop: Header=BB10_839 Depth=3
	s_waitcnt lgkmcnt(0)
	s_waitcnt_vscnt null, 0x0
	flat_store_b32 v[32:33], v117
.LBB10_919:                             ;   in Loop: Header=BB10_839 Depth=3
	s_or_b32 exec_lo, exec_lo, s13
	v_and_b32_e32 v2, 48, v30
	s_mov_b32 s13, exec_lo
	s_delay_alu instid0(VALU_DEP_1)
	v_cmpx_ne_u32_e32 0, v2
	s_cbranch_execz .LBB10_921
; %bb.920:                              ;   in Loop: Header=BB10_839 Depth=3
	v_add_co_u32 v14, vcc_lo, v14, 2
	v_add_co_ci_u32_e32 v15, vcc_lo, 0, v15, vcc_lo
	s_waitcnt lgkmcnt(0)
	s_waitcnt_vscnt null, 0x0
	flat_store_b64 v[24:25], v[14:15]
.LBB10_921:                             ;   in Loop: Header=BB10_839 Depth=3
	s_or_b32 exec_lo, exec_lo, s13
	v_add_nc_u32_e32 v128, v52, v128
	s_mov_b32 s13, 0
	s_and_not1_b32 exec_lo, exec_lo, s15
	s_cbranch_execnz .LBB10_839
; %bb.922:                              ;   in Loop: Header=BB10_628 Depth=2
	s_or_b32 exec_lo, exec_lo, s15
.LBB10_923:                             ;   in Loop: Header=BB10_628 Depth=2
	s_delay_alu instid0(SALU_CYCLE_1)
	s_or_b32 exec_lo, exec_lo, s14
	s_add_i32 s13, s28, 1
	s_cmp_eq_u32 s28, s26
	s_cbranch_scc1 .LBB10_925
; %bb.924:                              ;   in Loop: Header=BB10_628 Depth=2
	s_mov_b32 s28, s13
	s_branch .LBB10_628
.LBB10_925:                             ;   in Loop: Header=BB10_93 Depth=1
	v_mov_b32_e32 v4, 0
	v_mov_b32_e32 v52, 0
	s_mov_b32 s15, 0
	s_and_saveexec_b32 s14, s12
	s_cbranch_execz .LBB10_1086
; %bb.926:                              ;   in Loop: Header=BB10_93 Depth=1
	flat_load_b32 v4, v[18:19] offset:4
	v_mov_b32_e32 v52, 0
	s_mov_b32 s17, 1
	s_mov_b32 s16, -1
	s_waitcnt vmcnt(0) lgkmcnt(0)
	v_ashrrev_i32_e32 v5, 31, v4
	v_mad_u64_u32 v[2:3], null, v66, v4, v[50:51]
	v_mul_lo_u32 v4, v67, v4
	s_delay_alu instid0(VALU_DEP_3) | instskip(NEXT) | instid1(VALU_DEP_1)
	v_mul_lo_u32 v5, v66, v5
	v_add3_u32 v3, v4, v3, v5
.LBB10_927:                             ;   Parent Loop BB10_93 Depth=1
                                        ; =>  This Loop Header: Depth=2
                                        ;       Child Loop BB10_936 Depth 3
                                        ;       Child Loop BB10_963 Depth 3
	;; [unrolled: 1-line block ×9, first 2 shown]
	s_and_saveexec_b32 s13, s0
	s_cbranch_execz .LBB10_930
; %bb.928:                              ;   in Loop: Header=BB10_927 Depth=2
	s_cbranch_execnz .LBB10_1246
; %bb.929:                              ;   in Loop: Header=BB10_927 Depth=2
	ds_load_b128 v[128:131], v0
	v_ashrrev_i32_e32 v5, 31, v52
	s_waitcnt lgkmcnt(0)
	v_add_co_u32 v4, vcc_lo, v130, v2
	v_add_co_ci_u32_e32 v36, vcc_lo, v131, v3, vcc_lo
	v_add_co_u32 v50, vcc_lo, v128, v2
	v_add_co_ci_u32_e32 v51, vcc_lo, v129, v3, vcc_lo
	s_delay_alu instid0(VALU_DEP_4) | instskip(NEXT) | instid1(VALU_DEP_4)
	v_add_co_u32 v53, vcc_lo, v4, v52
	v_add_co_ci_u32_e32 v36, vcc_lo, v36, v5, vcc_lo
	v_cmp_ne_u64_e32 vcc_lo, 0, v[130:131]
	v_add_co_u32 v4, s12, v50, v52
	s_delay_alu instid0(VALU_DEP_1) | instskip(NEXT) | instid1(VALU_DEP_4)
	v_add_co_ci_u32_e64 v5, s12, v51, v5, s12
	v_dual_cndmask_b32 v51, 0, v36 :: v_dual_cndmask_b32 v50, 0, v53
	ds_store_b64 v0, v[4:5]
	ds_store_b64 v0, v[50:51]
.LBB10_930:                             ;   in Loop: Header=BB10_927 Depth=2
	s_or_b32 exec_lo, exec_lo, s13
	v_and_b32_e32 v4, 4, v30
	s_mov_b32 s13, -1
	s_mov_b32 s12, exec_lo
	s_delay_alu instid0(VALU_DEP_1)
	v_cmpx_ne_u32_e32 0, v4
	s_cbranch_execz .LBB10_944
; %bb.931:                              ;   in Loop: Header=BB10_927 Depth=2
	v_add_co_u32 v4, vcc_lo, v14, 2
	v_add_co_ci_u32_e32 v5, vcc_lo, 0, v15, vcc_lo
	v_mov_b32_e32 v36, 1
	s_mov_b32 s13, exec_lo
	s_delay_alu instid0(VALU_DEP_2)
	v_cmpx_lt_u64_e64 v[34:35], v[4:5]
	s_cbranch_execz .LBB10_943
; %bb.932:                              ;   in Loop: Header=BB10_927 Depth=2
	v_mov_b32_e32 v36, 0
	s_mov_b32 s28, 0
                                        ; implicit-def: $sgpr29
	s_branch .LBB10_936
.LBB10_933:                             ;   in Loop: Header=BB10_936 Depth=3
	s_or_b32 exec_lo, exec_lo, s34
	v_mov_b32_e32 v50, 0
	s_or_not1_b32 s31, s31, exec_lo
.LBB10_934:                             ;   in Loop: Header=BB10_936 Depth=3
	s_or_b32 exec_lo, exec_lo, s30
	s_delay_alu instid0(VALU_DEP_1) | instskip(SKIP_2) | instid1(SALU_CYCLE_1)
	v_mov_b32_e32 v36, v50
	s_and_not1_b32 s29, s29, exec_lo
	s_and_b32 vcc_lo, s31, exec_lo
	s_or_b32 s29, s29, vcc_lo
.LBB10_935:                             ;   in Loop: Header=BB10_936 Depth=3
	s_or_b32 exec_lo, exec_lo, vcc_hi
	s_waitcnt vmcnt(0) lgkmcnt(0)
	v_cmp_ge_u64_e32 vcc_lo, v[34:35], v[4:5]
	s_xor_b32 vcc_hi, s29, -1
	s_delay_alu instid0(SALU_CYCLE_1) | instskip(NEXT) | instid1(SALU_CYCLE_1)
	s_or_b32 vcc_lo, vcc_hi, vcc_lo
	s_and_b32 vcc_lo, exec_lo, vcc_lo
	s_delay_alu instid0(SALU_CYCLE_1) | instskip(NEXT) | instid1(SALU_CYCLE_1)
	s_or_b32 s28, vcc_lo, s28
	s_and_not1_b32 exec_lo, exec_lo, s28
	s_cbranch_execz .LBB10_942
.LBB10_936:                             ;   Parent Loop BB10_93 Depth=1
                                        ;     Parent Loop BB10_927 Depth=2
                                        ; =>    This Inner Loop Header: Depth=3
	s_sleep 1
	flat_load_b64 v[34:35], v[24:25] glc
	v_and_b32_e32 v50, 64, v30
	s_and_not1_b32 s29, s29, exec_lo
	s_mov_b32 vcc_hi, exec_lo
	s_delay_alu instid0(VALU_DEP_1)
	v_cmpx_eq_u32_e32 0, v50
	s_cbranch_execz .LBB10_935
; %bb.937:                              ;   in Loop: Header=BB10_936 Depth=3
	v_add_nc_u32_e32 v50, 1, v36
	s_mov_b32 s31, -1
	s_mov_b32 s30, exec_lo
	v_cmpx_lt_i32_e32 0x270e, v36
	s_cbranch_execz .LBB10_934
; %bb.938:                              ;   in Loop: Header=BB10_936 Depth=3
	s_cbranch_execnz .LBB10_1279
; %bb.939:                              ;   in Loop: Header=BB10_936 Depth=3
	ds_load_b64 v[50:51], v0
	s_mov_b32 s34, exec_lo
	s_waitcnt vmcnt(0) lgkmcnt(0)
	s_waitcnt_vscnt null, 0x0
	flat_load_b32 v36, v[50:51] glc
	s_waitcnt vmcnt(0) lgkmcnt(0)
	buffer_gl1_inv
	buffer_gl0_inv
	v_cmpx_ne_u32_e32 0, v36
	s_cbranch_execz .LBB10_933
; %bb.940:                              ;   in Loop: Header=BB10_936 Depth=3
	ds_store_b32 v0, v36
	s_cbranch_execnz .LBB10_1327
; %bb.941:                              ;   in Loop: Header=BB10_936 Depth=3
	v_or_b32_e32 v30, 64, v30
	s_xor_b32 s31, exec_lo, -1
	s_branch .LBB10_933
.LBB10_942:                             ;   in Loop: Header=BB10_927 Depth=2
	s_or_b32 exec_lo, exec_lo, s28
	v_and_b32_e32 v36, 4, v30
.LBB10_943:                             ;   in Loop: Header=BB10_927 Depth=2
	s_or_b32 exec_lo, exec_lo, s13
	s_delay_alu instid0(VALU_DEP_1)
	v_cmp_eq_u32_e32 vcc_lo, 0, v36
	;;#ASMSTART
	s_wakeup
	;;#ASMEND
	s_or_not1_b32 s13, vcc_lo, exec_lo
.LBB10_944:                             ;   in Loop: Header=BB10_927 Depth=2
	s_or_b32 exec_lo, exec_lo, s12
	s_xor_b32 s12, s13, -1
	s_delay_alu instid0(SALU_CYCLE_1)
	s_and_saveexec_b32 s13, s12
	s_cbranch_execz .LBB10_954
; %bb.945:                              ;   in Loop: Header=BB10_927 Depth=2
	v_and_b32_e32 v4, 0x100, v30
	v_and_b32_e32 v36, 7, v14
	s_mov_b32 s12, -1
	s_delay_alu instid0(VALU_DEP_2)
	v_cmp_ne_u32_e32 vcc_lo, 0, v4
                                        ; implicit-def: $vgpr4_vgpr5
	s_and_saveexec_b32 s28, vcc_lo
	s_cbranch_execz .LBB10_949
; %bb.946:                              ;   in Loop: Header=BB10_927 Depth=2
	v_mad_u64_u32 v[50:51], null, v36, 24, v[12:13]
	flat_load_b32 v4, v[50:51]
	s_waitcnt vmcnt(0) lgkmcnt(0)
	v_cmp_ne_u32_e32 vcc_lo, 1, v4
	v_cmp_eq_u32_e64 s12, 1, v4
                                        ; implicit-def: $vgpr4_vgpr5
	s_delay_alu instid0(VALU_DEP_1)
	s_and_saveexec_b32 s29, s12
	s_cbranch_execz .LBB10_948
; %bb.947:                              ;   in Loop: Header=BB10_927 Depth=2
	flat_load_b32 v4, v[50:51] offset:4 glc
	s_waitcnt vmcnt(0) lgkmcnt(0)
	v_ashrrev_i32_e32 v5, 31, v4
.LBB10_948:                             ;   in Loop: Header=BB10_927 Depth=2
	s_or_b32 exec_lo, exec_lo, s29
	s_delay_alu instid0(SALU_CYCLE_1)
	s_or_not1_b32 s12, vcc_lo, exec_lo
.LBB10_949:                             ;   in Loop: Header=BB10_927 Depth=2
	s_or_b32 exec_lo, exec_lo, s28
	s_and_saveexec_b32 s28, s12
; %bb.950:                              ;   in Loop: Header=BB10_927 Depth=2
	v_mad_i64_i32 v[4:5], null, v36, v68, 0
; %bb.951:                              ;   in Loop: Header=BB10_927 Depth=2
	s_or_b32 exec_lo, exec_lo, s28
	s_delay_alu instid0(VALU_DEP_1) | instskip(SKIP_1) | instid1(VALU_DEP_3)
	v_add_co_u32 v4, vcc_lo, v26, v4
	v_and_b32_e32 v36, 0x2000, v30
	v_add_co_ci_u32_e32 v5, vcc_lo, v27, v5, vcc_lo
	s_mov_b32 s12, exec_lo
	ds_store_b64 v0, v[4:5] offset:720
	v_cmpx_ne_u32_e32 0, v36
	s_cbranch_execz .LBB10_953
; %bb.952:                              ;   in Loop: Header=BB10_927 Depth=2
	ds_load_b64 v[4:5], v0 offset:584
	s_waitcnt lgkmcnt(0)
	v_add_co_u32 v4, vcc_lo, v4, 1
	v_add_co_ci_u32_e32 v5, vcc_lo, 0, v5, vcc_lo
	ds_store_b64 v0, v[4:5] offset:584
.LBB10_953:                             ;   in Loop: Header=BB10_927 Depth=2
	s_or_b32 exec_lo, exec_lo, s12
	v_add_co_u32 v14, vcc_lo, v14, 2
	v_add_co_ci_u32_e32 v15, vcc_lo, 0, v15, vcc_lo
.LBB10_954:                             ;   in Loop: Header=BB10_927 Depth=2
	s_or_b32 exec_lo, exec_lo, s13
	s_and_saveexec_b32 s12, s2
	s_cbranch_execz .LBB10_976
; %bb.955:                              ;   in Loop: Header=BB10_927 Depth=2
	s_and_saveexec_b32 s13, s3
	s_delay_alu instid0(SALU_CYCLE_1)
	s_xor_b32 s13, exec_lo, s13
	s_cbranch_execz .LBB10_973
; %bb.956:                              ;   in Loop: Header=BB10_927 Depth=2
	s_and_saveexec_b32 s28, s1
	s_cbranch_execz .LBB10_972
; %bb.957:                              ;   in Loop: Header=BB10_927 Depth=2
	s_mov_b32 vcc_hi, exec_lo
	s_mov_b32 s29, exec_lo
	v_mbcnt_lo_u32_b32 v4, vcc_hi, 0
	s_waitcnt lgkmcnt(0)
	s_waitcnt_vscnt null, 0x0
	buffer_gl1_inv
	buffer_gl0_inv
	v_cmpx_eq_u32_e32 0, v4
	s_cbranch_execz .LBB10_959
; %bb.958:                              ;   in Loop: Header=BB10_927 Depth=2
	s_bcnt1_i32_b32 vcc_lo, vcc_hi
	s_delay_alu instid0(SALU_CYCLE_1)
	v_mov_b32_e32 v36, vcc_lo
	ds_add_u64 v0, v[36:37]
	s_cbranch_execnz .LBB10_1357
.LBB10_959:                             ;   in Loop: Header=BB10_927 Depth=2
	s_or_b32 exec_lo, exec_lo, s29
	s_cbranch_execnz .LBB10_1337
; %bb.960:                              ;   in Loop: Header=BB10_927 Depth=2
	ds_load_b64 v[4:5], v0
	v_add_co_u32 v28, vcc_lo, v28, v82
	v_add_co_ci_u32_e32 v29, vcc_lo, 0, v29, vcc_lo
	s_mov_b32 s29, exec_lo
	s_waitcnt lgkmcnt(0)
	s_delay_alu instid0(VALU_DEP_1)
	v_cmpx_lt_u64_e64 v[4:5], v[28:29]
	s_cbranch_execz .LBB10_971
; %bb.961:                              ;   in Loop: Header=BB10_927 Depth=2
	s_mov_b32 vcc_hi, 0
	s_mov_b32 s34, 0
                                        ; implicit-def: $sgpr30
                                        ; implicit-def: $sgpr31
	s_branch .LBB10_963
.LBB10_962:                             ;   in Loop: Header=BB10_963 Depth=3
	s_or_b32 exec_lo, exec_lo, s36
	s_delay_alu instid0(SALU_CYCLE_1) | instskip(NEXT) | instid1(SALU_CYCLE_1)
	s_and_b32 vcc_lo, exec_lo, vcc_lo
	s_or_b32 vcc_hi, vcc_lo, vcc_hi
	s_and_not1_b32 vcc_lo, s30, exec_lo
	s_and_b32 s30, s31, exec_lo
	s_delay_alu instid0(SALU_CYCLE_1)
	s_or_b32 s30, vcc_lo, s30
	s_and_not1_b32 exec_lo, exec_lo, vcc_hi
	s_cbranch_execz .LBB10_969
.LBB10_963:                             ;   Parent Loop BB10_93 Depth=1
                                        ;     Parent Loop BB10_927 Depth=2
                                        ; =>    This Inner Loop Header: Depth=3
	s_add_i32 s34, s34, 1
                                        ; implicit-def: $sgpr36
	s_delay_alu instid0(SALU_CYCLE_1) | instskip(SKIP_1) | instid1(SALU_CYCLE_1)
	s_cmpk_lg_i32 s34, 0x2710
	s_cselect_b32 s35, -1, 0
	s_and_b32 vcc_lo, exec_lo, s35
	s_cbranch_vccz .LBB10_967
.LBB10_964:                             ;   in Loop: Header=BB10_963 Depth=3
	s_and_not1_b32 s31, s31, exec_lo
	s_and_b32 s36, s36, exec_lo
	s_mov_b32 vcc_lo, -1
	s_or_b32 s31, s31, s36
	s_and_saveexec_b32 s36, s35
	s_cbranch_execz .LBB10_962
; %bb.965:                              ;   in Loop: Header=BB10_963 Depth=3
	s_sleep 1
	s_cbranch_execnz .LBB10_1411
; %bb.966:                              ;   in Loop: Header=BB10_963 Depth=3
	ds_load_b64 v[4:5], v0
	s_and_not1_b32 s31, s31, exec_lo
	s_waitcnt lgkmcnt(0)
	v_cmp_ge_u64_e32 vcc_lo, v[4:5], v[28:29]
	s_or_not1_b32 vcc_lo, vcc_lo, exec_lo
	s_branch .LBB10_962
.LBB10_967:                             ;   in Loop: Header=BB10_963 Depth=3
	s_cbranch_execnz .LBB10_1431
; %bb.968:                              ;   in Loop: Header=BB10_963 Depth=3
	ds_load_b64 v[4:5], v0
	s_and_not1_b32 s35, s35, exec_lo
	s_mov_b32 s34, 0
	s_mov_b32 s36, -1
	s_waitcnt lgkmcnt(0)
	flat_load_b32 v4, v[4:5] glc
	s_waitcnt vmcnt(0) lgkmcnt(0)
	buffer_gl1_inv
	buffer_gl0_inv
	v_cmp_eq_u32_e32 vcc_lo, 0, v4
	s_and_b32 vcc_lo, vcc_lo, exec_lo
	s_delay_alu instid0(SALU_CYCLE_1)
	s_or_b32 s35, s35, vcc_lo
	s_branch .LBB10_964
.LBB10_969:                             ;   in Loop: Header=BB10_927 Depth=2
	s_or_b32 exec_lo, exec_lo, vcc_hi
	s_and_saveexec_b32 vcc_lo, s30
	s_delay_alu instid0(SALU_CYCLE_1)
	s_xor_b32 vcc_lo, exec_lo, vcc_lo
	s_cbranch_execz .LBB10_971
; %bb.970:                              ;   in Loop: Header=BB10_927 Depth=2
	ds_store_b32 v0, v117
	s_cbranch_execnz .LBB10_1580
.LBB10_971:                             ;   in Loop: Header=BB10_927 Depth=2
	s_or_b32 exec_lo, exec_lo, s29
	;;#ASMSTART
	s_wakeup
	;;#ASMEND
.LBB10_972:                             ;   in Loop: Header=BB10_927 Depth=2
	s_or_b32 exec_lo, exec_lo, s28
.LBB10_973:                             ;   in Loop: Header=BB10_927 Depth=2
	s_and_not1_saveexec_b32 s13, s13
	s_cbranch_execz .LBB10_975
; %bb.974:                              ;   in Loop: Header=BB10_927 Depth=2
	s_waitcnt lgkmcnt(0)
	s_waitcnt_vscnt null, 0x0
	buffer_gl1_inv
	buffer_gl0_inv
	s_barrier
.LBB10_975:                             ;   in Loop: Header=BB10_927 Depth=2
	s_or_b32 exec_lo, exec_lo, s13
.LBB10_976:                             ;   in Loop: Header=BB10_927 Depth=2
	s_delay_alu instid0(SALU_CYCLE_1)
	s_or_b32 exec_lo, exec_lo, s12
	s_cbranch_execnz .LBB10_1242
; %bb.977:                              ;   in Loop: Header=BB10_927 Depth=2
	ds_load_b32 v4, v0
	v_and_b32_e32 v5, 0x4000, v30
	s_delay_alu instid0(VALU_DEP_1) | instskip(SKIP_1) | instid1(SALU_CYCLE_1)
	v_cmp_ne_u32_e32 vcc_lo, 0, v5
	s_and_b32 s13, s27, vcc_lo
	s_and_saveexec_b32 s12, s13
	s_cbranch_execz .LBB10_999
; %bb.978:                              ;   in Loop: Header=BB10_927 Depth=2
	s_and_saveexec_b32 s13, s3
	s_delay_alu instid0(SALU_CYCLE_1)
	s_xor_b32 s13, exec_lo, s13
	s_cbranch_execz .LBB10_996
; %bb.979:                              ;   in Loop: Header=BB10_927 Depth=2
	s_and_saveexec_b32 s28, s1
	s_cbranch_execz .LBB10_995
; %bb.980:                              ;   in Loop: Header=BB10_927 Depth=2
	s_mov_b32 vcc_hi, exec_lo
	s_mov_b32 s29, exec_lo
	v_mbcnt_lo_u32_b32 v5, vcc_hi, 0
	s_waitcnt lgkmcnt(0)
	s_waitcnt_vscnt null, 0x0
	buffer_gl1_inv
	buffer_gl0_inv
	v_cmpx_eq_u32_e32 0, v5
	s_cbranch_execz .LBB10_982
; %bb.981:                              ;   in Loop: Header=BB10_927 Depth=2
	s_bcnt1_i32_b32 vcc_lo, vcc_hi
	s_delay_alu instid0(SALU_CYCLE_1)
	v_mov_b32_e32 v36, vcc_lo
	ds_add_u64 v0, v[36:37]
	s_cbranch_execnz .LBB10_1403
.LBB10_982:                             ;   in Loop: Header=BB10_927 Depth=2
	s_or_b32 exec_lo, exec_lo, s29
	s_cbranch_execnz .LBB10_1379
; %bb.983:                              ;   in Loop: Header=BB10_927 Depth=2
	ds_load_b64 v[50:51], v0
	v_add_co_u32 v28, vcc_lo, v28, v82
	v_add_co_ci_u32_e32 v29, vcc_lo, 0, v29, vcc_lo
	s_mov_b32 s29, exec_lo
	s_waitcnt lgkmcnt(0)
	s_delay_alu instid0(VALU_DEP_1)
	v_cmpx_lt_u64_e64 v[50:51], v[28:29]
	s_cbranch_execz .LBB10_994
; %bb.984:                              ;   in Loop: Header=BB10_927 Depth=2
	s_mov_b32 vcc_hi, 0
	s_mov_b32 s34, 0
                                        ; implicit-def: $sgpr30
                                        ; implicit-def: $sgpr31
	s_branch .LBB10_986
.LBB10_985:                             ;   in Loop: Header=BB10_986 Depth=3
	s_or_b32 exec_lo, exec_lo, s36
	s_delay_alu instid0(SALU_CYCLE_1) | instskip(NEXT) | instid1(SALU_CYCLE_1)
	s_and_b32 vcc_lo, exec_lo, vcc_lo
	s_or_b32 vcc_hi, vcc_lo, vcc_hi
	s_and_not1_b32 vcc_lo, s30, exec_lo
	s_and_b32 s30, s31, exec_lo
	s_delay_alu instid0(SALU_CYCLE_1)
	s_or_b32 s30, vcc_lo, s30
	s_and_not1_b32 exec_lo, exec_lo, vcc_hi
	s_cbranch_execz .LBB10_992
.LBB10_986:                             ;   Parent Loop BB10_93 Depth=1
                                        ;     Parent Loop BB10_927 Depth=2
                                        ; =>    This Inner Loop Header: Depth=3
	s_add_i32 s34, s34, 1
                                        ; implicit-def: $sgpr36
	s_delay_alu instid0(SALU_CYCLE_1) | instskip(SKIP_1) | instid1(SALU_CYCLE_1)
	s_cmpk_lg_i32 s34, 0x2710
	s_cselect_b32 s35, -1, 0
	s_and_b32 vcc_lo, exec_lo, s35
	s_cbranch_vccz .LBB10_990
.LBB10_987:                             ;   in Loop: Header=BB10_986 Depth=3
	s_and_not1_b32 s31, s31, exec_lo
	s_and_b32 s36, s36, exec_lo
	s_mov_b32 vcc_lo, -1
	s_or_b32 s31, s31, s36
	s_and_saveexec_b32 s36, s35
	s_cbranch_execz .LBB10_985
; %bb.988:                              ;   in Loop: Header=BB10_986 Depth=3
	s_sleep 1
	s_cbranch_execnz .LBB10_1482
; %bb.989:                              ;   in Loop: Header=BB10_986 Depth=3
	ds_load_b64 v[50:51], v0
	s_and_not1_b32 s31, s31, exec_lo
	s_waitcnt lgkmcnt(0)
	v_cmp_ge_u64_e32 vcc_lo, v[50:51], v[28:29]
	s_or_not1_b32 vcc_lo, vcc_lo, exec_lo
	s_branch .LBB10_985
.LBB10_990:                             ;   in Loop: Header=BB10_986 Depth=3
	s_cbranch_execnz .LBB10_1494
; %bb.991:                              ;   in Loop: Header=BB10_986 Depth=3
	ds_load_b64 v[50:51], v0
	s_and_not1_b32 s35, s35, exec_lo
	s_mov_b32 s34, 0
	s_mov_b32 s36, -1
	s_waitcnt lgkmcnt(0)
	flat_load_b32 v5, v[50:51] glc
	s_waitcnt vmcnt(0) lgkmcnt(0)
	buffer_gl1_inv
	buffer_gl0_inv
	v_cmp_eq_u32_e32 vcc_lo, 0, v5
	s_and_b32 vcc_lo, vcc_lo, exec_lo
	s_delay_alu instid0(SALU_CYCLE_1)
	s_or_b32 s35, s35, vcc_lo
	s_branch .LBB10_987
.LBB10_992:                             ;   in Loop: Header=BB10_927 Depth=2
	s_or_b32 exec_lo, exec_lo, vcc_hi
	s_and_saveexec_b32 vcc_lo, s30
	s_delay_alu instid0(SALU_CYCLE_1)
	s_xor_b32 vcc_lo, exec_lo, vcc_lo
	s_cbranch_execz .LBB10_994
; %bb.993:                              ;   in Loop: Header=BB10_927 Depth=2
	ds_store_b32 v0, v117
	s_cbranch_execnz .LBB10_1592
.LBB10_994:                             ;   in Loop: Header=BB10_927 Depth=2
	s_or_b32 exec_lo, exec_lo, s29
	;;#ASMSTART
	s_wakeup
	;;#ASMEND
.LBB10_995:                             ;   in Loop: Header=BB10_927 Depth=2
	s_or_b32 exec_lo, exec_lo, s28
.LBB10_996:                             ;   in Loop: Header=BB10_927 Depth=2
	s_and_not1_saveexec_b32 s13, s13
	s_cbranch_execz .LBB10_998
; %bb.997:                              ;   in Loop: Header=BB10_927 Depth=2
	s_waitcnt lgkmcnt(0)
	s_waitcnt_vscnt null, 0x0
	buffer_gl1_inv
	buffer_gl0_inv
	s_barrier
.LBB10_998:                             ;   in Loop: Header=BB10_927 Depth=2
	s_or_b32 exec_lo, exec_lo, s13
.LBB10_999:                             ;   in Loop: Header=BB10_927 Depth=2
	s_delay_alu instid0(SALU_CYCLE_1)
	s_or_b32 exec_lo, exec_lo, s12
	s_cbranch_execnz .LBB10_1281
; %bb.1000:                             ;   in Loop: Header=BB10_927 Depth=2
	ds_load_b64 v[50:51], v0
	v_sub_nc_u32_e32 v5, v118, v52
	v_mov_b32_e32 v53, 0
	s_delay_alu instid0(VALU_DEP_2) | instskip(SKIP_3) | instid1(SALU_CYCLE_1)
	v_min_i32_e32 v119, v119, v5
	s_waitcnt lgkmcnt(0)
	v_cmp_eq_u64_e32 vcc_lo, 0, v[50:51]
	s_or_b32 s12, vcc_lo, vcc_lo
	s_and_b32 vcc_lo, exec_lo, s12
	s_cbranch_vccnz .LBB10_1034
; %bb.1001:                             ;   in Loop: Header=BB10_927 Depth=2
	s_mov_b32 s12, -1
	s_and_saveexec_b32 s13, s11
	s_cbranch_execz .LBB10_1003
; %bb.1002:                             ;   in Loop: Header=BB10_927 Depth=2
	ds_load_b32 v5, v0 offset:720
	s_waitcnt lgkmcnt(0)
	v_and_b32_e32 v5, 15, v5
	s_delay_alu instid0(VALU_DEP_1)
	v_cmp_eq_u32_e32 vcc_lo, 0, v5
	s_or_not1_b32 s12, vcc_lo, exec_lo
.LBB10_1003:                            ;   in Loop: Header=BB10_927 Depth=2
	s_or_b32 exec_lo, exec_lo, s13
	s_and_saveexec_b32 s13, s4
	s_cbranch_execz .LBB10_1005
; %bb.1004:                             ;   in Loop: Header=BB10_927 Depth=2
	ds_load_b32 v5, v0 offset:784
	s_waitcnt lgkmcnt(0)
	v_and_b32_e32 v5, 15, v5
	s_delay_alu instid0(VALU_DEP_1) | instskip(SKIP_3) | instid1(SALU_CYCLE_1)
	v_cmp_eq_u32_e32 vcc_lo, 0, v5
	s_and_b32 s28, s12, vcc_lo
	s_and_not1_b32 s12, s12, exec_lo
	s_and_b32 s28, s28, exec_lo
	s_or_b32 s12, s12, s28
.LBB10_1005:                            ;   in Loop: Header=BB10_927 Depth=2
	s_or_b32 exec_lo, exec_lo, s13
	v_cmp_eq_u32_e32 vcc_lo, 0, v4
	s_xor_b32 s12, s12, -1
	v_mov_b32_e32 v128, v71
	v_cndmask_b32_e64 v5, 0, 1, s12
	;;#ASMSTART
	;;#ASMEND
	v_dual_cndmask_b32 v53, 0, v119 :: v_dual_mov_b32 v36, 0
	s_delay_alu instid0(VALU_DEP_2) | instskip(SKIP_1) | instid1(VALU_DEP_2)
	v_cmp_ne_u32_e32 vcc_lo, 0, v5
	s_mov_b32 s12, -1
	v_dual_mov_b32 v55, v0 :: v_dual_mov_b32 v54, v53
	s_cbranch_vccnz .LBB10_1021
; %bb.1006:                             ;   in Loop: Header=BB10_927 Depth=2
	v_ashrrev_i32_e32 v4, 31, v53
	s_mov_b32 s13, exec_lo
	s_delay_alu instid0(VALU_DEP_1) | instskip(NEXT) | instid1(VALU_DEP_1)
	v_lshrrev_b32_e32 v4, 21, v4
	v_add_nc_u32_e32 v4, v53, v4
	s_delay_alu instid0(VALU_DEP_1) | instskip(NEXT) | instid1(VALU_DEP_1)
	v_ashrrev_i32_e32 v36, 11, v4
	v_sub_nc_u32_e32 v64, v36, v71
	s_delay_alu instid0(VALU_DEP_1)
	v_cmpx_lt_i32_e32 0, v64
	s_cbranch_execz .LBB10_1011
; %bb.1007:                             ;   in Loop: Header=BB10_927 Depth=2
	s_cbranch_execnz .LBB10_1435
; %bb.1008:                             ;   in Loop: Header=BB10_927 Depth=2
	ds_load_b64 v[4:5], v0
	s_mov_b32 s28, 0
	s_waitcnt lgkmcnt(0)
	v_dual_mov_b32 v51, v5 :: v_dual_mov_b32 v50, v4
	s_set_inst_prefetch_distance 0x1
.LBB10_1009:                            ;   Parent Loop BB10_93 Depth=1
                                        ;     Parent Loop BB10_927 Depth=2
                                        ; =>    This Inner Loop Header: Depth=3
	s_delay_alu instid0(VALU_DEP_1) | instskip(NEXT) | instid1(VALU_DEP_2)
	v_add_co_u32 v54, vcc_lo, v103, v50
	v_add_co_ci_u32_e32 v55, vcc_lo, v114, v51, vcc_lo
	v_sub_nc_u32_e32 v64, v64, v82
	s_clause 0x3
	global_load_b128 v[128:131], v[54:55], off slc dlc
	global_load_b128 v[132:135], v[54:55], off offset:512 slc dlc
	global_load_b128 v[144:147], v[54:55], off offset:1024 slc dlc
	;; [unrolled: 1-line block ×3, first 2 shown]
	v_add_co_u32 v54, vcc_lo, v103, v4
	v_add_co_ci_u32_e32 v55, vcc_lo, v114, v5, vcc_lo
	v_add_co_u32 v50, vcc_lo, v50, v115
	v_add_co_ci_u32_e32 v51, vcc_lo, v51, v116, vcc_lo
	v_add_co_u32 v4, vcc_lo, v4, v115
	v_cmp_gt_i32_e64 s12, 1, v64
	v_add_co_ci_u32_e32 v5, vcc_lo, v5, v116, vcc_lo
	s_waitcnt vmcnt(3)
	global_store_b128 v[54:55], v[128:131], off glc slc dlc
	s_waitcnt vmcnt(2)
	global_store_b128 v[54:55], v[132:135], off offset:512 glc slc dlc
	s_waitcnt vmcnt(1)
	global_store_b128 v[54:55], v[144:147], off offset:1024 glc slc dlc
	;; [unrolled: 2-line block ×3, first 2 shown]
	s_or_b32 s28, s12, s28
	s_delay_alu instid0(SALU_CYCLE_1)
	s_and_not1_b32 exec_lo, exec_lo, s28
	s_cbranch_execnz .LBB10_1009
; %bb.1010:                             ;   in Loop: Header=BB10_927 Depth=2
	s_set_inst_prefetch_distance 0x2
	s_or_b32 exec_lo, exec_lo, s28
.LBB10_1011:                            ;   in Loop: Header=BB10_927 Depth=2
	s_delay_alu instid0(SALU_CYCLE_1) | instskip(SKIP_4) | instid1(VALU_DEP_2)
	s_or_b32 exec_lo, exec_lo, s13
	v_lshlrev_b32_e32 v50, 11, v36
	v_mov_b32_e32 v36, 0
	s_mov_b32 s12, 0
	s_mov_b32 s28, exec_lo
                                        ; implicit-def: $vgpr54
                                        ; implicit-def: $vgpr55
                                        ; implicit-def: $vgpr128
	v_cmpx_ne_u32_e64 v53, v50
	s_cbranch_execz .LBB10_1020
; %bb.1012:                             ;   in Loop: Header=BB10_927 Depth=2
	v_lshlrev_b32_e32 v4, 5, v64
	v_sub_nc_u32_e32 v36, v53, v50
	s_mov_b32 s29, exec_lo
	s_delay_alu instid0(VALU_DEP_2) | instskip(NEXT) | instid1(VALU_DEP_2)
	v_sub_nc_u32_e32 v4, v81, v4
	v_ashrrev_i32_e32 v51, 31, v36
	s_delay_alu instid0(VALU_DEP_2) | instskip(NEXT) | instid1(VALU_DEP_2)
	v_ashrrev_i32_e32 v5, 31, v4
	v_lshrrev_b32_e32 v51, 23, v51
	s_delay_alu instid0(VALU_DEP_2) | instskip(NEXT) | instid1(VALU_DEP_2)
	v_lshrrev_b32_e32 v5, 27, v5
	v_add_nc_u32_e32 v55, v36, v51
	s_delay_alu instid0(VALU_DEP_2) | instskip(NEXT) | instid1(VALU_DEP_2)
	v_add_nc_u32_e32 v5, v4, v5
	v_and_b32_e32 v51, 0xfffffe00, v55
	v_ashrrev_i32_e32 v55, 9, v55
	s_delay_alu instid0(VALU_DEP_3) | instskip(NEXT) | instid1(VALU_DEP_3)
	v_and_b32_e32 v54, 0xffffffe0, v5
	v_sub_nc_u32_e32 v65, v36, v51
	s_delay_alu instid0(VALU_DEP_2) | instskip(SKIP_1) | instid1(VALU_DEP_3)
	v_sub_nc_u32_e32 v64, v4, v54
	v_ashrrev_i32_e32 v4, 5, v5
	v_cmp_lt_i32_e32 vcc_lo, 15, v65
	s_delay_alu instid0(VALU_DEP_3) | instskip(NEXT) | instid1(VALU_DEP_1)
	v_lshlrev_b32_e32 v5, 4, v64
	v_lshl_add_u32 v54, v4, 9, v5
	v_add_co_ci_u32_e64 v5, s12, 0, v55, vcc_lo
	s_delay_alu instid0(VALU_DEP_2) | instskip(NEXT) | instid1(VALU_DEP_2)
	v_sub_nc_u32_e32 v36, v36, v54
	v_sub_nc_u32_e32 v129, v5, v4
	s_delay_alu instid0(VALU_DEP_2)
	v_cmpx_lt_i32_e32 15, v36
	s_cbranch_execz .LBB10_1017
; %bb.1013:                             ;   in Loop: Header=BB10_927 Depth=2
	s_cbranch_execnz .LBB10_1508
; %bb.1014:                             ;   in Loop: Header=BB10_927 Depth=2
	ds_load_b64 v[4:5], v0
	v_add_nc_u32_e32 v54, v54, v50
	s_mov_b32 vcc_hi, 0
	s_delay_alu instid0(VALU_DEP_1)
	v_ashrrev_i32_e32 v55, 31, v54
.LBB10_1015:                            ;   Parent Loop BB10_93 Depth=1
                                        ;     Parent Loop BB10_927 Depth=2
                                        ; =>    This Inner Loop Header: Depth=3
	s_waitcnt lgkmcnt(0)
	v_add_co_u32 v134, s12, v4, v54
	s_delay_alu instid0(VALU_DEP_1)
	v_add_co_ci_u32_e64 v135, s12, v5, v55, s12
	v_sub_nc_u32_e32 v36, v36, v84
	v_add_co_u32 v54, s13, v54, v100
	global_load_b128 v[130:133], v[134:135], off slc dlc
	v_sub_nc_u32_e32 v129, v129, v82
	v_cmp_gt_i32_e64 s12, 16, v36
	v_add_co_ci_u32_e64 v55, s13, v55, v101, s13
	s_delay_alu instid0(VALU_DEP_2)
	s_or_b32 vcc_hi, s12, vcc_hi
	s_waitcnt vmcnt(0)
	global_store_b128 v[134:135], v[130:133], off glc slc dlc
	s_and_not1_b32 exec_lo, exec_lo, vcc_hi
	s_cbranch_execnz .LBB10_1015
; %bb.1016:                             ;   in Loop: Header=BB10_927 Depth=2
	s_or_b32 exec_lo, exec_lo, vcc_hi
.LBB10_1017:                            ;   in Loop: Header=BB10_927 Depth=2
	s_delay_alu instid0(SALU_CYCLE_1) | instskip(SKIP_4) | instid1(VALU_DEP_2)
	s_or_b32 exec_lo, exec_lo, s29
	v_and_b32_e32 v4, 15, v53
	v_mov_b32_e32 v36, 0
	s_mov_b32 s13, 0
	s_mov_b32 s29, exec_lo
                                        ; implicit-def: $vgpr55
                                        ; implicit-def: $vgpr128
	v_cndmask_b32_e32 v54, v65, v4, vcc_lo
	s_delay_alu instid0(VALU_DEP_1)
	v_cmpx_ne_u32_e32 0, v54
; %bb.1018:                             ;   in Loop: Header=BB10_927 Depth=2
	v_cmp_lt_i32_e64 s12, 0, v129
	v_sub_nc_u32_e32 v4, v65, v4
	s_mov_b32 s13, exec_lo
	s_delay_alu instid0(VALU_DEP_2) | instskip(NEXT) | instid1(VALU_DEP_1)
	v_cndmask_b32_e64 v5, 0, v82, s12
	v_sub_nc_u32_e32 v5, v5, v129
	s_delay_alu instid0(VALU_DEP_1) | instskip(NEXT) | instid1(VALU_DEP_1)
	v_lshl_add_u32 v55, v5, 5, v64
	v_ashrrev_i32_e32 v5, 31, v55
	s_delay_alu instid0(VALU_DEP_1) | instskip(NEXT) | instid1(VALU_DEP_1)
	v_lshrrev_b32_e32 v5, 27, v5
	v_dual_cndmask_b32 v4, 0, v4 :: v_dual_add_nc_u32 v5, v55, v5
	s_delay_alu instid0(VALU_DEP_1) | instskip(NEXT) | instid1(VALU_DEP_2)
	v_add3_u32 v36, v51, v50, v4
	v_ashrrev_i32_e32 v128, 5, v5
; %bb.1019:                             ;   in Loop: Header=BB10_927 Depth=2
	s_or_b32 exec_lo, exec_lo, s29
	s_delay_alu instid0(SALU_CYCLE_1)
	s_and_b32 s12, s13, exec_lo
.LBB10_1020:                            ;   in Loop: Header=BB10_927 Depth=2
	s_or_b32 exec_lo, exec_lo, s28
.LBB10_1021:                            ;   in Loop: Header=BB10_927 Depth=2
	s_and_saveexec_b32 s13, s12
	s_cbranch_execz .LBB10_1033
; %bb.1022:                             ;   in Loop: Header=BB10_927 Depth=2
	s_delay_alu instid0(VALU_DEP_1) | instskip(SKIP_1) | instid1(VALU_DEP_1)
	v_ashrrev_i32_e32 v4, 31, v54
	s_mov_b32 s12, exec_lo
	v_lshrrev_b32_e32 v4, 23, v4
	s_delay_alu instid0(VALU_DEP_1) | instskip(NEXT) | instid1(VALU_DEP_1)
	v_add_nc_u32_e32 v4, v54, v4
	v_ashrrev_i32_e32 v65, 9, v4
	s_delay_alu instid0(VALU_DEP_1) | instskip(NEXT) | instid1(VALU_DEP_1)
	v_sub_nc_u32_e32 v64, v65, v128
	v_cmpx_lt_i32_e32 0, v64
	s_cbranch_execz .LBB10_1027
; %bb.1023:                             ;   in Loop: Header=BB10_927 Depth=2
	s_cbranch_execnz .LBB10_1423
; %bb.1024:                             ;   in Loop: Header=BB10_927 Depth=2
	v_ashrrev_i32_e32 v4, 31, v55
	s_mov_b32 s28, 0
	s_delay_alu instid0(VALU_DEP_1) | instskip(NEXT) | instid1(VALU_DEP_1)
	v_lshrrev_b32_e32 v4, 27, v4
	v_add_nc_u32_e32 v50, v55, v4
	ds_load_b64 v[4:5], v0
	v_lshlrev_b32_e32 v51, 9, v128
	v_and_b32_e32 v50, 0xffffffe0, v50
	s_delay_alu instid0(VALU_DEP_1) | instskip(NEXT) | instid1(VALU_DEP_1)
	v_sub_nc_u32_e32 v50, v55, v50
	v_add3_u32 v128, v36, v50, v51
	s_delay_alu instid0(VALU_DEP_1)
	v_ashrrev_i32_e32 v129, 31, v128
	s_waitcnt lgkmcnt(0)
	v_dual_mov_b32 v51, v5 :: v_dual_mov_b32 v50, v4
.LBB10_1025:                            ;   Parent Loop BB10_93 Depth=1
                                        ;     Parent Loop BB10_927 Depth=2
                                        ; =>    This Inner Loop Header: Depth=3
	s_delay_alu instid0(VALU_DEP_1) | instskip(NEXT) | instid1(VALU_DEP_2)
	v_add_co_u32 v130, vcc_lo, v128, v50
	v_add_co_ci_u32_e32 v131, vcc_lo, v129, v51, vcc_lo
	v_sub_nc_u32_e32 v64, v64, v82
	s_clause 0xf
	flat_load_u8 v132, v[130:131] slc dlc
	flat_load_u8 v133, v[130:131] offset:32 slc dlc
	flat_load_u8 v134, v[130:131] offset:64 slc dlc
	;; [unrolled: 1-line block ×15, first 2 shown]
	v_add_co_u32 v130, vcc_lo, v128, v4
	v_add_co_ci_u32_e32 v131, vcc_lo, v129, v5, vcc_lo
	v_add_co_u32 v50, vcc_lo, v50, v100
	v_add_co_ci_u32_e32 v51, vcc_lo, v51, v101, vcc_lo
	;; [unrolled: 2-line block ×3, first 2 shown]
	v_cmp_gt_i32_e32 vcc_lo, 1, v64
	s_waitcnt vmcnt(15) lgkmcnt(15)
	flat_store_b8 v[130:131], v132 glc slc dlc
	s_waitcnt vmcnt(14) lgkmcnt(15)
	flat_store_b8 v[130:131], v133 offset:32 glc slc dlc
	s_waitcnt vmcnt(13) lgkmcnt(15)
	flat_store_b8 v[130:131], v134 offset:64 glc slc dlc
	;; [unrolled: 2-line block ×15, first 2 shown]
	s_or_b32 s28, vcc_lo, s28
	s_delay_alu instid0(SALU_CYCLE_1)
	s_and_not1_b32 exec_lo, exec_lo, s28
	s_cbranch_execnz .LBB10_1025
; %bb.1026:                             ;   in Loop: Header=BB10_927 Depth=2
	s_or_b32 exec_lo, exec_lo, s28
.LBB10_1027:                            ;   in Loop: Header=BB10_927 Depth=2
	s_delay_alu instid0(SALU_CYCLE_1) | instskip(SKIP_2) | instid1(VALU_DEP_1)
	s_or_b32 exec_lo, exec_lo, s12
	v_lshlrev_b32_e32 v4, 9, v65
	s_mov_b32 s28, exec_lo
	v_cmpx_ne_u32_e64 v54, v4
	s_cbranch_execz .LBB10_1032
; %bb.1028:                             ;   in Loop: Header=BB10_927 Depth=2
	v_ashrrev_i32_e32 v5, 31, v55
	v_lshlrev_b32_e32 v50, 5, v64
	s_delay_alu instid0(VALU_DEP_2) | instskip(NEXT) | instid1(VALU_DEP_1)
	v_lshrrev_b32_e32 v5, 27, v5
	v_add_nc_u32_e32 v5, v55, v5
	s_delay_alu instid0(VALU_DEP_1) | instskip(NEXT) | instid1(VALU_DEP_1)
	v_and_b32_e32 v5, 0xffffffe0, v5
	v_sub_nc_u32_e32 v5, v55, v5
	s_delay_alu instid0(VALU_DEP_1) | instskip(NEXT) | instid1(VALU_DEP_1)
	v_sub_nc_u32_e32 v5, v5, v50
	v_add_nc_u32_e32 v51, v4, v5
	s_delay_alu instid0(VALU_DEP_1) | instskip(NEXT) | instid1(VALU_DEP_1)
	v_sub_nc_u32_e32 v50, v54, v51
	v_cmp_lt_i32_e32 vcc_lo, 0, v50
	s_and_b32 exec_lo, exec_lo, vcc_lo
	s_cbranch_execz .LBB10_1032
; %bb.1029:                             ;   in Loop: Header=BB10_927 Depth=2
	s_cbranch_execnz .LBB10_1500
; %bb.1030:                             ;   in Loop: Header=BB10_927 Depth=2
	ds_load_b64 v[4:5], v0
	v_add_nc_u32_e32 v36, v51, v36
	s_mov_b32 s29, 0
	s_delay_alu instid0(VALU_DEP_1)
	v_ashrrev_i32_e32 v51, 31, v36
.LBB10_1031:                            ;   Parent Loop BB10_93 Depth=1
                                        ;     Parent Loop BB10_927 Depth=2
                                        ; =>    This Inner Loop Header: Depth=3
	s_waitcnt lgkmcnt(0)
	v_add_co_u32 v54, vcc_lo, v4, v36
	s_delay_alu instid0(VALU_DEP_2)
	v_add_co_ci_u32_e32 v55, vcc_lo, v5, v51, vcc_lo
	v_sub_nc_u32_e32 v50, v50, v87
	v_add_co_u32 v36, s12, v36, v112
	flat_load_u8 v64, v[54:55] slc dlc
	v_add_co_ci_u32_e64 v51, s12, v51, v113, s12
	v_cmp_gt_i32_e32 vcc_lo, 1, v50
	s_or_b32 s29, vcc_lo, s29
	s_waitcnt vmcnt(0) lgkmcnt(0)
	flat_store_b8 v[54:55], v64 glc slc dlc
	s_and_not1_b32 exec_lo, exec_lo, s29
	s_cbranch_execnz .LBB10_1031
.LBB10_1032:                            ;   in Loop: Header=BB10_927 Depth=2
	s_or_b32 exec_lo, exec_lo, s28
.LBB10_1033:                            ;   in Loop: Header=BB10_927 Depth=2
	s_delay_alu instid0(SALU_CYCLE_1)
	s_or_b32 exec_lo, exec_lo, s13
.LBB10_1034:                            ;   in Loop: Header=BB10_927 Depth=2
	s_and_saveexec_b32 s12, s2
	s_cbranch_execz .LBB10_1056
; %bb.1035:                             ;   in Loop: Header=BB10_927 Depth=2
	s_and_saveexec_b32 s13, s3
	s_delay_alu instid0(SALU_CYCLE_1)
	s_xor_b32 s13, exec_lo, s13
	s_cbranch_execz .LBB10_1053
; %bb.1036:                             ;   in Loop: Header=BB10_927 Depth=2
	s_and_saveexec_b32 s28, s1
	s_cbranch_execz .LBB10_1052
; %bb.1037:                             ;   in Loop: Header=BB10_927 Depth=2
	s_mov_b32 vcc_hi, exec_lo
	s_mov_b32 s29, exec_lo
	v_mbcnt_lo_u32_b32 v4, vcc_hi, 0
	s_waitcnt lgkmcnt(0)
	s_waitcnt_vscnt null, 0x0
	buffer_gl1_inv
	buffer_gl0_inv
	v_cmpx_eq_u32_e32 0, v4
	s_cbranch_execz .LBB10_1039
; %bb.1038:                             ;   in Loop: Header=BB10_927 Depth=2
	s_bcnt1_i32_b32 vcc_lo, vcc_hi
	s_delay_alu instid0(SALU_CYCLE_1)
	v_mov_b32_e32 v36, vcc_lo
	ds_add_u64 v0, v[36:37]
	s_cbranch_execnz .LBB10_1486
.LBB10_1039:                            ;   in Loop: Header=BB10_927 Depth=2
	s_or_b32 exec_lo, exec_lo, s29
	s_cbranch_execnz .LBB10_1462
; %bb.1040:                             ;   in Loop: Header=BB10_927 Depth=2
	ds_load_b64 v[4:5], v0
	v_add_co_u32 v28, vcc_lo, v28, v82
	v_add_co_ci_u32_e32 v29, vcc_lo, 0, v29, vcc_lo
	s_mov_b32 s29, exec_lo
	s_waitcnt lgkmcnt(0)
	s_delay_alu instid0(VALU_DEP_1)
	v_cmpx_lt_u64_e64 v[4:5], v[28:29]
	s_cbranch_execz .LBB10_1051
; %bb.1041:                             ;   in Loop: Header=BB10_927 Depth=2
	s_mov_b32 vcc_hi, 0
	s_mov_b32 s34, 0
                                        ; implicit-def: $sgpr30
                                        ; implicit-def: $sgpr31
	s_branch .LBB10_1043
.LBB10_1042:                            ;   in Loop: Header=BB10_1043 Depth=3
	s_or_b32 exec_lo, exec_lo, s36
	s_delay_alu instid0(SALU_CYCLE_1) | instskip(NEXT) | instid1(SALU_CYCLE_1)
	s_and_b32 vcc_lo, exec_lo, vcc_lo
	s_or_b32 vcc_hi, vcc_lo, vcc_hi
	s_and_not1_b32 vcc_lo, s30, exec_lo
	s_and_b32 s30, s31, exec_lo
	s_delay_alu instid0(SALU_CYCLE_1)
	s_or_b32 s30, vcc_lo, s30
	s_and_not1_b32 exec_lo, exec_lo, vcc_hi
	s_cbranch_execz .LBB10_1049
.LBB10_1043:                            ;   Parent Loop BB10_93 Depth=1
                                        ;     Parent Loop BB10_927 Depth=2
                                        ; =>    This Inner Loop Header: Depth=3
	s_add_i32 s34, s34, 1
                                        ; implicit-def: $sgpr36
	s_delay_alu instid0(SALU_CYCLE_1) | instskip(SKIP_1) | instid1(SALU_CYCLE_1)
	s_cmpk_lg_i32 s34, 0x2710
	s_cselect_b32 s35, -1, 0
	s_and_b32 vcc_lo, exec_lo, s35
	s_cbranch_vccz .LBB10_1047
.LBB10_1044:                            ;   in Loop: Header=BB10_1043 Depth=3
	s_and_not1_b32 s31, s31, exec_lo
	s_and_b32 s36, s36, exec_lo
	s_mov_b32 vcc_lo, -1
	s_or_b32 s31, s31, s36
	s_and_saveexec_b32 s36, s35
	s_cbranch_execz .LBB10_1042
; %bb.1045:                             ;   in Loop: Header=BB10_1043 Depth=3
	s_sleep 1
	s_cbranch_execnz .LBB10_1532
; %bb.1046:                             ;   in Loop: Header=BB10_1043 Depth=3
	ds_load_b64 v[4:5], v0
	s_and_not1_b32 s31, s31, exec_lo
	s_waitcnt lgkmcnt(0)
	v_cmp_ge_u64_e32 vcc_lo, v[4:5], v[28:29]
	s_or_not1_b32 vcc_lo, vcc_lo, exec_lo
	s_branch .LBB10_1042
.LBB10_1047:                            ;   in Loop: Header=BB10_1043 Depth=3
	s_cbranch_execnz .LBB10_1544
; %bb.1048:                             ;   in Loop: Header=BB10_1043 Depth=3
	ds_load_b64 v[4:5], v0
	s_and_not1_b32 s35, s35, exec_lo
	s_mov_b32 s34, 0
	s_mov_b32 s36, -1
	s_waitcnt lgkmcnt(0)
	flat_load_b32 v4, v[4:5] glc
	s_waitcnt vmcnt(0) lgkmcnt(0)
	buffer_gl1_inv
	buffer_gl0_inv
	v_cmp_eq_u32_e32 vcc_lo, 0, v4
	s_and_b32 vcc_lo, vcc_lo, exec_lo
	s_delay_alu instid0(SALU_CYCLE_1)
	s_or_b32 s35, s35, vcc_lo
	s_branch .LBB10_1044
.LBB10_1049:                            ;   in Loop: Header=BB10_927 Depth=2
	s_or_b32 exec_lo, exec_lo, vcc_hi
	s_and_saveexec_b32 vcc_lo, s30
	s_delay_alu instid0(SALU_CYCLE_1)
	s_xor_b32 vcc_lo, exec_lo, vcc_lo
	s_cbranch_execz .LBB10_1051
; %bb.1050:                             ;   in Loop: Header=BB10_927 Depth=2
	ds_store_b32 v0, v117
	s_cbranch_execnz .LBB10_1604
.LBB10_1051:                            ;   in Loop: Header=BB10_927 Depth=2
	s_or_b32 exec_lo, exec_lo, s29
	;;#ASMSTART
	s_wakeup
	;;#ASMEND
.LBB10_1052:                            ;   in Loop: Header=BB10_927 Depth=2
	s_or_b32 exec_lo, exec_lo, s28
.LBB10_1053:                            ;   in Loop: Header=BB10_927 Depth=2
	s_and_not1_saveexec_b32 s13, s13
	s_cbranch_execz .LBB10_1055
; %bb.1054:                             ;   in Loop: Header=BB10_927 Depth=2
	s_waitcnt lgkmcnt(0)
	s_waitcnt_vscnt null, 0x0
	buffer_gl1_inv
	buffer_gl0_inv
	s_barrier
.LBB10_1055:                            ;   in Loop: Header=BB10_927 Depth=2
	s_or_b32 exec_lo, exec_lo, s13
.LBB10_1056:                            ;   in Loop: Header=BB10_927 Depth=2
	s_delay_alu instid0(SALU_CYCLE_1) | instskip(SKIP_1) | instid1(SALU_CYCLE_1)
	s_or_b32 exec_lo, exec_lo, s12
	s_and_saveexec_b32 s12, s6
	s_xor_b32 s13, exec_lo, s12
	s_cbranch_execz .LBB10_1060
; %bb.1057:                             ;   in Loop: Header=BB10_927 Depth=2
	v_and_b32_e32 v4, 16, v30
	v_cmp_lt_i32_e32 vcc_lo, 0, v53
	s_delay_alu instid0(VALU_DEP_2) | instskip(NEXT) | instid1(VALU_DEP_1)
	v_cmp_ne_u32_e64 s12, 0, v4
	s_and_b32 s28, s12, vcc_lo
	s_delay_alu instid0(SALU_CYCLE_1)
	s_and_saveexec_b32 s12, s28
	s_cbranch_execz .LBB10_1059
; %bb.1058:                             ;   in Loop: Header=BB10_927 Depth=2
	s_waitcnt lgkmcnt(0)
	s_waitcnt_vscnt null, 0x0
	buffer_gl1_inv
	buffer_gl0_inv
.LBB10_1059:                            ;   in Loop: Header=BB10_927 Depth=2
	s_or_b32 exec_lo, exec_lo, s12
.LBB10_1060:                            ;   in Loop: Header=BB10_927 Depth=2
	s_and_not1_saveexec_b32 s12, s13
	s_cbranch_execz .LBB10_1082
; %bb.1061:                             ;   in Loop: Header=BB10_927 Depth=2
	s_and_saveexec_b32 s13, s3
	s_delay_alu instid0(SALU_CYCLE_1)
	s_xor_b32 s13, exec_lo, s13
	s_cbranch_execz .LBB10_1079
; %bb.1062:                             ;   in Loop: Header=BB10_927 Depth=2
	s_and_saveexec_b32 s28, s1
	s_cbranch_execz .LBB10_1078
; %bb.1063:                             ;   in Loop: Header=BB10_927 Depth=2
	s_mov_b32 vcc_hi, exec_lo
	s_mov_b32 s29, exec_lo
	v_mbcnt_lo_u32_b32 v4, vcc_hi, 0
	;;#ASMSTART
	s_waitcnt lgkmcnt(0) vmcnt(0)
	;;#ASMEND
	s_delay_alu instid0(VALU_DEP_1)
	v_cmpx_eq_u32_e32 0, v4
	s_cbranch_execz .LBB10_1065
; %bb.1064:                             ;   in Loop: Header=BB10_927 Depth=2
	s_bcnt1_i32_b32 vcc_lo, vcc_hi
	s_delay_alu instid0(SALU_CYCLE_1)
	v_mov_b32_e32 v36, vcc_lo
	ds_add_u64 v0, v[36:37]
	s_cbranch_execnz .LBB10_1490
.LBB10_1065:                            ;   in Loop: Header=BB10_927 Depth=2
	s_or_b32 exec_lo, exec_lo, s29
	s_cbranch_execnz .LBB10_1468
; %bb.1066:                             ;   in Loop: Header=BB10_927 Depth=2
	ds_load_b64 v[4:5], v0
	v_add_co_u32 v28, vcc_lo, v28, v82
	v_add_co_ci_u32_e32 v29, vcc_lo, 0, v29, vcc_lo
	s_mov_b32 s29, exec_lo
	s_waitcnt lgkmcnt(0)
	s_delay_alu instid0(VALU_DEP_1)
	v_cmpx_lt_u64_e64 v[4:5], v[28:29]
	s_cbranch_execz .LBB10_1077
; %bb.1067:                             ;   in Loop: Header=BB10_927 Depth=2
	s_mov_b32 vcc_hi, 0
	s_mov_b32 s34, 0
                                        ; implicit-def: $sgpr30
                                        ; implicit-def: $sgpr31
	s_branch .LBB10_1069
.LBB10_1068:                            ;   in Loop: Header=BB10_1069 Depth=3
	s_or_b32 exec_lo, exec_lo, s36
	s_delay_alu instid0(SALU_CYCLE_1) | instskip(NEXT) | instid1(SALU_CYCLE_1)
	s_and_b32 vcc_lo, exec_lo, vcc_lo
	s_or_b32 vcc_hi, vcc_lo, vcc_hi
	s_and_not1_b32 vcc_lo, s30, exec_lo
	s_and_b32 s30, s31, exec_lo
	s_delay_alu instid0(SALU_CYCLE_1)
	s_or_b32 s30, vcc_lo, s30
	s_and_not1_b32 exec_lo, exec_lo, vcc_hi
	s_cbranch_execz .LBB10_1075
.LBB10_1069:                            ;   Parent Loop BB10_93 Depth=1
                                        ;     Parent Loop BB10_927 Depth=2
                                        ; =>    This Inner Loop Header: Depth=3
	s_add_i32 s34, s34, 1
                                        ; implicit-def: $sgpr36
	s_delay_alu instid0(SALU_CYCLE_1) | instskip(SKIP_1) | instid1(SALU_CYCLE_1)
	s_cmpk_lg_i32 s34, 0x2710
	s_cselect_b32 s35, -1, 0
	s_and_b32 vcc_lo, exec_lo, s35
	s_cbranch_vccz .LBB10_1073
.LBB10_1070:                            ;   in Loop: Header=BB10_1069 Depth=3
	s_and_not1_b32 s31, s31, exec_lo
	s_and_b32 s36, s36, exec_lo
	s_mov_b32 vcc_lo, -1
	s_or_b32 s31, s31, s36
	s_and_saveexec_b32 s36, s35
	s_cbranch_execz .LBB10_1068
; %bb.1071:                             ;   in Loop: Header=BB10_1069 Depth=3
	s_sleep 1
	s_cbranch_execnz .LBB10_1538
; %bb.1072:                             ;   in Loop: Header=BB10_1069 Depth=3
	ds_load_b64 v[4:5], v0
	s_and_not1_b32 s31, s31, exec_lo
	s_waitcnt lgkmcnt(0)
	v_cmp_ge_u64_e32 vcc_lo, v[4:5], v[28:29]
	s_or_not1_b32 vcc_lo, vcc_lo, exec_lo
	s_branch .LBB10_1068
.LBB10_1073:                            ;   in Loop: Header=BB10_1069 Depth=3
	s_cbranch_execnz .LBB10_1548
; %bb.1074:                             ;   in Loop: Header=BB10_1069 Depth=3
	ds_load_b64 v[4:5], v0
	s_and_not1_b32 s35, s35, exec_lo
	s_mov_b32 s34, 0
	s_mov_b32 s36, -1
	s_waitcnt lgkmcnt(0)
	s_waitcnt_vscnt null, 0x0
	flat_load_b32 v4, v[4:5] glc
	s_waitcnt vmcnt(0) lgkmcnt(0)
	buffer_gl1_inv
	buffer_gl0_inv
	v_cmp_eq_u32_e32 vcc_lo, 0, v4
	s_and_b32 vcc_lo, vcc_lo, exec_lo
	s_delay_alu instid0(SALU_CYCLE_1)
	s_or_b32 s35, s35, vcc_lo
	s_branch .LBB10_1070
.LBB10_1075:                            ;   in Loop: Header=BB10_927 Depth=2
	s_or_b32 exec_lo, exec_lo, vcc_hi
	s_and_saveexec_b32 vcc_lo, s30
	s_delay_alu instid0(SALU_CYCLE_1)
	s_xor_b32 vcc_lo, exec_lo, vcc_lo
	s_cbranch_execz .LBB10_1077
; %bb.1076:                             ;   in Loop: Header=BB10_927 Depth=2
	ds_store_b32 v0, v117
	s_cbranch_execnz .LBB10_1606
.LBB10_1077:                            ;   in Loop: Header=BB10_927 Depth=2
	s_or_b32 exec_lo, exec_lo, s29
	;;#ASMSTART
	s_wakeup
	;;#ASMEND
.LBB10_1078:                            ;   in Loop: Header=BB10_927 Depth=2
	s_or_b32 exec_lo, exec_lo, s28
.LBB10_1079:                            ;   in Loop: Header=BB10_927 Depth=2
	s_and_not1_saveexec_b32 s13, s13
	s_cbranch_execz .LBB10_1081
; %bb.1080:                             ;   in Loop: Header=BB10_927 Depth=2
	;;#ASMSTART
	s_waitcnt lgkmcnt(0) vmcnt(0)
	;;#ASMEND
	s_waitcnt lgkmcnt(0)
	s_waitcnt_vscnt null, 0x0
	s_barrier
.LBB10_1081:                            ;   in Loop: Header=BB10_927 Depth=2
	s_or_b32 exec_lo, exec_lo, s13
.LBB10_1082:                            ;   in Loop: Header=BB10_927 Depth=2
	s_delay_alu instid0(SALU_CYCLE_1) | instskip(SKIP_2) | instid1(VALU_DEP_1)
	s_or_b32 exec_lo, exec_lo, s12
	v_and_b32_e32 v4, 32, v30
	s_mov_b32 s12, exec_lo
	v_cmpx_ne_u32_e32 0, v4
	s_cbranch_execz .LBB10_1084
; %bb.1083:                             ;   in Loop: Header=BB10_927 Depth=2
	v_add_co_u32 v14, vcc_lo, v14, 2
	v_add_co_ci_u32_e32 v15, vcc_lo, 0, v15, vcc_lo
	s_waitcnt lgkmcnt(0)
	s_waitcnt_vscnt null, 0x0
	flat_store_b64 v[24:25], v[14:15]
.LBB10_1084:                            ;   in Loop: Header=BB10_927 Depth=2
	s_or_b32 exec_lo, exec_lo, s12
	v_add_nc_u32_e32 v52, v119, v52
	s_xor_b32 s12, s16, -1
	v_mov_b32_e32 v4, s17
	s_mov_b32 s16, 0
	s_mov_b32 s17, 2
	v_cmp_ge_i32_e32 vcc_lo, v52, v118
	s_or_b32 s12, s12, vcc_lo
	s_delay_alu instid0(SALU_CYCLE_1) | instskip(NEXT) | instid1(SALU_CYCLE_1)
	s_and_b32 s12, exec_lo, s12
	s_or_b32 s15, s12, s15
	s_delay_alu instid0(SALU_CYCLE_1)
	s_and_not1_b32 exec_lo, exec_lo, s15
	s_cbranch_execnz .LBB10_927
; %bb.1085:                             ;   in Loop: Header=BB10_93 Depth=1
	s_or_b32 exec_lo, exec_lo, s15
.LBB10_1086:                            ;   in Loop: Header=BB10_93 Depth=1
	s_delay_alu instid0(SALU_CYCLE_1) | instskip(NEXT) | instid1(SALU_CYCLE_1)
	s_or_b32 exec_lo, exec_lo, s14
	s_mov_b32 s13, exec_lo
	v_cmpx_gt_i32_e32 2, v4
	s_cbranch_execz .LBB10_1165
; %bb.1087:                             ;   in Loop: Header=BB10_93 Depth=1
	v_cmp_eq_u32_e64 s12, 0, v4
	s_mov_b32 s14, 0
.LBB10_1088:                            ;   Parent Loop BB10_93 Depth=1
                                        ; =>  This Loop Header: Depth=2
                                        ;       Child Loop BB10_1094 Depth 3
                                        ;       Child Loop BB10_1121 Depth 3
	;; [unrolled: 1-line block ×3, first 2 shown]
	v_and_b32_e32 v2, 4, v30
	s_mov_b32 s16, -1
	s_mov_b32 s15, exec_lo
	s_delay_alu instid0(VALU_DEP_1)
	v_cmpx_ne_u32_e32 0, v2
	s_cbranch_execz .LBB10_1102
; %bb.1089:                             ;   in Loop: Header=BB10_1088 Depth=2
	v_add_co_u32 v2, vcc_lo, v14, 2
	v_add_co_ci_u32_e32 v3, vcc_lo, 0, v15, vcc_lo
	v_mov_b32_e32 v4, 1
	s_mov_b32 s16, exec_lo
	s_delay_alu instid0(VALU_DEP_2)
	v_cmpx_lt_u64_e64 v[34:35], v[2:3]
	s_cbranch_execz .LBB10_1101
; %bb.1090:                             ;   in Loop: Header=BB10_1088 Depth=2
	v_mov_b32_e32 v4, 0
	s_mov_b32 s17, 0
                                        ; implicit-def: $sgpr28
	s_branch .LBB10_1094
.LBB10_1091:                            ;   in Loop: Header=BB10_1094 Depth=3
	s_or_b32 exec_lo, exec_lo, s31
	v_mov_b32_e32 v5, 0
	s_or_not1_b32 s30, s30, exec_lo
.LBB10_1092:                            ;   in Loop: Header=BB10_1094 Depth=3
	s_or_b32 exec_lo, exec_lo, vcc_hi
	s_delay_alu instid0(VALU_DEP_1) | instskip(SKIP_2) | instid1(SALU_CYCLE_1)
	v_mov_b32_e32 v4, v5
	s_and_not1_b32 s28, s28, exec_lo
	s_and_b32 vcc_lo, s30, exec_lo
	s_or_b32 s28, s28, vcc_lo
.LBB10_1093:                            ;   in Loop: Header=BB10_1094 Depth=3
	s_or_b32 exec_lo, exec_lo, s29
	s_waitcnt vmcnt(0) lgkmcnt(0)
	v_cmp_ge_u64_e32 vcc_lo, v[34:35], v[2:3]
	s_xor_b32 s29, s28, -1
	s_delay_alu instid0(SALU_CYCLE_1) | instskip(NEXT) | instid1(SALU_CYCLE_1)
	s_or_b32 s29, s29, vcc_lo
	s_and_b32 s29, exec_lo, s29
	s_delay_alu instid0(SALU_CYCLE_1) | instskip(NEXT) | instid1(SALU_CYCLE_1)
	s_or_b32 s17, s29, s17
	s_and_not1_b32 exec_lo, exec_lo, s17
	s_cbranch_execz .LBB10_1100
.LBB10_1094:                            ;   Parent Loop BB10_93 Depth=1
                                        ;     Parent Loop BB10_1088 Depth=2
                                        ; =>    This Inner Loop Header: Depth=3
	s_sleep 1
	flat_load_b64 v[34:35], v[24:25] glc
	v_and_b32_e32 v5, 64, v30
	s_and_not1_b32 s28, s28, exec_lo
	s_mov_b32 s29, exec_lo
	s_delay_alu instid0(VALU_DEP_1)
	v_cmpx_eq_u32_e32 0, v5
	s_cbranch_execz .LBB10_1093
; %bb.1095:                             ;   in Loop: Header=BB10_1094 Depth=3
	v_add_nc_u32_e32 v5, 1, v4
	s_mov_b32 s30, -1
	s_mov_b32 vcc_hi, exec_lo
	v_cmpx_lt_i32_e32 0x270e, v4
	s_cbranch_execz .LBB10_1092
; %bb.1096:                             ;   in Loop: Header=BB10_1094 Depth=3
	s_cbranch_execnz .LBB10_1275
; %bb.1097:                             ;   in Loop: Header=BB10_1094 Depth=3
	ds_load_b64 v[4:5], v0
	s_mov_b32 s31, exec_lo
	s_waitcnt vmcnt(0) lgkmcnt(0)
	s_waitcnt_vscnt null, 0x0
	flat_load_b32 v4, v[4:5] glc
	s_waitcnt vmcnt(0) lgkmcnt(0)
	buffer_gl1_inv
	buffer_gl0_inv
	v_cmpx_ne_u32_e32 0, v4
	s_cbranch_execz .LBB10_1091
; %bb.1098:                             ;   in Loop: Header=BB10_1094 Depth=3
	ds_store_b32 v0, v4
	s_cbranch_execnz .LBB10_1319
; %bb.1099:                             ;   in Loop: Header=BB10_1094 Depth=3
	v_or_b32_e32 v30, 64, v30
	s_xor_b32 s30, exec_lo, -1
	s_branch .LBB10_1091
.LBB10_1100:                            ;   in Loop: Header=BB10_1088 Depth=2
	s_or_b32 exec_lo, exec_lo, s17
	v_and_b32_e32 v4, 4, v30
.LBB10_1101:                            ;   in Loop: Header=BB10_1088 Depth=2
	s_or_b32 exec_lo, exec_lo, s16
	s_delay_alu instid0(VALU_DEP_1)
	v_cmp_eq_u32_e32 vcc_lo, 0, v4
	;;#ASMSTART
	s_wakeup
	;;#ASMEND
	s_or_not1_b32 s16, vcc_lo, exec_lo
.LBB10_1102:                            ;   in Loop: Header=BB10_1088 Depth=2
	s_or_b32 exec_lo, exec_lo, s15
	s_xor_b32 s12, s12, -1
	s_delay_alu instid0(SALU_CYCLE_1) | instskip(NEXT) | instid1(SALU_CYCLE_1)
	s_and_b32 s12, exec_lo, s12
	s_or_b32 s14, s12, s14
	s_xor_b32 s12, s16, -1
	s_delay_alu instid0(SALU_CYCLE_1)
	s_and_saveexec_b32 s15, s12
	s_cbranch_execz .LBB10_1112
; %bb.1103:                             ;   in Loop: Header=BB10_1088 Depth=2
	v_and_b32_e32 v2, 0x100, v30
	v_and_b32_e32 v36, 7, v14
	s_mov_b32 s12, -1
	s_delay_alu instid0(VALU_DEP_2)
	v_cmp_ne_u32_e32 vcc_lo, 0, v2
                                        ; implicit-def: $vgpr2_vgpr3
	s_and_saveexec_b32 s16, vcc_lo
	s_cbranch_execz .LBB10_1107
; %bb.1104:                             ;   in Loop: Header=BB10_1088 Depth=2
	v_mad_u64_u32 v[4:5], null, v36, 24, v[12:13]
	flat_load_b32 v2, v[4:5]
	s_waitcnt vmcnt(0) lgkmcnt(0)
	v_cmp_ne_u32_e32 vcc_lo, 1, v2
	v_cmp_eq_u32_e64 s12, 1, v2
                                        ; implicit-def: $vgpr2_vgpr3
	s_delay_alu instid0(VALU_DEP_1)
	s_and_saveexec_b32 s17, s12
	s_cbranch_execz .LBB10_1106
; %bb.1105:                             ;   in Loop: Header=BB10_1088 Depth=2
	flat_load_b32 v2, v[4:5] offset:4 glc
	s_waitcnt vmcnt(0) lgkmcnt(0)
	v_ashrrev_i32_e32 v3, 31, v2
.LBB10_1106:                            ;   in Loop: Header=BB10_1088 Depth=2
	s_or_b32 exec_lo, exec_lo, s17
	s_delay_alu instid0(SALU_CYCLE_1)
	s_or_not1_b32 s12, vcc_lo, exec_lo
.LBB10_1107:                            ;   in Loop: Header=BB10_1088 Depth=2
	s_or_b32 exec_lo, exec_lo, s16
	s_and_saveexec_b32 s16, s12
; %bb.1108:                             ;   in Loop: Header=BB10_1088 Depth=2
	v_mad_i64_i32 v[2:3], null, v36, v68, 0
; %bb.1109:                             ;   in Loop: Header=BB10_1088 Depth=2
	s_or_b32 exec_lo, exec_lo, s16
	s_delay_alu instid0(VALU_DEP_1) | instskip(SKIP_1) | instid1(VALU_DEP_3)
	v_add_co_u32 v2, vcc_lo, v26, v2
	v_and_b32_e32 v4, 0x2000, v30
	v_add_co_ci_u32_e32 v3, vcc_lo, v27, v3, vcc_lo
	s_mov_b32 s12, exec_lo
	ds_store_b64 v0, v[2:3] offset:720
	v_cmpx_ne_u32_e32 0, v4
	s_cbranch_execz .LBB10_1111
; %bb.1110:                             ;   in Loop: Header=BB10_1088 Depth=2
	ds_load_b64 v[2:3], v0 offset:584
	s_waitcnt lgkmcnt(0)
	v_add_co_u32 v2, vcc_lo, v2, 1
	v_add_co_ci_u32_e32 v3, vcc_lo, 0, v3, vcc_lo
	ds_store_b64 v0, v[2:3] offset:584
.LBB10_1111:                            ;   in Loop: Header=BB10_1088 Depth=2
	s_or_b32 exec_lo, exec_lo, s12
	v_add_co_u32 v14, vcc_lo, v14, 2
	v_add_co_ci_u32_e32 v15, vcc_lo, 0, v15, vcc_lo
.LBB10_1112:                            ;   in Loop: Header=BB10_1088 Depth=2
	s_or_b32 exec_lo, exec_lo, s15
	s_and_saveexec_b32 s12, s2
	s_cbranch_execz .LBB10_1134
; %bb.1113:                             ;   in Loop: Header=BB10_1088 Depth=2
	s_and_saveexec_b32 s15, s3
	s_delay_alu instid0(SALU_CYCLE_1)
	s_xor_b32 s15, exec_lo, s15
	s_cbranch_execz .LBB10_1131
; %bb.1114:                             ;   in Loop: Header=BB10_1088 Depth=2
	s_and_saveexec_b32 s16, s1
	s_cbranch_execz .LBB10_1130
; %bb.1115:                             ;   in Loop: Header=BB10_1088 Depth=2
	s_mov_b32 s28, exec_lo
	s_mov_b32 s17, exec_lo
	v_mbcnt_lo_u32_b32 v2, s28, 0
	s_waitcnt lgkmcnt(0)
	s_waitcnt_vscnt null, 0x0
	buffer_gl1_inv
	buffer_gl0_inv
	v_cmpx_eq_u32_e32 0, v2
	s_cbranch_execz .LBB10_1117
; %bb.1116:                             ;   in Loop: Header=BB10_1088 Depth=2
	s_bcnt1_i32_b32 s28, s28
	s_delay_alu instid0(SALU_CYCLE_1)
	v_mov_b32_e32 v36, s28
	ds_add_u64 v0, v[36:37]
	s_cbranch_execnz .LBB10_1349
.LBB10_1117:                            ;   in Loop: Header=BB10_1088 Depth=2
	s_or_b32 exec_lo, exec_lo, s17
	s_cbranch_execnz .LBB10_1329
; %bb.1118:                             ;   in Loop: Header=BB10_1088 Depth=2
	ds_load_b64 v[2:3], v0
	v_add_co_u32 v28, vcc_lo, v28, v82
	v_add_co_ci_u32_e32 v29, vcc_lo, 0, v29, vcc_lo
	s_mov_b32 s17, exec_lo
	s_waitcnt lgkmcnt(0)
	s_delay_alu instid0(VALU_DEP_1)
	v_cmpx_lt_u64_e64 v[2:3], v[28:29]
	s_cbranch_execz .LBB10_1129
; %bb.1119:                             ;   in Loop: Header=BB10_1088 Depth=2
	s_mov_b32 s28, 0
	s_mov_b32 s30, 0
                                        ; implicit-def: $sgpr29
                                        ; implicit-def: $vcc_hi
	s_branch .LBB10_1121
.LBB10_1120:                            ;   in Loop: Header=BB10_1121 Depth=3
	s_or_b32 exec_lo, exec_lo, s34
	s_delay_alu instid0(SALU_CYCLE_1) | instskip(NEXT) | instid1(SALU_CYCLE_1)
	s_and_b32 vcc_lo, exec_lo, vcc_lo
	s_or_b32 s28, vcc_lo, s28
	s_and_not1_b32 s29, s29, exec_lo
	s_and_b32 vcc_lo, vcc_hi, exec_lo
	s_delay_alu instid0(SALU_CYCLE_1)
	s_or_b32 s29, s29, vcc_lo
	s_and_not1_b32 exec_lo, exec_lo, s28
	s_cbranch_execz .LBB10_1127
.LBB10_1121:                            ;   Parent Loop BB10_93 Depth=1
                                        ;     Parent Loop BB10_1088 Depth=2
                                        ; =>    This Inner Loop Header: Depth=3
	s_add_i32 s30, s30, 1
                                        ; implicit-def: $sgpr34
	s_delay_alu instid0(SALU_CYCLE_1) | instskip(SKIP_1) | instid1(SALU_CYCLE_1)
	s_cmpk_lg_i32 s30, 0x2710
	s_cselect_b32 s31, -1, 0
	s_and_b32 vcc_lo, exec_lo, s31
	s_cbranch_vccz .LBB10_1125
.LBB10_1122:                            ;   in Loop: Header=BB10_1121 Depth=3
	s_and_not1_b32 vcc_hi, vcc_hi, exec_lo
	s_and_b32 s34, s34, exec_lo
	s_mov_b32 vcc_lo, -1
	s_or_b32 vcc_hi, vcc_hi, s34
	s_and_saveexec_b32 s34, s31
	s_cbranch_execz .LBB10_1120
; %bb.1123:                             ;   in Loop: Header=BB10_1121 Depth=3
	s_sleep 1
	s_cbranch_execnz .LBB10_1401
; %bb.1124:                             ;   in Loop: Header=BB10_1121 Depth=3
	ds_load_b64 v[2:3], v0
	s_waitcnt lgkmcnt(0)
	v_cmp_ge_u64_e32 vcc_lo, v[2:3], v[28:29]
	s_and_not1_b32 vcc_hi, vcc_hi, exec_lo
	s_or_not1_b32 vcc_lo, vcc_lo, exec_lo
	s_branch .LBB10_1120
.LBB10_1125:                            ;   in Loop: Header=BB10_1121 Depth=3
	s_cbranch_execnz .LBB10_1421
; %bb.1126:                             ;   in Loop: Header=BB10_1121 Depth=3
	ds_load_b64 v[2:3], v0
	s_and_not1_b32 s31, s31, exec_lo
	s_mov_b32 s30, 0
	s_mov_b32 s34, -1
	s_waitcnt lgkmcnt(0)
	flat_load_b32 v2, v[2:3] glc
	s_waitcnt vmcnt(0) lgkmcnt(0)
	buffer_gl1_inv
	buffer_gl0_inv
	v_cmp_eq_u32_e32 vcc_lo, 0, v2
	s_and_b32 vcc_lo, vcc_lo, exec_lo
	s_delay_alu instid0(SALU_CYCLE_1)
	s_or_b32 s31, s31, vcc_lo
	s_branch .LBB10_1122
.LBB10_1127:                            ;   in Loop: Header=BB10_1088 Depth=2
	s_or_b32 exec_lo, exec_lo, s28
	s_and_saveexec_b32 s28, s29
	s_delay_alu instid0(SALU_CYCLE_1)
	s_xor_b32 s28, exec_lo, s28
	s_cbranch_execz .LBB10_1129
; %bb.1128:                             ;   in Loop: Header=BB10_1088 Depth=2
	ds_store_b32 v0, v117
	s_cbranch_execnz .LBB10_1576
.LBB10_1129:                            ;   in Loop: Header=BB10_1088 Depth=2
	s_or_b32 exec_lo, exec_lo, s17
	;;#ASMSTART
	s_wakeup
	;;#ASMEND
.LBB10_1130:                            ;   in Loop: Header=BB10_1088 Depth=2
	s_or_b32 exec_lo, exec_lo, s16
.LBB10_1131:                            ;   in Loop: Header=BB10_1088 Depth=2
	s_and_not1_saveexec_b32 s15, s15
	s_cbranch_execz .LBB10_1133
; %bb.1132:                             ;   in Loop: Header=BB10_1088 Depth=2
	s_waitcnt lgkmcnt(0)
	s_waitcnt_vscnt null, 0x0
	buffer_gl1_inv
	buffer_gl0_inv
	s_barrier
.LBB10_1133:                            ;   in Loop: Header=BB10_1088 Depth=2
	s_or_b32 exec_lo, exec_lo, s15
.LBB10_1134:                            ;   in Loop: Header=BB10_1088 Depth=2
	s_delay_alu instid0(SALU_CYCLE_1) | instskip(SKIP_1) | instid1(VALU_DEP_1)
	s_or_b32 exec_lo, exec_lo, s12
	v_sub_nc_u32_e32 v2, v118, v52
	v_min_i32_e32 v119, v119, v2
	s_and_saveexec_b32 s12, s6
	s_delay_alu instid0(SALU_CYCLE_1)
	s_xor_b32 s15, exec_lo, s12
	s_cbranch_execz .LBB10_1139
; %bb.1135:                             ;   in Loop: Header=BB10_1088 Depth=2
	s_cbranch_execnz .LBB10_1273
; %bb.1136:                             ;   in Loop: Header=BB10_1088 Depth=2
	ds_load_b32 v2, v0
	v_cmp_lt_i32_e32 vcc_lo, 0, v119
	s_waitcnt lgkmcnt(0)
	v_readfirstlane_b32 s12, v2
	v_and_b32_e32 v2, 16, v30
	s_delay_alu instid0(VALU_DEP_2) | instskip(NEXT) | instid1(VALU_DEP_1)
	s_cmp_eq_u32 s12, 0
	v_cmp_ne_u32_e64 s12, 0, v2
	s_cselect_b32 s16, -1, 0
	s_delay_alu instid0(SALU_CYCLE_1)
	s_and_b32 s16, vcc_lo, s16
	s_delay_alu instid0(VALU_DEP_1) | instid1(SALU_CYCLE_1)
	s_and_b32 s16, s12, s16
	s_delay_alu instid0(SALU_CYCLE_1)
	s_and_saveexec_b32 s12, s16
	s_cbranch_execz .LBB10_1138
; %bb.1137:                             ;   in Loop: Header=BB10_1088 Depth=2
	s_waitcnt_vscnt null, 0x0
	buffer_gl1_inv
	buffer_gl0_inv
.LBB10_1138:                            ;   in Loop: Header=BB10_1088 Depth=2
	s_or_b32 exec_lo, exec_lo, s12
.LBB10_1139:                            ;   in Loop: Header=BB10_1088 Depth=2
	s_and_not1_saveexec_b32 s12, s15
	s_cbranch_execz .LBB10_1161
; %bb.1140:                             ;   in Loop: Header=BB10_1088 Depth=2
	s_and_saveexec_b32 s15, s3
	s_delay_alu instid0(SALU_CYCLE_1)
	s_xor_b32 s15, exec_lo, s15
	s_cbranch_execz .LBB10_1158
; %bb.1141:                             ;   in Loop: Header=BB10_1088 Depth=2
	s_and_saveexec_b32 s16, s1
	s_cbranch_execz .LBB10_1157
; %bb.1142:                             ;   in Loop: Header=BB10_1088 Depth=2
	s_mov_b32 s28, exec_lo
	s_mov_b32 s17, exec_lo
	v_mbcnt_lo_u32_b32 v2, s28, 0
	;;#ASMSTART
	s_waitcnt lgkmcnt(0) vmcnt(0)
	;;#ASMEND
	s_delay_alu instid0(VALU_DEP_1)
	v_cmpx_eq_u32_e32 0, v2
	s_cbranch_execz .LBB10_1144
; %bb.1143:                             ;   in Loop: Header=BB10_1088 Depth=2
	s_bcnt1_i32_b32 s28, s28
	s_delay_alu instid0(SALU_CYCLE_1)
	v_mov_b32_e32 v36, s28
	ds_add_u64 v0, v[36:37]
	s_cbranch_execnz .LBB10_1371
.LBB10_1144:                            ;   in Loop: Header=BB10_1088 Depth=2
	s_or_b32 exec_lo, exec_lo, s17
	s_cbranch_execnz .LBB10_1347
; %bb.1145:                             ;   in Loop: Header=BB10_1088 Depth=2
	ds_load_b64 v[2:3], v0
	v_add_co_u32 v28, vcc_lo, v28, v82
	v_add_co_ci_u32_e32 v29, vcc_lo, 0, v29, vcc_lo
	s_mov_b32 s17, exec_lo
	s_waitcnt lgkmcnt(0)
	s_delay_alu instid0(VALU_DEP_1)
	v_cmpx_lt_u64_e64 v[2:3], v[28:29]
	s_cbranch_execz .LBB10_1156
; %bb.1146:                             ;   in Loop: Header=BB10_1088 Depth=2
	s_mov_b32 s28, 0
	s_mov_b32 s30, 0
                                        ; implicit-def: $sgpr29
                                        ; implicit-def: $vcc_hi
	s_branch .LBB10_1148
.LBB10_1147:                            ;   in Loop: Header=BB10_1148 Depth=3
	s_or_b32 exec_lo, exec_lo, s34
	s_delay_alu instid0(SALU_CYCLE_1) | instskip(NEXT) | instid1(SALU_CYCLE_1)
	s_and_b32 vcc_lo, exec_lo, vcc_lo
	s_or_b32 s28, vcc_lo, s28
	s_and_not1_b32 s29, s29, exec_lo
	s_and_b32 vcc_lo, vcc_hi, exec_lo
	s_delay_alu instid0(SALU_CYCLE_1)
	s_or_b32 s29, s29, vcc_lo
	s_and_not1_b32 exec_lo, exec_lo, s28
	s_cbranch_execz .LBB10_1154
.LBB10_1148:                            ;   Parent Loop BB10_93 Depth=1
                                        ;     Parent Loop BB10_1088 Depth=2
                                        ; =>    This Inner Loop Header: Depth=3
	s_add_i32 s30, s30, 1
                                        ; implicit-def: $sgpr34
	s_delay_alu instid0(SALU_CYCLE_1) | instskip(SKIP_1) | instid1(SALU_CYCLE_1)
	s_cmpk_lg_i32 s30, 0x2710
	s_cselect_b32 s31, -1, 0
	s_and_b32 vcc_lo, exec_lo, s31
	s_cbranch_vccz .LBB10_1152
.LBB10_1149:                            ;   in Loop: Header=BB10_1148 Depth=3
	s_and_not1_b32 vcc_hi, vcc_hi, exec_lo
	s_and_b32 s34, s34, exec_lo
	s_mov_b32 vcc_lo, -1
	s_or_b32 vcc_hi, vcc_hi, s34
	s_and_saveexec_b32 s34, s31
	s_cbranch_execz .LBB10_1147
; %bb.1150:                             ;   in Loop: Header=BB10_1148 Depth=3
	s_sleep 1
	s_cbranch_execnz .LBB10_1433
; %bb.1151:                             ;   in Loop: Header=BB10_1148 Depth=3
	ds_load_b64 v[2:3], v0
	s_waitcnt lgkmcnt(0)
	v_cmp_ge_u64_e32 vcc_lo, v[2:3], v[28:29]
	s_and_not1_b32 vcc_hi, vcc_hi, exec_lo
	s_or_not1_b32 vcc_lo, vcc_lo, exec_lo
	s_branch .LBB10_1147
.LBB10_1152:                            ;   in Loop: Header=BB10_1148 Depth=3
	s_cbranch_execnz .LBB10_1466
; %bb.1153:                             ;   in Loop: Header=BB10_1148 Depth=3
	ds_load_b64 v[2:3], v0
	s_and_not1_b32 s31, s31, exec_lo
	s_mov_b32 s30, 0
	s_mov_b32 s34, -1
	s_waitcnt lgkmcnt(0)
	s_waitcnt_vscnt null, 0x0
	flat_load_b32 v2, v[2:3] glc
	s_waitcnt vmcnt(0) lgkmcnt(0)
	buffer_gl1_inv
	buffer_gl0_inv
	v_cmp_eq_u32_e32 vcc_lo, 0, v2
	s_and_b32 vcc_lo, vcc_lo, exec_lo
	s_delay_alu instid0(SALU_CYCLE_1)
	s_or_b32 s31, s31, vcc_lo
	s_branch .LBB10_1149
.LBB10_1154:                            ;   in Loop: Header=BB10_1088 Depth=2
	s_or_b32 exec_lo, exec_lo, s28
	s_and_saveexec_b32 s28, s29
	s_delay_alu instid0(SALU_CYCLE_1)
	s_xor_b32 s28, exec_lo, s28
	s_cbranch_execz .LBB10_1156
; %bb.1155:                             ;   in Loop: Header=BB10_1088 Depth=2
	ds_store_b32 v0, v117
	s_cbranch_execnz .LBB10_1588
.LBB10_1156:                            ;   in Loop: Header=BB10_1088 Depth=2
	s_or_b32 exec_lo, exec_lo, s17
	;;#ASMSTART
	s_wakeup
	;;#ASMEND
.LBB10_1157:                            ;   in Loop: Header=BB10_1088 Depth=2
	s_or_b32 exec_lo, exec_lo, s16
.LBB10_1158:                            ;   in Loop: Header=BB10_1088 Depth=2
	s_and_not1_saveexec_b32 s15, s15
	s_cbranch_execz .LBB10_1160
; %bb.1159:                             ;   in Loop: Header=BB10_1088 Depth=2
	;;#ASMSTART
	s_waitcnt lgkmcnt(0) vmcnt(0)
	;;#ASMEND
	s_waitcnt lgkmcnt(0)
	s_waitcnt_vscnt null, 0x0
	s_barrier
.LBB10_1160:                            ;   in Loop: Header=BB10_1088 Depth=2
	s_or_b32 exec_lo, exec_lo, s15
.LBB10_1161:                            ;   in Loop: Header=BB10_1088 Depth=2
	s_delay_alu instid0(SALU_CYCLE_1) | instskip(SKIP_2) | instid1(VALU_DEP_1)
	s_or_b32 exec_lo, exec_lo, s12
	v_and_b32_e32 v2, 32, v30
	s_mov_b32 s12, exec_lo
	v_cmpx_ne_u32_e32 0, v2
	s_cbranch_execz .LBB10_1163
; %bb.1162:                             ;   in Loop: Header=BB10_1088 Depth=2
	v_add_co_u32 v14, vcc_lo, v14, 2
	v_add_co_ci_u32_e32 v15, vcc_lo, 0, v15, vcc_lo
	s_waitcnt lgkmcnt(0)
	s_waitcnt_vscnt null, 0x0
	flat_store_b64 v[24:25], v[14:15]
.LBB10_1163:                            ;   in Loop: Header=BB10_1088 Depth=2
	s_or_b32 exec_lo, exec_lo, s12
	v_add_nc_u32_e32 v52, v119, v52
	s_mov_b32 s12, 0
	s_and_not1_b32 exec_lo, exec_lo, s14
	s_cbranch_execnz .LBB10_1088
; %bb.1164:                             ;   in Loop: Header=BB10_93 Depth=1
	s_or_b32 exec_lo, exec_lo, s14
.LBB10_1165:                            ;   in Loop: Header=BB10_93 Depth=1
	s_delay_alu instid0(SALU_CYCLE_1) | instskip(SKIP_2) | instid1(VALU_DEP_1)
	s_or_b32 exec_lo, exec_lo, s13
	v_add_co_u32 v48, vcc_lo, v48, v70
	v_add_co_ci_u32_e32 v49, vcc_lo, 0, v49, vcc_lo
	v_cmp_ge_u64_e32 vcc_lo, v[48:49], v[6:7]
	s_or_b32 s22, vcc_lo, s22
	s_delay_alu instid0(SALU_CYCLE_1)
	s_and_not1_b32 exec_lo, exec_lo, s22
	s_cbranch_execnz .LBB10_93
; %bb.1166:
	s_or_b32 exec_lo, exec_lo, s22
.LBB10_1167:
	s_delay_alu instid0(SALU_CYCLE_1)
	s_or_b32 exec_lo, exec_lo, s20
; %bb.1168:
	v_and_b32_e32 v0, 0x800, v30
	s_mov_b32 s0, exec_lo
	s_delay_alu instid0(VALU_DEP_1)
	v_cmpx_eq_u32_e32 0, v0
	s_cbranch_execz .LBB10_1457
; %bb.1169:
	v_and_b32_e32 v0, 48, v30
	s_mov_b32 s1, exec_lo
	s_delay_alu instid0(VALU_DEP_1)
	v_cmpx_ne_u32_e32 0, v0
	s_cbranch_execz .LBB10_1171
; %bb.1170:
	flat_store_b64 v[22:23], v[14:15] offset:104
.LBB10_1171:
	s_or_b32 exec_lo, exec_lo, s1
	v_and_b32_e32 v0, 0x88, v30
	s_mov_b32 s1, exec_lo
	s_delay_alu instid0(VALU_DEP_1)
	v_cmpx_eq_u32_e32 0x88, v0
	s_cbranch_execz .LBB10_1209
; %bb.1172:
	v_add_nc_u32_e32 v0, 6, v14
	s_mov_b32 s2, 0
                                        ; implicit-def: $sgpr3
	s_delay_alu instid0(VALU_DEP_1) | instskip(NEXT) | instid1(VALU_DEP_1)
	v_and_b32_e32 v0, 7, v0
	v_mad_u64_u32 v[2:3], null, v0, 24, v[12:13]
	v_mov_b32_e32 v0, 0
	s_delay_alu instid0(VALU_DEP_2) | instskip(NEXT) | instid1(VALU_DEP_3)
	v_add_co_u32 v2, vcc_lo, v2, 8
	v_add_co_ci_u32_e32 v3, vcc_lo, 0, v3, vcc_lo
	s_branch .LBB10_1199
.LBB10_1173:
	s_trap 2
	s_sendmsg_rtn_b32 s0, sendmsg(MSG_RTN_GET_DOORBELL)
	s_mov_b32 ttmp2, m0
	s_waitcnt lgkmcnt(0)
	s_and_b32 s0, s0, 0x3ff
	s_delay_alu instid0(SALU_CYCLE_1) | instskip(NEXT) | instid1(SALU_CYCLE_1)
	s_bitset1_b32 s0, 10
	s_mov_b32 m0, s0
	s_sendmsg sendmsg(MSG_INTERRUPT)
	s_mov_b32 m0, ttmp2
.LBB10_1174:                            ; =>This Inner Loop Header: Depth=1
	s_sethalt 5
	s_branch .LBB10_1174
.LBB10_1175:
	s_trap 2
	s_sendmsg_rtn_b32 s0, sendmsg(MSG_RTN_GET_DOORBELL)
	s_mov_b32 ttmp2, m0
	s_waitcnt lgkmcnt(0)
	s_and_b32 s0, s0, 0x3ff
	s_delay_alu instid0(SALU_CYCLE_1) | instskip(NEXT) | instid1(SALU_CYCLE_1)
	s_bitset1_b32 s0, 10
	s_mov_b32 m0, s0
	s_sendmsg sendmsg(MSG_INTERRUPT)
	s_mov_b32 m0, ttmp2
.LBB10_1176:                            ; =>This Inner Loop Header: Depth=1
	s_sethalt 5
	s_branch .LBB10_1176
.LBB10_1177:
	s_trap 2
	s_sendmsg_rtn_b32 s0, sendmsg(MSG_RTN_GET_DOORBELL)
	s_mov_b32 ttmp2, m0
	s_waitcnt lgkmcnt(0)
	s_and_b32 s0, s0, 0x3ff
	s_delay_alu instid0(SALU_CYCLE_1) | instskip(NEXT) | instid1(SALU_CYCLE_1)
	s_bitset1_b32 s0, 10
	s_mov_b32 m0, s0
	s_sendmsg sendmsg(MSG_INTERRUPT)
	s_mov_b32 m0, ttmp2
.LBB10_1178:                            ; =>This Inner Loop Header: Depth=1
	s_sethalt 5
	s_branch .LBB10_1178
.LBB10_1179:
	s_trap 2
	s_sendmsg_rtn_b32 s0, sendmsg(MSG_RTN_GET_DOORBELL)
	s_mov_b32 ttmp2, m0
	s_waitcnt lgkmcnt(0)
	s_and_b32 s0, s0, 0x3ff
	s_delay_alu instid0(SALU_CYCLE_1) | instskip(NEXT) | instid1(SALU_CYCLE_1)
	s_bitset1_b32 s0, 10
	s_mov_b32 m0, s0
	s_sendmsg sendmsg(MSG_INTERRUPT)
	s_mov_b32 m0, ttmp2
.LBB10_1180:                            ; =>This Inner Loop Header: Depth=1
	s_sethalt 5
	s_branch .LBB10_1180
.LBB10_1181:
	s_trap 2
	s_sendmsg_rtn_b32 s0, sendmsg(MSG_RTN_GET_DOORBELL)
	s_mov_b32 ttmp2, m0
	s_waitcnt lgkmcnt(0)
	s_and_b32 s0, s0, 0x3ff
	s_delay_alu instid0(SALU_CYCLE_1) | instskip(NEXT) | instid1(SALU_CYCLE_1)
	s_bitset1_b32 s0, 10
	s_mov_b32 m0, s0
	s_sendmsg sendmsg(MSG_INTERRUPT)
	s_mov_b32 m0, ttmp2
.LBB10_1182:                            ; =>This Inner Loop Header: Depth=1
	s_sethalt 5
	s_branch .LBB10_1182
.LBB10_1183:
	s_trap 2
	s_sendmsg_rtn_b32 s0, sendmsg(MSG_RTN_GET_DOORBELL)
	s_mov_b32 ttmp2, m0
	s_waitcnt lgkmcnt(0)
	s_and_b32 s0, s0, 0x3ff
	s_delay_alu instid0(SALU_CYCLE_1) | instskip(NEXT) | instid1(SALU_CYCLE_1)
	s_bitset1_b32 s0, 10
	s_mov_b32 m0, s0
	s_sendmsg sendmsg(MSG_INTERRUPT)
	s_mov_b32 m0, ttmp2
.LBB10_1184:                            ; =>This Inner Loop Header: Depth=1
	s_sethalt 5
	s_branch .LBB10_1184
.LBB10_1185:
	s_trap 2
	s_sendmsg_rtn_b32 s0, sendmsg(MSG_RTN_GET_DOORBELL)
	s_mov_b32 ttmp2, m0
	s_waitcnt lgkmcnt(0)
	s_and_b32 s0, s0, 0x3ff
	s_delay_alu instid0(SALU_CYCLE_1) | instskip(NEXT) | instid1(SALU_CYCLE_1)
	s_bitset1_b32 s0, 10
	s_mov_b32 m0, s0
	s_sendmsg sendmsg(MSG_INTERRUPT)
	s_mov_b32 m0, ttmp2
.LBB10_1186:                            ; =>This Inner Loop Header: Depth=1
	s_sethalt 5
	s_branch .LBB10_1186
.LBB10_1187:
	s_trap 2
	s_sendmsg_rtn_b32 s0, sendmsg(MSG_RTN_GET_DOORBELL)
	s_mov_b32 ttmp2, m0
	s_waitcnt lgkmcnt(0)
	s_and_b32 s0, s0, 0x3ff
	s_delay_alu instid0(SALU_CYCLE_1) | instskip(NEXT) | instid1(SALU_CYCLE_1)
	s_bitset1_b32 s0, 10
	s_mov_b32 m0, s0
	s_sendmsg sendmsg(MSG_INTERRUPT)
	s_mov_b32 m0, ttmp2
.LBB10_1188:                            ; =>This Inner Loop Header: Depth=1
	s_sethalt 5
	s_branch .LBB10_1188
.LBB10_1189:
	s_trap 2
	s_sendmsg_rtn_b32 s0, sendmsg(MSG_RTN_GET_DOORBELL)
	s_mov_b32 ttmp2, m0
	s_waitcnt lgkmcnt(0)
	s_and_b32 s0, s0, 0x3ff
	s_delay_alu instid0(SALU_CYCLE_1) | instskip(NEXT) | instid1(SALU_CYCLE_1)
	s_bitset1_b32 s0, 10
	s_mov_b32 m0, s0
	s_sendmsg sendmsg(MSG_INTERRUPT)
	s_mov_b32 m0, ttmp2
.LBB10_1190:                            ; =>This Inner Loop Header: Depth=1
	s_sethalt 5
	s_branch .LBB10_1190
.LBB10_1191:
	s_trap 2
	s_sendmsg_rtn_b32 s0, sendmsg(MSG_RTN_GET_DOORBELL)
	s_mov_b32 ttmp2, m0
	s_waitcnt lgkmcnt(0)
	s_and_b32 s0, s0, 0x3ff
	s_delay_alu instid0(SALU_CYCLE_1) | instskip(NEXT) | instid1(SALU_CYCLE_1)
	s_bitset1_b32 s0, 10
	s_mov_b32 m0, s0
	s_sendmsg sendmsg(MSG_INTERRUPT)
	s_mov_b32 m0, ttmp2
.LBB10_1192:                            ; =>This Inner Loop Header: Depth=1
	s_sethalt 5
	s_branch .LBB10_1192
.LBB10_1193:
	s_trap 2
	s_sendmsg_rtn_b32 s0, sendmsg(MSG_RTN_GET_DOORBELL)
	s_mov_b32 ttmp2, m0
	s_waitcnt lgkmcnt(0)
	s_and_b32 s0, s0, 0x3ff
	s_delay_alu instid0(SALU_CYCLE_1) | instskip(NEXT) | instid1(SALU_CYCLE_1)
	s_bitset1_b32 s0, 10
	s_mov_b32 m0, s0
	s_sendmsg sendmsg(MSG_INTERRUPT)
	s_mov_b32 m0, ttmp2
.LBB10_1194:                            ; =>This Inner Loop Header: Depth=1
	s_sethalt 5
	s_branch .LBB10_1194
.LBB10_1195:                            ;   in Loop: Header=BB10_1199 Depth=1
	s_or_b32 exec_lo, exec_lo, s10
	v_mov_b32_e32 v4, 0
	s_or_not1_b32 s7, s7, exec_lo
.LBB10_1196:                            ;   in Loop: Header=BB10_1199 Depth=1
	s_or_b32 exec_lo, exec_lo, s6
	s_delay_alu instid0(VALU_DEP_1)
	v_mov_b32_e32 v0, v4
	s_and_b32 s6, s7, exec_lo
.LBB10_1197:                            ;   in Loop: Header=BB10_1199 Depth=1
	s_or_b32 exec_lo, exec_lo, s5
	s_xor_b32 s5, s6, -1
	s_and_not1_b32 s3, s3, exec_lo
	s_and_b32 s5, s5, exec_lo
	s_delay_alu instid0(SALU_CYCLE_1)
	s_or_b32 s3, s3, s5
.LBB10_1198:                            ;   in Loop: Header=BB10_1199 Depth=1
	s_or_b32 exec_lo, exec_lo, s4
	s_delay_alu instid0(SALU_CYCLE_1) | instskip(NEXT) | instid1(SALU_CYCLE_1)
	s_and_b32 s4, exec_lo, s3
	s_or_b32 s2, s4, s2
	s_delay_alu instid0(SALU_CYCLE_1)
	s_and_not1_b32 exec_lo, exec_lo, s2
	s_cbranch_execz .LBB10_1208
.LBB10_1199:                            ; =>This Inner Loop Header: Depth=1
	flat_load_b64 v[4:5], v[2:3] glc dlc
	s_waitcnt vmcnt(0)
	s_or_b32 s3, s3, exec_lo
	s_mov_b32 s4, exec_lo
	s_waitcnt lgkmcnt(0)
	v_cmpx_ne_u64_e32 -1, v[4:5]
	s_cbranch_execz .LBB10_1198
; %bb.1200:                             ;   in Loop: Header=BB10_1199 Depth=1
	v_and_b32_e32 v4, 64, v30
	s_mov_b32 s6, 0
	s_mov_b32 s5, exec_lo
	s_delay_alu instid0(VALU_DEP_1)
	v_cmpx_eq_u32_e32 0, v4
	s_cbranch_execz .LBB10_1197
; %bb.1201:                             ;   in Loop: Header=BB10_1199 Depth=1
	v_add_nc_u32_e32 v4, 1, v0
	s_mov_b32 s7, -1
	s_mov_b32 s6, exec_lo
	v_cmpx_lt_i32_e32 0x270e, v0
	s_cbranch_execz .LBB10_1196
; %bb.1202:                             ;   in Loop: Header=BB10_1199 Depth=1
	s_cbranch_execnz .LBB10_1206
; %bb.1203:                             ;   in Loop: Header=BB10_1199 Depth=1
	ds_load_b64 v[4:5], v0
	s_mov_b32 s10, exec_lo
	s_waitcnt lgkmcnt(0)
	s_waitcnt_vscnt null, 0x0
	flat_load_b32 v0, v[4:5] glc
	s_waitcnt vmcnt(0) lgkmcnt(0)
	buffer_gl1_inv
	buffer_gl0_inv
	v_cmpx_ne_u32_e32 0, v0
	s_cbranch_execz .LBB10_1195
; %bb.1204:                             ;   in Loop: Header=BB10_1199 Depth=1
	ds_store_b32 v0, v0
	s_cbranch_execnz .LBB10_1224
; %bb.1205:                             ;   in Loop: Header=BB10_1199 Depth=1
	v_or_b32_e32 v30, 64, v30
	s_xor_b32 s7, exec_lo, -1
	s_branch .LBB10_1195
.LBB10_1206:
	s_trap 2
	s_sendmsg_rtn_b32 s0, sendmsg(MSG_RTN_GET_DOORBELL)
	s_mov_b32 ttmp2, m0
	s_waitcnt lgkmcnt(0)
	s_and_b32 s0, s0, 0x3ff
	s_delay_alu instid0(SALU_CYCLE_1) | instskip(NEXT) | instid1(SALU_CYCLE_1)
	s_bitset1_b32 s0, 10
	s_mov_b32 m0, s0
	s_sendmsg sendmsg(MSG_INTERRUPT)
	s_mov_b32 m0, ttmp2
.LBB10_1207:                            ; =>This Inner Loop Header: Depth=1
	s_sethalt 5
	s_branch .LBB10_1207
.LBB10_1208:
	s_or_b32 exec_lo, exec_lo, s2
.LBB10_1209:
	s_delay_alu instid0(SALU_CYCLE_1) | instskip(SKIP_2) | instid1(VALU_DEP_1)
	s_or_b32 exec_lo, exec_lo, s1
	v_and_b32_e32 v0, 0x2000, v30
	s_mov_b32 s1, exec_lo
	v_cmpx_ne_u32_e32 0, v0
	s_cbranch_execz .LBB10_1212
; %bb.1210:
	s_cbranch_execnz .LBB10_1220
; %bb.1211:
	ds_load_b64 v[2:3], v0
	s_waitcnt lgkmcnt(0)
	flat_store_b64 v[20:21], v[2:3] offset:16
.LBB10_1212:
	s_or_b32 exec_lo, exec_lo, s1
	v_cmp_ne_u32_e32 vcc_lo, 32, v1
	s_and_b32 exec_lo, exec_lo, vcc_lo
	s_cbranch_execz .LBB10_1457
; %bb.1213:
	s_mov_b32 s1, exec_lo
	v_cmpx_ne_u32_e64 v69, v1
	s_xor_b32 s1, exec_lo, s1
	s_cbranch_execz .LBB10_1455
; %bb.1214:
	v_and_b32_e32 v0, 31, v31
	s_mov_b32 s2, exec_lo
	s_delay_alu instid0(VALU_DEP_1)
	v_cmpx_eq_u32_e32 0, v0
	s_cbranch_execz .LBB10_1454
; %bb.1215:
	s_mov_b32 s4, exec_lo
	s_mov_b32 s3, exec_lo
	v_mbcnt_lo_u32_b32 v0, s4, 0
	s_waitcnt lgkmcnt(0)
	s_waitcnt_vscnt null, 0x0
	buffer_gl1_inv
	buffer_gl0_inv
	v_cmpx_eq_u32_e32 0, v0
	s_cbranch_execz .LBB10_1217
; %bb.1216:
	s_bcnt1_i32_b32 s4, s4
	s_delay_alu instid0(SALU_CYCLE_1)
	v_dual_mov_b32 v3, 0 :: v_dual_mov_b32 v2, s4
	ds_add_u64 v0, v[2:3]
	s_cbranch_execnz .LBB10_1277
.LBB10_1217:
	s_or_b32 exec_lo, exec_lo, s3
	s_cbranch_execnz .LBB10_1254
; %bb.1218:
	v_ashrrev_i32_e32 v0, 31, v1
	s_mov_b32 s3, exec_lo
	s_delay_alu instid0(VALU_DEP_1) | instskip(NEXT) | instid1(VALU_DEP_1)
	v_lshrrev_b32_e32 v0, 27, v0
	v_add_nc_u32_e32 v0, v1, v0
	ds_load_b64 v[2:3], v0
	v_ashrrev_i32_e32 v0, 5, v0
	s_delay_alu instid0(VALU_DEP_1) | instskip(SKIP_1) | instid1(VALU_DEP_2)
	v_ashrrev_i32_e32 v1, 31, v0
	v_add_co_u32 v0, vcc_lo, v28, v0
	v_add_co_ci_u32_e32 v1, vcc_lo, v29, v1, vcc_lo
	s_waitcnt lgkmcnt(0)
	s_delay_alu instid0(VALU_DEP_1)
	v_cmpx_lt_u64_e64 v[2:3], v[0:1]
	s_cbranch_execz .LBB10_1453
; %bb.1219:
	s_mov_b32 s4, 0
	s_mov_b32 s7, 0
                                        ; implicit-def: $sgpr5
                                        ; implicit-def: $sgpr6
	s_branch .LBB10_1267
.LBB10_1220:
	s_trap 2
	s_sendmsg_rtn_b32 s0, sendmsg(MSG_RTN_GET_DOORBELL)
	s_mov_b32 ttmp2, m0
	s_waitcnt lgkmcnt(0)
	s_and_b32 s0, s0, 0x3ff
	s_delay_alu instid0(SALU_CYCLE_1) | instskip(NEXT) | instid1(SALU_CYCLE_1)
	s_bitset1_b32 s0, 10
	s_mov_b32 m0, s0
	s_sendmsg sendmsg(MSG_INTERRUPT)
	s_mov_b32 m0, ttmp2
.LBB10_1221:                            ; =>This Inner Loop Header: Depth=1
	s_sethalt 5
	s_branch .LBB10_1221
.LBB10_1222:
	s_trap 2
	s_sendmsg_rtn_b32 s0, sendmsg(MSG_RTN_GET_DOORBELL)
	s_mov_b32 ttmp2, m0
	s_waitcnt lgkmcnt(0)
	s_and_b32 s0, s0, 0x3ff
	s_delay_alu instid0(SALU_CYCLE_1) | instskip(NEXT) | instid1(SALU_CYCLE_1)
	s_bitset1_b32 s0, 10
	s_mov_b32 m0, s0
	s_sendmsg sendmsg(MSG_INTERRUPT)
	s_mov_b32 m0, ttmp2
.LBB10_1223:                            ; =>This Inner Loop Header: Depth=1
	s_sethalt 5
	s_branch .LBB10_1223
.LBB10_1224:
	s_trap 2
	s_sendmsg_rtn_b32 s0, sendmsg(MSG_RTN_GET_DOORBELL)
	s_mov_b32 ttmp2, m0
	s_waitcnt lgkmcnt(0)
	s_and_b32 s0, s0, 0x3ff
	s_delay_alu instid0(SALU_CYCLE_1) | instskip(NEXT) | instid1(SALU_CYCLE_1)
	s_bitset1_b32 s0, 10
	s_mov_b32 m0, s0
	s_sendmsg sendmsg(MSG_INTERRUPT)
	s_mov_b32 m0, ttmp2
.LBB10_1225:                            ; =>This Inner Loop Header: Depth=1
	s_sethalt 5
	s_branch .LBB10_1225
.LBB10_1226:
	s_trap 2
	s_sendmsg_rtn_b32 s0, sendmsg(MSG_RTN_GET_DOORBELL)
	s_mov_b32 ttmp2, m0
	s_waitcnt lgkmcnt(0)
	s_and_b32 s0, s0, 0x3ff
	s_delay_alu instid0(SALU_CYCLE_1) | instskip(NEXT) | instid1(SALU_CYCLE_1)
	s_bitset1_b32 s0, 10
	s_mov_b32 m0, s0
	s_sendmsg sendmsg(MSG_INTERRUPT)
	s_mov_b32 m0, ttmp2
.LBB10_1227:                            ; =>This Inner Loop Header: Depth=1
	s_sethalt 5
	s_branch .LBB10_1227
.LBB10_1228:
	s_trap 2
	s_sendmsg_rtn_b32 s0, sendmsg(MSG_RTN_GET_DOORBELL)
	s_mov_b32 ttmp2, m0
	s_waitcnt lgkmcnt(0)
	s_and_b32 s0, s0, 0x3ff
	s_delay_alu instid0(SALU_CYCLE_1) | instskip(NEXT) | instid1(SALU_CYCLE_1)
	s_bitset1_b32 s0, 10
	s_mov_b32 m0, s0
	s_sendmsg sendmsg(MSG_INTERRUPT)
	s_mov_b32 m0, ttmp2
.LBB10_1229:                            ; =>This Inner Loop Header: Depth=1
	s_sethalt 5
	s_branch .LBB10_1229
.LBB10_1230:
	s_trap 2
	s_sendmsg_rtn_b32 s0, sendmsg(MSG_RTN_GET_DOORBELL)
	s_mov_b32 ttmp2, m0
	s_waitcnt lgkmcnt(0)
	s_and_b32 s0, s0, 0x3ff
	s_delay_alu instid0(SALU_CYCLE_1) | instskip(NEXT) | instid1(SALU_CYCLE_1)
	s_bitset1_b32 s0, 10
	s_mov_b32 m0, s0
	s_sendmsg sendmsg(MSG_INTERRUPT)
	s_mov_b32 m0, ttmp2
.LBB10_1231:                            ; =>This Inner Loop Header: Depth=1
	s_sethalt 5
	s_branch .LBB10_1231
.LBB10_1232:
	s_trap 2
	s_sendmsg_rtn_b32 s0, sendmsg(MSG_RTN_GET_DOORBELL)
	s_mov_b32 ttmp2, m0
	s_waitcnt lgkmcnt(0)
	s_and_b32 s0, s0, 0x3ff
	s_delay_alu instid0(SALU_CYCLE_1) | instskip(NEXT) | instid1(SALU_CYCLE_1)
	s_bitset1_b32 s0, 10
	s_mov_b32 m0, s0
	s_sendmsg sendmsg(MSG_INTERRUPT)
	s_mov_b32 m0, ttmp2
.LBB10_1233:                            ; =>This Inner Loop Header: Depth=1
	s_sethalt 5
	s_branch .LBB10_1233
.LBB10_1234:
	s_trap 2
	s_sendmsg_rtn_b32 s0, sendmsg(MSG_RTN_GET_DOORBELL)
	s_mov_b32 ttmp2, m0
	s_waitcnt lgkmcnt(0)
	s_and_b32 s0, s0, 0x3ff
	s_delay_alu instid0(SALU_CYCLE_1) | instskip(NEXT) | instid1(SALU_CYCLE_1)
	s_bitset1_b32 s0, 10
	s_mov_b32 m0, s0
	s_sendmsg sendmsg(MSG_INTERRUPT)
	s_mov_b32 m0, ttmp2
.LBB10_1235:                            ; =>This Inner Loop Header: Depth=1
	s_sethalt 5
	s_branch .LBB10_1235
.LBB10_1236:
	s_trap 2
	s_sendmsg_rtn_b32 s0, sendmsg(MSG_RTN_GET_DOORBELL)
	s_mov_b32 ttmp2, m0
	s_waitcnt lgkmcnt(0)
	s_and_b32 s0, s0, 0x3ff
	s_delay_alu instid0(SALU_CYCLE_1) | instskip(NEXT) | instid1(SALU_CYCLE_1)
	s_bitset1_b32 s0, 10
	s_mov_b32 m0, s0
	s_sendmsg sendmsg(MSG_INTERRUPT)
	s_mov_b32 m0, ttmp2
.LBB10_1237:                            ; =>This Inner Loop Header: Depth=1
	s_sethalt 5
	s_branch .LBB10_1237
.LBB10_1238:
	s_trap 2
	s_sendmsg_rtn_b32 s0, sendmsg(MSG_RTN_GET_DOORBELL)
	s_mov_b32 ttmp2, m0
	s_waitcnt lgkmcnt(0)
	s_and_b32 s0, s0, 0x3ff
	s_delay_alu instid0(SALU_CYCLE_1) | instskip(NEXT) | instid1(SALU_CYCLE_1)
	s_bitset1_b32 s0, 10
	s_mov_b32 m0, s0
	s_sendmsg sendmsg(MSG_INTERRUPT)
	s_mov_b32 m0, ttmp2
.LBB10_1239:                            ; =>This Inner Loop Header: Depth=1
	s_sethalt 5
	s_branch .LBB10_1239
.LBB10_1240:
	s_trap 2
	s_sendmsg_rtn_b32 s0, sendmsg(MSG_RTN_GET_DOORBELL)
	s_mov_b32 ttmp2, m0
	s_waitcnt lgkmcnt(0)
	s_and_b32 s0, s0, 0x3ff
	s_delay_alu instid0(SALU_CYCLE_1) | instskip(NEXT) | instid1(SALU_CYCLE_1)
	s_bitset1_b32 s0, 10
	s_mov_b32 m0, s0
	s_sendmsg sendmsg(MSG_INTERRUPT)
	s_mov_b32 m0, ttmp2
.LBB10_1241:                            ; =>This Inner Loop Header: Depth=1
	s_sethalt 5
	s_branch .LBB10_1241
.LBB10_1242:
	s_trap 2
	s_sendmsg_rtn_b32 s0, sendmsg(MSG_RTN_GET_DOORBELL)
	s_mov_b32 ttmp2, m0
	s_waitcnt lgkmcnt(0)
	s_and_b32 s0, s0, 0x3ff
	s_delay_alu instid0(SALU_CYCLE_1) | instskip(NEXT) | instid1(SALU_CYCLE_1)
	s_bitset1_b32 s0, 10
	s_mov_b32 m0, s0
	s_sendmsg sendmsg(MSG_INTERRUPT)
	s_mov_b32 m0, ttmp2
.LBB10_1243:                            ; =>This Inner Loop Header: Depth=1
	s_sethalt 5
	s_branch .LBB10_1243
.LBB10_1244:
	s_trap 2
	s_sendmsg_rtn_b32 s0, sendmsg(MSG_RTN_GET_DOORBELL)
	s_mov_b32 ttmp2, m0
	s_waitcnt lgkmcnt(0)
	s_and_b32 s0, s0, 0x3ff
	s_delay_alu instid0(SALU_CYCLE_1) | instskip(NEXT) | instid1(SALU_CYCLE_1)
	s_bitset1_b32 s0, 10
	s_mov_b32 m0, s0
	s_sendmsg sendmsg(MSG_INTERRUPT)
	s_mov_b32 m0, ttmp2
.LBB10_1245:                            ; =>This Inner Loop Header: Depth=1
	s_sethalt 5
	s_branch .LBB10_1245
.LBB10_1246:
	s_trap 2
	s_sendmsg_rtn_b32 s0, sendmsg(MSG_RTN_GET_DOORBELL)
	s_mov_b32 ttmp2, m0
	s_waitcnt lgkmcnt(0)
	s_and_b32 s0, s0, 0x3ff
	s_delay_alu instid0(SALU_CYCLE_1) | instskip(NEXT) | instid1(SALU_CYCLE_1)
	s_bitset1_b32 s0, 10
	s_mov_b32 m0, s0
	s_sendmsg sendmsg(MSG_INTERRUPT)
	s_mov_b32 m0, ttmp2
.LBB10_1247:                            ; =>This Inner Loop Header: Depth=1
	s_sethalt 5
	s_branch .LBB10_1247
.LBB10_1248:
	s_trap 2
	s_sendmsg_rtn_b32 s0, sendmsg(MSG_RTN_GET_DOORBELL)
	s_mov_b32 ttmp2, m0
	s_waitcnt lgkmcnt(0)
	s_and_b32 s0, s0, 0x3ff
	s_delay_alu instid0(SALU_CYCLE_1) | instskip(NEXT) | instid1(SALU_CYCLE_1)
	s_bitset1_b32 s0, 10
	s_mov_b32 m0, s0
	s_sendmsg sendmsg(MSG_INTERRUPT)
	s_mov_b32 m0, ttmp2
.LBB10_1249:                            ; =>This Inner Loop Header: Depth=1
	s_sethalt 5
	s_branch .LBB10_1249
.LBB10_1250:
	s_trap 2
	s_sendmsg_rtn_b32 s0, sendmsg(MSG_RTN_GET_DOORBELL)
	s_mov_b32 ttmp2, m0
	s_waitcnt lgkmcnt(0)
	s_and_b32 s0, s0, 0x3ff
	s_delay_alu instid0(SALU_CYCLE_1) | instskip(NEXT) | instid1(SALU_CYCLE_1)
	s_bitset1_b32 s0, 10
	s_mov_b32 m0, s0
	s_sendmsg sendmsg(MSG_INTERRUPT)
	s_mov_b32 m0, ttmp2
.LBB10_1251:                            ; =>This Inner Loop Header: Depth=1
	s_sethalt 5
	s_branch .LBB10_1251
.LBB10_1252:
	s_trap 2
	s_sendmsg_rtn_b32 s0, sendmsg(MSG_RTN_GET_DOORBELL)
	s_mov_b32 ttmp2, m0
	s_waitcnt lgkmcnt(0)
	s_and_b32 s0, s0, 0x3ff
	s_delay_alu instid0(SALU_CYCLE_1) | instskip(NEXT) | instid1(SALU_CYCLE_1)
	s_bitset1_b32 s0, 10
	s_mov_b32 m0, s0
	s_sendmsg sendmsg(MSG_INTERRUPT)
	s_mov_b32 m0, ttmp2
.LBB10_1253:                            ; =>This Inner Loop Header: Depth=1
	s_sethalt 5
	s_branch .LBB10_1253
.LBB10_1254:
	s_trap 2
	s_sendmsg_rtn_b32 s0, sendmsg(MSG_RTN_GET_DOORBELL)
	s_mov_b32 ttmp2, m0
	s_waitcnt lgkmcnt(0)
	s_and_b32 s0, s0, 0x3ff
	s_delay_alu instid0(SALU_CYCLE_1) | instskip(NEXT) | instid1(SALU_CYCLE_1)
	s_bitset1_b32 s0, 10
	s_mov_b32 m0, s0
	s_sendmsg sendmsg(MSG_INTERRUPT)
	s_mov_b32 m0, ttmp2
.LBB10_1255:                            ; =>This Inner Loop Header: Depth=1
	s_sethalt 5
	s_branch .LBB10_1255
.LBB10_1256:
	s_trap 2
	s_sendmsg_rtn_b32 s0, sendmsg(MSG_RTN_GET_DOORBELL)
	s_mov_b32 ttmp2, m0
	s_waitcnt lgkmcnt(0)
	s_and_b32 s0, s0, 0x3ff
	s_delay_alu instid0(SALU_CYCLE_1) | instskip(NEXT) | instid1(SALU_CYCLE_1)
	s_bitset1_b32 s0, 10
	s_mov_b32 m0, s0
	s_sendmsg sendmsg(MSG_INTERRUPT)
	s_mov_b32 m0, ttmp2
.LBB10_1257:                            ; =>This Inner Loop Header: Depth=1
	s_sethalt 5
	s_branch .LBB10_1257
.LBB10_1258:
	s_trap 2
	s_sendmsg_rtn_b32 s0, sendmsg(MSG_RTN_GET_DOORBELL)
	s_mov_b32 ttmp2, m0
	s_waitcnt lgkmcnt(0)
	s_and_b32 s0, s0, 0x3ff
	s_delay_alu instid0(SALU_CYCLE_1) | instskip(NEXT) | instid1(SALU_CYCLE_1)
	s_bitset1_b32 s0, 10
	s_mov_b32 m0, s0
	s_sendmsg sendmsg(MSG_INTERRUPT)
	s_mov_b32 m0, ttmp2
.LBB10_1259:                            ; =>This Inner Loop Header: Depth=1
	s_sethalt 5
	s_branch .LBB10_1259
.LBB10_1260:
	s_trap 2
	s_sendmsg_rtn_b32 s0, sendmsg(MSG_RTN_GET_DOORBELL)
	s_mov_b32 ttmp2, m0
	s_waitcnt lgkmcnt(0)
	s_and_b32 s0, s0, 0x3ff
	s_delay_alu instid0(SALU_CYCLE_1) | instskip(NEXT) | instid1(SALU_CYCLE_1)
	s_bitset1_b32 s0, 10
	s_mov_b32 m0, s0
	s_sendmsg sendmsg(MSG_INTERRUPT)
	s_mov_b32 m0, ttmp2
.LBB10_1261:                            ; =>This Inner Loop Header: Depth=1
	s_sethalt 5
	s_branch .LBB10_1261
.LBB10_1262:
	s_trap 2
	s_sendmsg_rtn_b32 s0, sendmsg(MSG_RTN_GET_DOORBELL)
	s_mov_b32 ttmp2, m0
	s_waitcnt lgkmcnt(0)
	s_and_b32 s0, s0, 0x3ff
	s_delay_alu instid0(SALU_CYCLE_1) | instskip(NEXT) | instid1(SALU_CYCLE_1)
	s_bitset1_b32 s0, 10
	s_mov_b32 m0, s0
	s_sendmsg sendmsg(MSG_INTERRUPT)
	s_mov_b32 m0, ttmp2
.LBB10_1263:                            ; =>This Inner Loop Header: Depth=1
	s_sethalt 5
	s_branch .LBB10_1263
.LBB10_1264:
	s_trap 2
	s_sendmsg_rtn_b32 s0, sendmsg(MSG_RTN_GET_DOORBELL)
	s_mov_b32 ttmp2, m0
	s_waitcnt lgkmcnt(0)
	s_and_b32 s0, s0, 0x3ff
	s_delay_alu instid0(SALU_CYCLE_1) | instskip(NEXT) | instid1(SALU_CYCLE_1)
	s_bitset1_b32 s0, 10
	s_mov_b32 m0, s0
	s_sendmsg sendmsg(MSG_INTERRUPT)
	s_mov_b32 m0, ttmp2
.LBB10_1265:                            ; =>This Inner Loop Header: Depth=1
	s_sethalt 5
	s_branch .LBB10_1265
.LBB10_1266:                            ;   in Loop: Header=BB10_1267 Depth=1
	s_or_b32 exec_lo, exec_lo, s12
	s_delay_alu instid0(SALU_CYCLE_1) | instskip(NEXT) | instid1(SALU_CYCLE_1)
	s_and_b32 s10, exec_lo, s11
	s_or_b32 s4, s10, s4
	s_and_not1_b32 s5, s5, exec_lo
	s_and_b32 s10, s6, exec_lo
	s_delay_alu instid0(SALU_CYCLE_1)
	s_or_b32 s5, s5, s10
	s_and_not1_b32 exec_lo, exec_lo, s4
	s_cbranch_execz .LBB10_1451
.LBB10_1267:                            ; =>This Inner Loop Header: Depth=1
	s_add_i32 s7, s7, 1
                                        ; implicit-def: $sgpr11
	s_delay_alu instid0(SALU_CYCLE_1) | instskip(SKIP_1) | instid1(SALU_CYCLE_1)
	s_cmpk_lg_i32 s7, 0x2710
	s_cselect_b32 s10, -1, 0
	s_and_b32 vcc_lo, exec_lo, s10
	s_cbranch_vccz .LBB10_1271
.LBB10_1268:                            ;   in Loop: Header=BB10_1267 Depth=1
	s_and_not1_b32 s6, s6, exec_lo
	s_and_b32 s12, s11, exec_lo
	s_mov_b32 s11, -1
	s_or_b32 s6, s6, s12
	s_and_saveexec_b32 s12, s10
	s_cbranch_execz .LBB10_1266
; %bb.1269:                             ;   in Loop: Header=BB10_1267 Depth=1
	s_sleep 1
	s_cbranch_execnz .LBB10_1303
; %bb.1270:                             ;   in Loop: Header=BB10_1267 Depth=1
	ds_load_b64 v[2:3], v0
	s_and_not1_b32 s6, s6, exec_lo
	s_waitcnt lgkmcnt(0)
	v_cmp_ge_u64_e32 vcc_lo, v[2:3], v[0:1]
	s_or_not1_b32 s11, vcc_lo, exec_lo
	s_branch .LBB10_1266
.LBB10_1271:                            ;   in Loop: Header=BB10_1267 Depth=1
	s_cbranch_execnz .LBB10_1313
; %bb.1272:                             ;   in Loop: Header=BB10_1267 Depth=1
	ds_load_b64 v[2:3], v0
	s_and_not1_b32 s10, s10, exec_lo
	s_mov_b32 s7, 0
	s_mov_b32 s11, -1
	s_waitcnt lgkmcnt(0)
	flat_load_b32 v2, v[2:3] glc
	s_waitcnt vmcnt(0) lgkmcnt(0)
	buffer_gl1_inv
	buffer_gl0_inv
	v_cmp_eq_u32_e32 vcc_lo, 0, v2
	s_and_b32 s12, vcc_lo, exec_lo
	s_delay_alu instid0(SALU_CYCLE_1)
	s_or_b32 s10, s10, s12
	s_branch .LBB10_1268
.LBB10_1273:
	s_trap 2
	s_sendmsg_rtn_b32 s0, sendmsg(MSG_RTN_GET_DOORBELL)
	s_mov_b32 ttmp2, m0
	s_waitcnt lgkmcnt(0)
	s_and_b32 s0, s0, 0x3ff
	s_delay_alu instid0(SALU_CYCLE_1) | instskip(NEXT) | instid1(SALU_CYCLE_1)
	s_bitset1_b32 s0, 10
	s_mov_b32 m0, s0
	s_sendmsg sendmsg(MSG_INTERRUPT)
	s_mov_b32 m0, ttmp2
.LBB10_1274:                            ; =>This Inner Loop Header: Depth=1
	s_sethalt 5
	s_branch .LBB10_1274
.LBB10_1275:
	s_trap 2
	s_sendmsg_rtn_b32 s0, sendmsg(MSG_RTN_GET_DOORBELL)
	s_mov_b32 ttmp2, m0
	s_waitcnt lgkmcnt(0)
	s_and_b32 s0, s0, 0x3ff
	s_delay_alu instid0(SALU_CYCLE_1) | instskip(NEXT) | instid1(SALU_CYCLE_1)
	s_bitset1_b32 s0, 10
	s_mov_b32 m0, s0
	s_sendmsg sendmsg(MSG_INTERRUPT)
	s_mov_b32 m0, ttmp2
.LBB10_1276:                            ; =>This Inner Loop Header: Depth=1
	s_sethalt 5
	s_branch .LBB10_1276
.LBB10_1277:
	s_trap 2
	s_sendmsg_rtn_b32 s0, sendmsg(MSG_RTN_GET_DOORBELL)
	s_mov_b32 ttmp2, m0
	s_waitcnt lgkmcnt(0)
	s_and_b32 s0, s0, 0x3ff
	s_delay_alu instid0(SALU_CYCLE_1) | instskip(NEXT) | instid1(SALU_CYCLE_1)
	s_bitset1_b32 s0, 10
	s_mov_b32 m0, s0
	s_sendmsg sendmsg(MSG_INTERRUPT)
	s_mov_b32 m0, ttmp2
.LBB10_1278:                            ; =>This Inner Loop Header: Depth=1
	s_sethalt 5
	s_branch .LBB10_1278
.LBB10_1279:
	s_trap 2
	s_sendmsg_rtn_b32 s0, sendmsg(MSG_RTN_GET_DOORBELL)
	s_mov_b32 ttmp2, m0
	s_waitcnt lgkmcnt(0)
	s_and_b32 s0, s0, 0x3ff
	s_delay_alu instid0(SALU_CYCLE_1) | instskip(NEXT) | instid1(SALU_CYCLE_1)
	s_bitset1_b32 s0, 10
	s_mov_b32 m0, s0
	s_sendmsg sendmsg(MSG_INTERRUPT)
	s_mov_b32 m0, ttmp2
.LBB10_1280:                            ; =>This Inner Loop Header: Depth=1
	s_sethalt 5
	s_branch .LBB10_1280
.LBB10_1281:
	s_trap 2
	s_sendmsg_rtn_b32 s0, sendmsg(MSG_RTN_GET_DOORBELL)
	s_mov_b32 ttmp2, m0
	s_waitcnt lgkmcnt(0)
	s_and_b32 s0, s0, 0x3ff
	s_delay_alu instid0(SALU_CYCLE_1) | instskip(NEXT) | instid1(SALU_CYCLE_1)
	s_bitset1_b32 s0, 10
	s_mov_b32 m0, s0
	s_sendmsg sendmsg(MSG_INTERRUPT)
	s_mov_b32 m0, ttmp2
.LBB10_1282:                            ; =>This Inner Loop Header: Depth=1
	s_sethalt 5
	s_branch .LBB10_1282
.LBB10_1283:
	s_trap 2
	s_sendmsg_rtn_b32 s0, sendmsg(MSG_RTN_GET_DOORBELL)
	s_mov_b32 ttmp2, m0
	s_waitcnt lgkmcnt(0)
	s_and_b32 s0, s0, 0x3ff
	s_delay_alu instid0(SALU_CYCLE_1) | instskip(NEXT) | instid1(SALU_CYCLE_1)
	s_bitset1_b32 s0, 10
	s_mov_b32 m0, s0
	s_sendmsg sendmsg(MSG_INTERRUPT)
	s_mov_b32 m0, ttmp2
.LBB10_1284:                            ; =>This Inner Loop Header: Depth=1
	s_sethalt 5
	s_branch .LBB10_1284
.LBB10_1285:
	s_trap 2
	s_sendmsg_rtn_b32 s0, sendmsg(MSG_RTN_GET_DOORBELL)
	s_mov_b32 ttmp2, m0
	s_waitcnt lgkmcnt(0)
	s_and_b32 s0, s0, 0x3ff
	s_delay_alu instid0(SALU_CYCLE_1) | instskip(NEXT) | instid1(SALU_CYCLE_1)
	s_bitset1_b32 s0, 10
	s_mov_b32 m0, s0
	s_sendmsg sendmsg(MSG_INTERRUPT)
	s_mov_b32 m0, ttmp2
.LBB10_1286:                            ; =>This Inner Loop Header: Depth=1
	s_sethalt 5
	s_branch .LBB10_1286
.LBB10_1287:
	s_trap 2
	s_sendmsg_rtn_b32 s0, sendmsg(MSG_RTN_GET_DOORBELL)
	s_mov_b32 ttmp2, m0
	s_waitcnt lgkmcnt(0)
	s_and_b32 s0, s0, 0x3ff
	s_delay_alu instid0(SALU_CYCLE_1) | instskip(NEXT) | instid1(SALU_CYCLE_1)
	s_bitset1_b32 s0, 10
	s_mov_b32 m0, s0
	s_sendmsg sendmsg(MSG_INTERRUPT)
	s_mov_b32 m0, ttmp2
.LBB10_1288:                            ; =>This Inner Loop Header: Depth=1
	s_sethalt 5
	s_branch .LBB10_1288
.LBB10_1289:
	s_trap 2
	s_sendmsg_rtn_b32 s0, sendmsg(MSG_RTN_GET_DOORBELL)
	s_mov_b32 ttmp2, m0
	s_waitcnt lgkmcnt(0)
	s_and_b32 s0, s0, 0x3ff
	s_delay_alu instid0(SALU_CYCLE_1) | instskip(NEXT) | instid1(SALU_CYCLE_1)
	s_bitset1_b32 s0, 10
	s_mov_b32 m0, s0
	s_sendmsg sendmsg(MSG_INTERRUPT)
	s_mov_b32 m0, ttmp2
.LBB10_1290:                            ; =>This Inner Loop Header: Depth=1
	s_sethalt 5
	s_branch .LBB10_1290
.LBB10_1291:
	s_trap 2
	s_sendmsg_rtn_b32 s0, sendmsg(MSG_RTN_GET_DOORBELL)
	s_mov_b32 ttmp2, m0
	s_waitcnt lgkmcnt(0)
	s_and_b32 s0, s0, 0x3ff
	s_delay_alu instid0(SALU_CYCLE_1) | instskip(NEXT) | instid1(SALU_CYCLE_1)
	s_bitset1_b32 s0, 10
	s_mov_b32 m0, s0
	s_sendmsg sendmsg(MSG_INTERRUPT)
	s_mov_b32 m0, ttmp2
.LBB10_1292:                            ; =>This Inner Loop Header: Depth=1
	s_sethalt 5
	s_branch .LBB10_1292
.LBB10_1293:
	s_trap 2
	s_sendmsg_rtn_b32 s0, sendmsg(MSG_RTN_GET_DOORBELL)
	s_mov_b32 ttmp2, m0
	s_waitcnt lgkmcnt(0)
	s_and_b32 s0, s0, 0x3ff
	s_delay_alu instid0(SALU_CYCLE_1) | instskip(NEXT) | instid1(SALU_CYCLE_1)
	s_bitset1_b32 s0, 10
	s_mov_b32 m0, s0
	s_sendmsg sendmsg(MSG_INTERRUPT)
	s_mov_b32 m0, ttmp2
.LBB10_1294:                            ; =>This Inner Loop Header: Depth=1
	s_sethalt 5
	s_branch .LBB10_1294
.LBB10_1295:
	s_trap 2
	s_sendmsg_rtn_b32 s0, sendmsg(MSG_RTN_GET_DOORBELL)
	s_mov_b32 ttmp2, m0
	s_waitcnt lgkmcnt(0)
	s_and_b32 s0, s0, 0x3ff
	s_delay_alu instid0(SALU_CYCLE_1) | instskip(NEXT) | instid1(SALU_CYCLE_1)
	s_bitset1_b32 s0, 10
	s_mov_b32 m0, s0
	s_sendmsg sendmsg(MSG_INTERRUPT)
	s_mov_b32 m0, ttmp2
.LBB10_1296:                            ; =>This Inner Loop Header: Depth=1
	s_sethalt 5
	s_branch .LBB10_1296
.LBB10_1297:
	s_trap 2
	s_sendmsg_rtn_b32 s0, sendmsg(MSG_RTN_GET_DOORBELL)
	s_mov_b32 ttmp2, m0
	s_waitcnt lgkmcnt(0)
	s_and_b32 s0, s0, 0x3ff
	s_delay_alu instid0(SALU_CYCLE_1) | instskip(NEXT) | instid1(SALU_CYCLE_1)
	s_bitset1_b32 s0, 10
	s_mov_b32 m0, s0
	s_sendmsg sendmsg(MSG_INTERRUPT)
	s_mov_b32 m0, ttmp2
.LBB10_1298:                            ; =>This Inner Loop Header: Depth=1
	s_sethalt 5
	s_branch .LBB10_1298
.LBB10_1299:
	s_trap 2
	s_sendmsg_rtn_b32 s0, sendmsg(MSG_RTN_GET_DOORBELL)
	s_mov_b32 ttmp2, m0
	s_waitcnt lgkmcnt(0)
	s_and_b32 s0, s0, 0x3ff
	s_delay_alu instid0(SALU_CYCLE_1) | instskip(NEXT) | instid1(SALU_CYCLE_1)
	s_bitset1_b32 s0, 10
	s_mov_b32 m0, s0
	s_sendmsg sendmsg(MSG_INTERRUPT)
	s_mov_b32 m0, ttmp2
.LBB10_1300:                            ; =>This Inner Loop Header: Depth=1
	s_sethalt 5
	s_branch .LBB10_1300
.LBB10_1301:
	s_trap 2
	s_sendmsg_rtn_b32 s0, sendmsg(MSG_RTN_GET_DOORBELL)
	s_mov_b32 ttmp2, m0
	s_waitcnt lgkmcnt(0)
	s_and_b32 s0, s0, 0x3ff
	s_delay_alu instid0(SALU_CYCLE_1) | instskip(NEXT) | instid1(SALU_CYCLE_1)
	s_bitset1_b32 s0, 10
	s_mov_b32 m0, s0
	s_sendmsg sendmsg(MSG_INTERRUPT)
	s_mov_b32 m0, ttmp2
.LBB10_1302:                            ; =>This Inner Loop Header: Depth=1
	s_sethalt 5
	s_branch .LBB10_1302
.LBB10_1303:
	s_trap 2
	s_sendmsg_rtn_b32 s0, sendmsg(MSG_RTN_GET_DOORBELL)
	s_mov_b32 ttmp2, m0
	s_waitcnt lgkmcnt(0)
	s_and_b32 s0, s0, 0x3ff
	s_delay_alu instid0(SALU_CYCLE_1) | instskip(NEXT) | instid1(SALU_CYCLE_1)
	s_bitset1_b32 s0, 10
	s_mov_b32 m0, s0
	s_sendmsg sendmsg(MSG_INTERRUPT)
	s_mov_b32 m0, ttmp2
.LBB10_1304:                            ; =>This Inner Loop Header: Depth=1
	s_sethalt 5
	s_branch .LBB10_1304
.LBB10_1305:
	s_trap 2
	s_sendmsg_rtn_b32 s0, sendmsg(MSG_RTN_GET_DOORBELL)
	s_mov_b32 ttmp2, m0
	s_waitcnt lgkmcnt(0)
	s_and_b32 s0, s0, 0x3ff
	s_delay_alu instid0(SALU_CYCLE_1) | instskip(NEXT) | instid1(SALU_CYCLE_1)
	s_bitset1_b32 s0, 10
	s_mov_b32 m0, s0
	s_sendmsg sendmsg(MSG_INTERRUPT)
	s_mov_b32 m0, ttmp2
.LBB10_1306:                            ; =>This Inner Loop Header: Depth=1
	s_sethalt 5
	s_branch .LBB10_1306
.LBB10_1307:
	s_trap 2
	s_sendmsg_rtn_b32 s0, sendmsg(MSG_RTN_GET_DOORBELL)
	s_mov_b32 ttmp2, m0
	s_waitcnt lgkmcnt(0)
	s_and_b32 s0, s0, 0x3ff
	s_delay_alu instid0(SALU_CYCLE_1) | instskip(NEXT) | instid1(SALU_CYCLE_1)
	s_bitset1_b32 s0, 10
	s_mov_b32 m0, s0
	s_sendmsg sendmsg(MSG_INTERRUPT)
	s_mov_b32 m0, ttmp2
.LBB10_1308:                            ; =>This Inner Loop Header: Depth=1
	s_sethalt 5
	s_branch .LBB10_1308
.LBB10_1309:
	s_trap 2
	s_sendmsg_rtn_b32 s0, sendmsg(MSG_RTN_GET_DOORBELL)
	s_mov_b32 ttmp2, m0
	s_waitcnt lgkmcnt(0)
	s_and_b32 s0, s0, 0x3ff
	s_delay_alu instid0(SALU_CYCLE_1) | instskip(NEXT) | instid1(SALU_CYCLE_1)
	s_bitset1_b32 s0, 10
	s_mov_b32 m0, s0
	s_sendmsg sendmsg(MSG_INTERRUPT)
	s_mov_b32 m0, ttmp2
.LBB10_1310:                            ; =>This Inner Loop Header: Depth=1
	s_sethalt 5
	s_branch .LBB10_1310
.LBB10_1311:
	s_trap 2
	s_sendmsg_rtn_b32 s0, sendmsg(MSG_RTN_GET_DOORBELL)
	s_mov_b32 ttmp2, m0
	s_waitcnt lgkmcnt(0)
	s_and_b32 s0, s0, 0x3ff
	s_delay_alu instid0(SALU_CYCLE_1) | instskip(NEXT) | instid1(SALU_CYCLE_1)
	s_bitset1_b32 s0, 10
	s_mov_b32 m0, s0
	s_sendmsg sendmsg(MSG_INTERRUPT)
	s_mov_b32 m0, ttmp2
.LBB10_1312:                            ; =>This Inner Loop Header: Depth=1
	s_sethalt 5
	s_branch .LBB10_1312
.LBB10_1313:
	s_trap 2
	s_sendmsg_rtn_b32 s0, sendmsg(MSG_RTN_GET_DOORBELL)
	s_mov_b32 ttmp2, m0
	s_waitcnt lgkmcnt(0)
	s_and_b32 s0, s0, 0x3ff
	s_delay_alu instid0(SALU_CYCLE_1) | instskip(NEXT) | instid1(SALU_CYCLE_1)
	s_bitset1_b32 s0, 10
	s_mov_b32 m0, s0
	s_sendmsg sendmsg(MSG_INTERRUPT)
	s_mov_b32 m0, ttmp2
.LBB10_1314:                            ; =>This Inner Loop Header: Depth=1
	s_sethalt 5
	s_branch .LBB10_1314
.LBB10_1315:
	s_trap 2
	s_sendmsg_rtn_b32 s0, sendmsg(MSG_RTN_GET_DOORBELL)
	s_mov_b32 ttmp2, m0
	s_waitcnt lgkmcnt(0)
	s_and_b32 s0, s0, 0x3ff
	s_delay_alu instid0(SALU_CYCLE_1) | instskip(NEXT) | instid1(SALU_CYCLE_1)
	s_bitset1_b32 s0, 10
	s_mov_b32 m0, s0
	s_sendmsg sendmsg(MSG_INTERRUPT)
	s_mov_b32 m0, ttmp2
.LBB10_1316:                            ; =>This Inner Loop Header: Depth=1
	s_sethalt 5
	s_branch .LBB10_1316
.LBB10_1317:
	s_trap 2
	s_sendmsg_rtn_b32 s0, sendmsg(MSG_RTN_GET_DOORBELL)
	s_mov_b32 ttmp2, m0
	s_waitcnt lgkmcnt(0)
	s_and_b32 s0, s0, 0x3ff
	s_delay_alu instid0(SALU_CYCLE_1) | instskip(NEXT) | instid1(SALU_CYCLE_1)
	s_bitset1_b32 s0, 10
	s_mov_b32 m0, s0
	s_sendmsg sendmsg(MSG_INTERRUPT)
	s_mov_b32 m0, ttmp2
.LBB10_1318:                            ; =>This Inner Loop Header: Depth=1
	s_sethalt 5
	s_branch .LBB10_1318
.LBB10_1319:
	s_trap 2
	s_sendmsg_rtn_b32 s0, sendmsg(MSG_RTN_GET_DOORBELL)
	s_mov_b32 ttmp2, m0
	s_waitcnt lgkmcnt(0)
	s_and_b32 s0, s0, 0x3ff
	s_delay_alu instid0(SALU_CYCLE_1) | instskip(NEXT) | instid1(SALU_CYCLE_1)
	s_bitset1_b32 s0, 10
	s_mov_b32 m0, s0
	s_sendmsg sendmsg(MSG_INTERRUPT)
	s_mov_b32 m0, ttmp2
.LBB10_1320:                            ; =>This Inner Loop Header: Depth=1
	s_sethalt 5
	s_branch .LBB10_1320
.LBB10_1321:
	s_trap 2
	s_sendmsg_rtn_b32 s0, sendmsg(MSG_RTN_GET_DOORBELL)
	s_mov_b32 ttmp2, m0
	s_waitcnt lgkmcnt(0)
	s_and_b32 s0, s0, 0x3ff
	s_delay_alu instid0(SALU_CYCLE_1) | instskip(NEXT) | instid1(SALU_CYCLE_1)
	s_bitset1_b32 s0, 10
	s_mov_b32 m0, s0
	s_sendmsg sendmsg(MSG_INTERRUPT)
	s_mov_b32 m0, ttmp2
.LBB10_1322:                            ; =>This Inner Loop Header: Depth=1
	s_sethalt 5
	s_branch .LBB10_1322
.LBB10_1323:
	s_trap 2
	s_sendmsg_rtn_b32 s0, sendmsg(MSG_RTN_GET_DOORBELL)
	s_mov_b32 ttmp2, m0
	s_waitcnt lgkmcnt(0)
	s_and_b32 s0, s0, 0x3ff
	s_delay_alu instid0(SALU_CYCLE_1) | instskip(NEXT) | instid1(SALU_CYCLE_1)
	s_bitset1_b32 s0, 10
	s_mov_b32 m0, s0
	s_sendmsg sendmsg(MSG_INTERRUPT)
	s_mov_b32 m0, ttmp2
.LBB10_1324:                            ; =>This Inner Loop Header: Depth=1
	s_sethalt 5
	s_branch .LBB10_1324
.LBB10_1325:
	s_trap 2
	s_sendmsg_rtn_b32 s0, sendmsg(MSG_RTN_GET_DOORBELL)
	s_mov_b32 ttmp2, m0
	s_waitcnt lgkmcnt(0)
	s_and_b32 s0, s0, 0x3ff
	s_delay_alu instid0(SALU_CYCLE_1) | instskip(NEXT) | instid1(SALU_CYCLE_1)
	s_bitset1_b32 s0, 10
	s_mov_b32 m0, s0
	s_sendmsg sendmsg(MSG_INTERRUPT)
	s_mov_b32 m0, ttmp2
.LBB10_1326:                            ; =>This Inner Loop Header: Depth=1
	s_sethalt 5
	s_branch .LBB10_1326
.LBB10_1327:
	s_trap 2
	s_sendmsg_rtn_b32 s0, sendmsg(MSG_RTN_GET_DOORBELL)
	s_mov_b32 ttmp2, m0
	s_waitcnt lgkmcnt(0)
	s_and_b32 s0, s0, 0x3ff
	s_delay_alu instid0(SALU_CYCLE_1) | instskip(NEXT) | instid1(SALU_CYCLE_1)
	s_bitset1_b32 s0, 10
	s_mov_b32 m0, s0
	s_sendmsg sendmsg(MSG_INTERRUPT)
	s_mov_b32 m0, ttmp2
.LBB10_1328:                            ; =>This Inner Loop Header: Depth=1
	s_sethalt 5
	s_branch .LBB10_1328
.LBB10_1329:
	s_trap 2
	s_sendmsg_rtn_b32 s0, sendmsg(MSG_RTN_GET_DOORBELL)
	s_mov_b32 ttmp2, m0
	s_waitcnt lgkmcnt(0)
	s_and_b32 s0, s0, 0x3ff
	s_delay_alu instid0(SALU_CYCLE_1) | instskip(NEXT) | instid1(SALU_CYCLE_1)
	s_bitset1_b32 s0, 10
	s_mov_b32 m0, s0
	s_sendmsg sendmsg(MSG_INTERRUPT)
	s_mov_b32 m0, ttmp2
.LBB10_1330:                            ; =>This Inner Loop Header: Depth=1
	s_sethalt 5
	s_branch .LBB10_1330
.LBB10_1331:
	s_trap 2
	s_sendmsg_rtn_b32 s0, sendmsg(MSG_RTN_GET_DOORBELL)
	s_mov_b32 ttmp2, m0
	s_waitcnt lgkmcnt(0)
	s_and_b32 s0, s0, 0x3ff
	s_delay_alu instid0(SALU_CYCLE_1) | instskip(NEXT) | instid1(SALU_CYCLE_1)
	s_bitset1_b32 s0, 10
	s_mov_b32 m0, s0
	s_sendmsg sendmsg(MSG_INTERRUPT)
	s_mov_b32 m0, ttmp2
.LBB10_1332:                            ; =>This Inner Loop Header: Depth=1
	s_sethalt 5
	s_branch .LBB10_1332
.LBB10_1333:
	s_trap 2
	s_sendmsg_rtn_b32 s0, sendmsg(MSG_RTN_GET_DOORBELL)
	s_mov_b32 ttmp2, m0
	s_waitcnt lgkmcnt(0)
	s_and_b32 s0, s0, 0x3ff
	s_delay_alu instid0(SALU_CYCLE_1) | instskip(NEXT) | instid1(SALU_CYCLE_1)
	s_bitset1_b32 s0, 10
	s_mov_b32 m0, s0
	s_sendmsg sendmsg(MSG_INTERRUPT)
	s_mov_b32 m0, ttmp2
.LBB10_1334:                            ; =>This Inner Loop Header: Depth=1
	s_sethalt 5
	s_branch .LBB10_1334
.LBB10_1335:
	s_trap 2
	s_sendmsg_rtn_b32 s0, sendmsg(MSG_RTN_GET_DOORBELL)
	s_mov_b32 ttmp2, m0
	s_waitcnt lgkmcnt(0)
	s_and_b32 s0, s0, 0x3ff
	s_delay_alu instid0(SALU_CYCLE_1) | instskip(NEXT) | instid1(SALU_CYCLE_1)
	s_bitset1_b32 s0, 10
	s_mov_b32 m0, s0
	s_sendmsg sendmsg(MSG_INTERRUPT)
	s_mov_b32 m0, ttmp2
.LBB10_1336:                            ; =>This Inner Loop Header: Depth=1
	s_sethalt 5
	s_branch .LBB10_1336
.LBB10_1337:
	s_trap 2
	s_sendmsg_rtn_b32 s0, sendmsg(MSG_RTN_GET_DOORBELL)
	s_mov_b32 ttmp2, m0
	s_waitcnt lgkmcnt(0)
	s_and_b32 s0, s0, 0x3ff
	s_delay_alu instid0(SALU_CYCLE_1) | instskip(NEXT) | instid1(SALU_CYCLE_1)
	s_bitset1_b32 s0, 10
	s_mov_b32 m0, s0
	s_sendmsg sendmsg(MSG_INTERRUPT)
	s_mov_b32 m0, ttmp2
.LBB10_1338:                            ; =>This Inner Loop Header: Depth=1
	s_sethalt 5
	s_branch .LBB10_1338
.LBB10_1339:
	s_trap 2
	s_sendmsg_rtn_b32 s0, sendmsg(MSG_RTN_GET_DOORBELL)
	s_mov_b32 ttmp2, m0
	s_waitcnt lgkmcnt(0)
	s_and_b32 s0, s0, 0x3ff
	s_delay_alu instid0(SALU_CYCLE_1) | instskip(NEXT) | instid1(SALU_CYCLE_1)
	s_bitset1_b32 s0, 10
	s_mov_b32 m0, s0
	s_sendmsg sendmsg(MSG_INTERRUPT)
	s_mov_b32 m0, ttmp2
.LBB10_1340:                            ; =>This Inner Loop Header: Depth=1
	s_sethalt 5
	s_branch .LBB10_1340
.LBB10_1341:
	s_trap 2
	s_sendmsg_rtn_b32 s0, sendmsg(MSG_RTN_GET_DOORBELL)
	s_mov_b32 ttmp2, m0
	s_waitcnt lgkmcnt(0)
	s_and_b32 s0, s0, 0x3ff
	s_delay_alu instid0(SALU_CYCLE_1) | instskip(NEXT) | instid1(SALU_CYCLE_1)
	s_bitset1_b32 s0, 10
	s_mov_b32 m0, s0
	s_sendmsg sendmsg(MSG_INTERRUPT)
	s_mov_b32 m0, ttmp2
.LBB10_1342:                            ; =>This Inner Loop Header: Depth=1
	s_sethalt 5
	s_branch .LBB10_1342
.LBB10_1343:
	s_trap 2
	s_sendmsg_rtn_b32 s0, sendmsg(MSG_RTN_GET_DOORBELL)
	s_mov_b32 ttmp2, m0
	s_waitcnt lgkmcnt(0)
	s_and_b32 s0, s0, 0x3ff
	s_delay_alu instid0(SALU_CYCLE_1) | instskip(NEXT) | instid1(SALU_CYCLE_1)
	s_bitset1_b32 s0, 10
	s_mov_b32 m0, s0
	s_sendmsg sendmsg(MSG_INTERRUPT)
	s_mov_b32 m0, ttmp2
.LBB10_1344:                            ; =>This Inner Loop Header: Depth=1
	s_sethalt 5
	s_branch .LBB10_1344
.LBB10_1345:
	s_trap 2
	s_sendmsg_rtn_b32 s0, sendmsg(MSG_RTN_GET_DOORBELL)
	s_mov_b32 ttmp2, m0
	s_waitcnt lgkmcnt(0)
	s_and_b32 s0, s0, 0x3ff
	s_delay_alu instid0(SALU_CYCLE_1) | instskip(NEXT) | instid1(SALU_CYCLE_1)
	s_bitset1_b32 s0, 10
	s_mov_b32 m0, s0
	s_sendmsg sendmsg(MSG_INTERRUPT)
	s_mov_b32 m0, ttmp2
.LBB10_1346:                            ; =>This Inner Loop Header: Depth=1
	s_sethalt 5
	s_branch .LBB10_1346
.LBB10_1347:
	s_trap 2
	s_sendmsg_rtn_b32 s0, sendmsg(MSG_RTN_GET_DOORBELL)
	s_mov_b32 ttmp2, m0
	s_waitcnt lgkmcnt(0)
	s_and_b32 s0, s0, 0x3ff
	s_delay_alu instid0(SALU_CYCLE_1) | instskip(NEXT) | instid1(SALU_CYCLE_1)
	s_bitset1_b32 s0, 10
	s_mov_b32 m0, s0
	s_sendmsg sendmsg(MSG_INTERRUPT)
	s_mov_b32 m0, ttmp2
.LBB10_1348:                            ; =>This Inner Loop Header: Depth=1
	s_sethalt 5
	s_branch .LBB10_1348
.LBB10_1349:
	s_trap 2
	s_sendmsg_rtn_b32 s0, sendmsg(MSG_RTN_GET_DOORBELL)
	s_mov_b32 ttmp2, m0
	s_waitcnt lgkmcnt(0)
	s_and_b32 s0, s0, 0x3ff
	s_delay_alu instid0(SALU_CYCLE_1) | instskip(NEXT) | instid1(SALU_CYCLE_1)
	s_bitset1_b32 s0, 10
	s_mov_b32 m0, s0
	s_sendmsg sendmsg(MSG_INTERRUPT)
	s_mov_b32 m0, ttmp2
.LBB10_1350:                            ; =>This Inner Loop Header: Depth=1
	s_sethalt 5
	s_branch .LBB10_1350
.LBB10_1351:
	s_trap 2
	s_sendmsg_rtn_b32 s0, sendmsg(MSG_RTN_GET_DOORBELL)
	s_mov_b32 ttmp2, m0
	s_waitcnt lgkmcnt(0)
	s_and_b32 s0, s0, 0x3ff
	s_delay_alu instid0(SALU_CYCLE_1) | instskip(NEXT) | instid1(SALU_CYCLE_1)
	s_bitset1_b32 s0, 10
	s_mov_b32 m0, s0
	s_sendmsg sendmsg(MSG_INTERRUPT)
	s_mov_b32 m0, ttmp2
.LBB10_1352:                            ; =>This Inner Loop Header: Depth=1
	s_sethalt 5
	s_branch .LBB10_1352
.LBB10_1353:
	s_trap 2
	s_sendmsg_rtn_b32 s0, sendmsg(MSG_RTN_GET_DOORBELL)
	s_mov_b32 ttmp2, m0
	s_waitcnt lgkmcnt(0)
	s_and_b32 s0, s0, 0x3ff
	s_delay_alu instid0(SALU_CYCLE_1) | instskip(NEXT) | instid1(SALU_CYCLE_1)
	s_bitset1_b32 s0, 10
	s_mov_b32 m0, s0
	s_sendmsg sendmsg(MSG_INTERRUPT)
	s_mov_b32 m0, ttmp2
.LBB10_1354:                            ; =>This Inner Loop Header: Depth=1
	s_sethalt 5
	s_branch .LBB10_1354
.LBB10_1355:
	s_trap 2
	s_sendmsg_rtn_b32 s0, sendmsg(MSG_RTN_GET_DOORBELL)
	s_mov_b32 ttmp2, m0
	s_waitcnt lgkmcnt(0)
	s_and_b32 s0, s0, 0x3ff
	s_delay_alu instid0(SALU_CYCLE_1) | instskip(NEXT) | instid1(SALU_CYCLE_1)
	s_bitset1_b32 s0, 10
	s_mov_b32 m0, s0
	s_sendmsg sendmsg(MSG_INTERRUPT)
	s_mov_b32 m0, ttmp2
.LBB10_1356:                            ; =>This Inner Loop Header: Depth=1
	s_sethalt 5
	s_branch .LBB10_1356
.LBB10_1357:
	s_trap 2
	s_sendmsg_rtn_b32 s0, sendmsg(MSG_RTN_GET_DOORBELL)
	s_mov_b32 ttmp2, m0
	s_waitcnt lgkmcnt(0)
	s_and_b32 s0, s0, 0x3ff
	s_delay_alu instid0(SALU_CYCLE_1) | instskip(NEXT) | instid1(SALU_CYCLE_1)
	s_bitset1_b32 s0, 10
	s_mov_b32 m0, s0
	s_sendmsg sendmsg(MSG_INTERRUPT)
	s_mov_b32 m0, ttmp2
.LBB10_1358:                            ; =>This Inner Loop Header: Depth=1
	s_sethalt 5
	s_branch .LBB10_1358
.LBB10_1359:
	s_trap 2
	s_sendmsg_rtn_b32 s0, sendmsg(MSG_RTN_GET_DOORBELL)
	s_mov_b32 ttmp2, m0
	s_waitcnt lgkmcnt(0)
	s_and_b32 s0, s0, 0x3ff
	s_delay_alu instid0(SALU_CYCLE_1) | instskip(NEXT) | instid1(SALU_CYCLE_1)
	s_bitset1_b32 s0, 10
	s_mov_b32 m0, s0
	s_sendmsg sendmsg(MSG_INTERRUPT)
	s_mov_b32 m0, ttmp2
.LBB10_1360:                            ; =>This Inner Loop Header: Depth=1
	s_sethalt 5
	s_branch .LBB10_1360
.LBB10_1361:
	s_trap 2
	s_sendmsg_rtn_b32 s0, sendmsg(MSG_RTN_GET_DOORBELL)
	s_mov_b32 ttmp2, m0
	s_waitcnt lgkmcnt(0)
	s_and_b32 s0, s0, 0x3ff
	s_delay_alu instid0(SALU_CYCLE_1) | instskip(NEXT) | instid1(SALU_CYCLE_1)
	s_bitset1_b32 s0, 10
	s_mov_b32 m0, s0
	s_sendmsg sendmsg(MSG_INTERRUPT)
	s_mov_b32 m0, ttmp2
.LBB10_1362:                            ; =>This Inner Loop Header: Depth=1
	s_sethalt 5
	s_branch .LBB10_1362
.LBB10_1363:
	s_trap 2
	s_sendmsg_rtn_b32 s0, sendmsg(MSG_RTN_GET_DOORBELL)
	s_mov_b32 ttmp2, m0
	s_waitcnt lgkmcnt(0)
	s_and_b32 s0, s0, 0x3ff
	s_delay_alu instid0(SALU_CYCLE_1) | instskip(NEXT) | instid1(SALU_CYCLE_1)
	s_bitset1_b32 s0, 10
	s_mov_b32 m0, s0
	s_sendmsg sendmsg(MSG_INTERRUPT)
	s_mov_b32 m0, ttmp2
.LBB10_1364:                            ; =>This Inner Loop Header: Depth=1
	s_sethalt 5
	s_branch .LBB10_1364
.LBB10_1365:
	s_trap 2
	s_sendmsg_rtn_b32 s0, sendmsg(MSG_RTN_GET_DOORBELL)
	s_mov_b32 ttmp2, m0
	s_waitcnt lgkmcnt(0)
	s_and_b32 s0, s0, 0x3ff
	s_delay_alu instid0(SALU_CYCLE_1) | instskip(NEXT) | instid1(SALU_CYCLE_1)
	s_bitset1_b32 s0, 10
	s_mov_b32 m0, s0
	s_sendmsg sendmsg(MSG_INTERRUPT)
	s_mov_b32 m0, ttmp2
.LBB10_1366:                            ; =>This Inner Loop Header: Depth=1
	s_sethalt 5
	s_branch .LBB10_1366
.LBB10_1367:
	s_trap 2
	s_sendmsg_rtn_b32 s0, sendmsg(MSG_RTN_GET_DOORBELL)
	s_mov_b32 ttmp2, m0
	s_waitcnt lgkmcnt(0)
	s_and_b32 s0, s0, 0x3ff
	s_delay_alu instid0(SALU_CYCLE_1) | instskip(NEXT) | instid1(SALU_CYCLE_1)
	s_bitset1_b32 s0, 10
	s_mov_b32 m0, s0
	s_sendmsg sendmsg(MSG_INTERRUPT)
	s_mov_b32 m0, ttmp2
.LBB10_1368:                            ; =>This Inner Loop Header: Depth=1
	s_sethalt 5
	s_branch .LBB10_1368
.LBB10_1369:
	s_trap 2
	s_sendmsg_rtn_b32 s0, sendmsg(MSG_RTN_GET_DOORBELL)
	s_mov_b32 ttmp2, m0
	s_waitcnt lgkmcnt(0)
	s_and_b32 s0, s0, 0x3ff
	s_delay_alu instid0(SALU_CYCLE_1) | instskip(NEXT) | instid1(SALU_CYCLE_1)
	s_bitset1_b32 s0, 10
	s_mov_b32 m0, s0
	s_sendmsg sendmsg(MSG_INTERRUPT)
	s_mov_b32 m0, ttmp2
.LBB10_1370:                            ; =>This Inner Loop Header: Depth=1
	s_sethalt 5
	s_branch .LBB10_1370
.LBB10_1371:
	s_trap 2
	s_sendmsg_rtn_b32 s0, sendmsg(MSG_RTN_GET_DOORBELL)
	s_mov_b32 ttmp2, m0
	s_waitcnt lgkmcnt(0)
	s_and_b32 s0, s0, 0x3ff
	s_delay_alu instid0(SALU_CYCLE_1) | instskip(NEXT) | instid1(SALU_CYCLE_1)
	s_bitset1_b32 s0, 10
	s_mov_b32 m0, s0
	s_sendmsg sendmsg(MSG_INTERRUPT)
	s_mov_b32 m0, ttmp2
.LBB10_1372:                            ; =>This Inner Loop Header: Depth=1
	s_sethalt 5
	s_branch .LBB10_1372
.LBB10_1373:
	s_trap 2
	s_sendmsg_rtn_b32 s0, sendmsg(MSG_RTN_GET_DOORBELL)
	s_mov_b32 ttmp2, m0
	s_waitcnt lgkmcnt(0)
	s_and_b32 s0, s0, 0x3ff
	s_delay_alu instid0(SALU_CYCLE_1) | instskip(NEXT) | instid1(SALU_CYCLE_1)
	s_bitset1_b32 s0, 10
	s_mov_b32 m0, s0
	s_sendmsg sendmsg(MSG_INTERRUPT)
	s_mov_b32 m0, ttmp2
.LBB10_1374:                            ; =>This Inner Loop Header: Depth=1
	s_sethalt 5
	s_branch .LBB10_1374
.LBB10_1375:
	s_trap 2
	s_sendmsg_rtn_b32 s0, sendmsg(MSG_RTN_GET_DOORBELL)
	s_mov_b32 ttmp2, m0
	s_waitcnt lgkmcnt(0)
	s_and_b32 s0, s0, 0x3ff
	s_delay_alu instid0(SALU_CYCLE_1) | instskip(NEXT) | instid1(SALU_CYCLE_1)
	s_bitset1_b32 s0, 10
	s_mov_b32 m0, s0
	s_sendmsg sendmsg(MSG_INTERRUPT)
	s_mov_b32 m0, ttmp2
.LBB10_1376:                            ; =>This Inner Loop Header: Depth=1
	s_sethalt 5
	s_branch .LBB10_1376
.LBB10_1377:
	s_trap 2
	s_sendmsg_rtn_b32 s0, sendmsg(MSG_RTN_GET_DOORBELL)
	s_mov_b32 ttmp2, m0
	s_waitcnt lgkmcnt(0)
	s_and_b32 s0, s0, 0x3ff
	s_delay_alu instid0(SALU_CYCLE_1) | instskip(NEXT) | instid1(SALU_CYCLE_1)
	s_bitset1_b32 s0, 10
	s_mov_b32 m0, s0
	s_sendmsg sendmsg(MSG_INTERRUPT)
	s_mov_b32 m0, ttmp2
.LBB10_1378:                            ; =>This Inner Loop Header: Depth=1
	s_sethalt 5
	s_branch .LBB10_1378
.LBB10_1379:
	s_trap 2
	s_sendmsg_rtn_b32 s0, sendmsg(MSG_RTN_GET_DOORBELL)
	s_mov_b32 ttmp2, m0
	s_waitcnt lgkmcnt(0)
	s_and_b32 s0, s0, 0x3ff
	s_delay_alu instid0(SALU_CYCLE_1) | instskip(NEXT) | instid1(SALU_CYCLE_1)
	s_bitset1_b32 s0, 10
	s_mov_b32 m0, s0
	s_sendmsg sendmsg(MSG_INTERRUPT)
	s_mov_b32 m0, ttmp2
.LBB10_1380:                            ; =>This Inner Loop Header: Depth=1
	s_sethalt 5
	s_branch .LBB10_1380
.LBB10_1381:
	s_trap 2
	s_sendmsg_rtn_b32 s0, sendmsg(MSG_RTN_GET_DOORBELL)
	s_mov_b32 ttmp2, m0
	s_waitcnt lgkmcnt(0)
	s_and_b32 s0, s0, 0x3ff
	s_delay_alu instid0(SALU_CYCLE_1) | instskip(NEXT) | instid1(SALU_CYCLE_1)
	s_bitset1_b32 s0, 10
	s_mov_b32 m0, s0
	s_sendmsg sendmsg(MSG_INTERRUPT)
	s_mov_b32 m0, ttmp2
.LBB10_1382:                            ; =>This Inner Loop Header: Depth=1
	s_sethalt 5
	s_branch .LBB10_1382
.LBB10_1383:
	s_trap 2
	s_sendmsg_rtn_b32 s0, sendmsg(MSG_RTN_GET_DOORBELL)
	s_mov_b32 ttmp2, m0
	s_waitcnt lgkmcnt(0)
	s_and_b32 s0, s0, 0x3ff
	s_delay_alu instid0(SALU_CYCLE_1) | instskip(NEXT) | instid1(SALU_CYCLE_1)
	s_bitset1_b32 s0, 10
	s_mov_b32 m0, s0
	s_sendmsg sendmsg(MSG_INTERRUPT)
	s_mov_b32 m0, ttmp2
.LBB10_1384:                            ; =>This Inner Loop Header: Depth=1
	s_sethalt 5
	s_branch .LBB10_1384
.LBB10_1385:
	s_trap 2
	s_sendmsg_rtn_b32 s0, sendmsg(MSG_RTN_GET_DOORBELL)
	s_mov_b32 ttmp2, m0
	s_waitcnt lgkmcnt(0)
	s_and_b32 s0, s0, 0x3ff
	s_delay_alu instid0(SALU_CYCLE_1) | instskip(NEXT) | instid1(SALU_CYCLE_1)
	s_bitset1_b32 s0, 10
	s_mov_b32 m0, s0
	s_sendmsg sendmsg(MSG_INTERRUPT)
	s_mov_b32 m0, ttmp2
.LBB10_1386:                            ; =>This Inner Loop Header: Depth=1
	s_sethalt 5
	s_branch .LBB10_1386
.LBB10_1387:
	s_trap 2
	s_sendmsg_rtn_b32 s0, sendmsg(MSG_RTN_GET_DOORBELL)
	s_mov_b32 ttmp2, m0
	s_waitcnt lgkmcnt(0)
	s_and_b32 s0, s0, 0x3ff
	s_delay_alu instid0(SALU_CYCLE_1) | instskip(NEXT) | instid1(SALU_CYCLE_1)
	s_bitset1_b32 s0, 10
	s_mov_b32 m0, s0
	s_sendmsg sendmsg(MSG_INTERRUPT)
	s_mov_b32 m0, ttmp2
.LBB10_1388:                            ; =>This Inner Loop Header: Depth=1
	s_sethalt 5
	s_branch .LBB10_1388
.LBB10_1389:
	s_trap 2
	s_sendmsg_rtn_b32 s0, sendmsg(MSG_RTN_GET_DOORBELL)
	s_mov_b32 ttmp2, m0
	s_waitcnt lgkmcnt(0)
	s_and_b32 s0, s0, 0x3ff
	s_delay_alu instid0(SALU_CYCLE_1) | instskip(NEXT) | instid1(SALU_CYCLE_1)
	s_bitset1_b32 s0, 10
	s_mov_b32 m0, s0
	s_sendmsg sendmsg(MSG_INTERRUPT)
	s_mov_b32 m0, ttmp2
.LBB10_1390:                            ; =>This Inner Loop Header: Depth=1
	s_sethalt 5
	s_branch .LBB10_1390
.LBB10_1391:
	s_trap 2
	s_sendmsg_rtn_b32 s0, sendmsg(MSG_RTN_GET_DOORBELL)
	s_mov_b32 ttmp2, m0
	s_waitcnt lgkmcnt(0)
	s_and_b32 s0, s0, 0x3ff
	s_delay_alu instid0(SALU_CYCLE_1) | instskip(NEXT) | instid1(SALU_CYCLE_1)
	s_bitset1_b32 s0, 10
	s_mov_b32 m0, s0
	s_sendmsg sendmsg(MSG_INTERRUPT)
	s_mov_b32 m0, ttmp2
.LBB10_1392:                            ; =>This Inner Loop Header: Depth=1
	s_sethalt 5
	s_branch .LBB10_1392
.LBB10_1393:
	s_trap 2
	s_sendmsg_rtn_b32 s0, sendmsg(MSG_RTN_GET_DOORBELL)
	s_mov_b32 ttmp2, m0
	s_waitcnt lgkmcnt(0)
	s_and_b32 s0, s0, 0x3ff
	s_delay_alu instid0(SALU_CYCLE_1) | instskip(NEXT) | instid1(SALU_CYCLE_1)
	s_bitset1_b32 s0, 10
	s_mov_b32 m0, s0
	s_sendmsg sendmsg(MSG_INTERRUPT)
	s_mov_b32 m0, ttmp2
.LBB10_1394:                            ; =>This Inner Loop Header: Depth=1
	s_sethalt 5
	s_branch .LBB10_1394
.LBB10_1395:
	s_trap 2
	s_sendmsg_rtn_b32 s0, sendmsg(MSG_RTN_GET_DOORBELL)
	s_mov_b32 ttmp2, m0
	s_waitcnt lgkmcnt(0)
	s_and_b32 s0, s0, 0x3ff
	s_delay_alu instid0(SALU_CYCLE_1) | instskip(NEXT) | instid1(SALU_CYCLE_1)
	s_bitset1_b32 s0, 10
	s_mov_b32 m0, s0
	s_sendmsg sendmsg(MSG_INTERRUPT)
	s_mov_b32 m0, ttmp2
.LBB10_1396:                            ; =>This Inner Loop Header: Depth=1
	s_sethalt 5
	s_branch .LBB10_1396
.LBB10_1397:
	s_trap 2
	s_sendmsg_rtn_b32 s0, sendmsg(MSG_RTN_GET_DOORBELL)
	s_mov_b32 ttmp2, m0
	s_waitcnt lgkmcnt(0)
	s_and_b32 s0, s0, 0x3ff
	s_delay_alu instid0(SALU_CYCLE_1) | instskip(NEXT) | instid1(SALU_CYCLE_1)
	s_bitset1_b32 s0, 10
	s_mov_b32 m0, s0
	s_sendmsg sendmsg(MSG_INTERRUPT)
	s_mov_b32 m0, ttmp2
.LBB10_1398:                            ; =>This Inner Loop Header: Depth=1
	s_sethalt 5
	s_branch .LBB10_1398
.LBB10_1399:
	s_trap 2
	s_sendmsg_rtn_b32 s0, sendmsg(MSG_RTN_GET_DOORBELL)
	s_mov_b32 ttmp2, m0
	s_waitcnt lgkmcnt(0)
	s_and_b32 s0, s0, 0x3ff
	s_delay_alu instid0(SALU_CYCLE_1) | instskip(NEXT) | instid1(SALU_CYCLE_1)
	s_bitset1_b32 s0, 10
	s_mov_b32 m0, s0
	s_sendmsg sendmsg(MSG_INTERRUPT)
	s_mov_b32 m0, ttmp2
.LBB10_1400:                            ; =>This Inner Loop Header: Depth=1
	s_sethalt 5
	s_branch .LBB10_1400
.LBB10_1401:
	s_trap 2
	s_sendmsg_rtn_b32 s0, sendmsg(MSG_RTN_GET_DOORBELL)
	s_mov_b32 ttmp2, m0
	s_waitcnt lgkmcnt(0)
	s_and_b32 s0, s0, 0x3ff
	s_delay_alu instid0(SALU_CYCLE_1) | instskip(NEXT) | instid1(SALU_CYCLE_1)
	s_bitset1_b32 s0, 10
	s_mov_b32 m0, s0
	s_sendmsg sendmsg(MSG_INTERRUPT)
	s_mov_b32 m0, ttmp2
.LBB10_1402:                            ; =>This Inner Loop Header: Depth=1
	s_sethalt 5
	s_branch .LBB10_1402
.LBB10_1403:
	s_trap 2
	s_sendmsg_rtn_b32 s0, sendmsg(MSG_RTN_GET_DOORBELL)
	s_mov_b32 ttmp2, m0
	s_waitcnt lgkmcnt(0)
	s_and_b32 s0, s0, 0x3ff
	s_delay_alu instid0(SALU_CYCLE_1) | instskip(NEXT) | instid1(SALU_CYCLE_1)
	s_bitset1_b32 s0, 10
	s_mov_b32 m0, s0
	s_sendmsg sendmsg(MSG_INTERRUPT)
	s_mov_b32 m0, ttmp2
.LBB10_1404:                            ; =>This Inner Loop Header: Depth=1
	s_sethalt 5
	s_branch .LBB10_1404
.LBB10_1405:
	s_trap 2
	s_sendmsg_rtn_b32 s0, sendmsg(MSG_RTN_GET_DOORBELL)
	s_mov_b32 ttmp2, m0
	s_waitcnt lgkmcnt(0)
	s_and_b32 s0, s0, 0x3ff
	s_delay_alu instid0(SALU_CYCLE_1) | instskip(NEXT) | instid1(SALU_CYCLE_1)
	s_bitset1_b32 s0, 10
	s_mov_b32 m0, s0
	s_sendmsg sendmsg(MSG_INTERRUPT)
	s_mov_b32 m0, ttmp2
.LBB10_1406:                            ; =>This Inner Loop Header: Depth=1
	s_sethalt 5
	s_branch .LBB10_1406
.LBB10_1407:
	s_trap 2
	s_sendmsg_rtn_b32 s0, sendmsg(MSG_RTN_GET_DOORBELL)
	s_mov_b32 ttmp2, m0
	s_waitcnt lgkmcnt(0)
	s_and_b32 s0, s0, 0x3ff
	s_delay_alu instid0(SALU_CYCLE_1) | instskip(NEXT) | instid1(SALU_CYCLE_1)
	s_bitset1_b32 s0, 10
	s_mov_b32 m0, s0
	s_sendmsg sendmsg(MSG_INTERRUPT)
	s_mov_b32 m0, ttmp2
.LBB10_1408:                            ; =>This Inner Loop Header: Depth=1
	s_sethalt 5
	s_branch .LBB10_1408
.LBB10_1409:
	s_trap 2
	s_sendmsg_rtn_b32 s0, sendmsg(MSG_RTN_GET_DOORBELL)
	s_mov_b32 ttmp2, m0
	s_waitcnt lgkmcnt(0)
	s_and_b32 s0, s0, 0x3ff
	s_delay_alu instid0(SALU_CYCLE_1) | instskip(NEXT) | instid1(SALU_CYCLE_1)
	s_bitset1_b32 s0, 10
	s_mov_b32 m0, s0
	s_sendmsg sendmsg(MSG_INTERRUPT)
	s_mov_b32 m0, ttmp2
.LBB10_1410:                            ; =>This Inner Loop Header: Depth=1
	s_sethalt 5
	s_branch .LBB10_1410
.LBB10_1411:
	s_trap 2
	s_sendmsg_rtn_b32 s0, sendmsg(MSG_RTN_GET_DOORBELL)
	s_mov_b32 ttmp2, m0
	s_waitcnt lgkmcnt(0)
	s_and_b32 s0, s0, 0x3ff
	s_delay_alu instid0(SALU_CYCLE_1) | instskip(NEXT) | instid1(SALU_CYCLE_1)
	s_bitset1_b32 s0, 10
	s_mov_b32 m0, s0
	s_sendmsg sendmsg(MSG_INTERRUPT)
	s_mov_b32 m0, ttmp2
.LBB10_1412:                            ; =>This Inner Loop Header: Depth=1
	s_sethalt 5
	s_branch .LBB10_1412
.LBB10_1413:
	s_trap 2
	s_sendmsg_rtn_b32 s0, sendmsg(MSG_RTN_GET_DOORBELL)
	s_mov_b32 ttmp2, m0
	s_waitcnt lgkmcnt(0)
	s_and_b32 s0, s0, 0x3ff
	s_delay_alu instid0(SALU_CYCLE_1) | instskip(NEXT) | instid1(SALU_CYCLE_1)
	s_bitset1_b32 s0, 10
	s_mov_b32 m0, s0
	s_sendmsg sendmsg(MSG_INTERRUPT)
	s_mov_b32 m0, ttmp2
.LBB10_1414:                            ; =>This Inner Loop Header: Depth=1
	s_sethalt 5
	s_branch .LBB10_1414
.LBB10_1415:
	s_trap 2
	s_sendmsg_rtn_b32 s0, sendmsg(MSG_RTN_GET_DOORBELL)
	s_mov_b32 ttmp2, m0
	s_waitcnt lgkmcnt(0)
	s_and_b32 s0, s0, 0x3ff
	s_delay_alu instid0(SALU_CYCLE_1) | instskip(NEXT) | instid1(SALU_CYCLE_1)
	s_bitset1_b32 s0, 10
	s_mov_b32 m0, s0
	s_sendmsg sendmsg(MSG_INTERRUPT)
	s_mov_b32 m0, ttmp2
.LBB10_1416:                            ; =>This Inner Loop Header: Depth=1
	s_sethalt 5
	s_branch .LBB10_1416
.LBB10_1417:
	s_trap 2
	s_sendmsg_rtn_b32 s0, sendmsg(MSG_RTN_GET_DOORBELL)
	s_mov_b32 ttmp2, m0
	s_waitcnt lgkmcnt(0)
	s_and_b32 s0, s0, 0x3ff
	s_delay_alu instid0(SALU_CYCLE_1) | instskip(NEXT) | instid1(SALU_CYCLE_1)
	s_bitset1_b32 s0, 10
	s_mov_b32 m0, s0
	s_sendmsg sendmsg(MSG_INTERRUPT)
	s_mov_b32 m0, ttmp2
.LBB10_1418:                            ; =>This Inner Loop Header: Depth=1
	s_sethalt 5
	s_branch .LBB10_1418
.LBB10_1419:
	s_trap 2
	s_sendmsg_rtn_b32 s0, sendmsg(MSG_RTN_GET_DOORBELL)
	s_mov_b32 ttmp2, m0
	s_waitcnt lgkmcnt(0)
	s_and_b32 s0, s0, 0x3ff
	s_delay_alu instid0(SALU_CYCLE_1) | instskip(NEXT) | instid1(SALU_CYCLE_1)
	s_bitset1_b32 s0, 10
	s_mov_b32 m0, s0
	s_sendmsg sendmsg(MSG_INTERRUPT)
	s_mov_b32 m0, ttmp2
.LBB10_1420:                            ; =>This Inner Loop Header: Depth=1
	s_sethalt 5
	s_branch .LBB10_1420
.LBB10_1421:
	s_trap 2
	s_sendmsg_rtn_b32 s0, sendmsg(MSG_RTN_GET_DOORBELL)
	s_mov_b32 ttmp2, m0
	s_waitcnt lgkmcnt(0)
	s_and_b32 s0, s0, 0x3ff
	s_delay_alu instid0(SALU_CYCLE_1) | instskip(NEXT) | instid1(SALU_CYCLE_1)
	s_bitset1_b32 s0, 10
	s_mov_b32 m0, s0
	s_sendmsg sendmsg(MSG_INTERRUPT)
	s_mov_b32 m0, ttmp2
.LBB10_1422:                            ; =>This Inner Loop Header: Depth=1
	s_sethalt 5
	s_branch .LBB10_1422
.LBB10_1423:
	s_trap 2
	s_sendmsg_rtn_b32 s0, sendmsg(MSG_RTN_GET_DOORBELL)
	s_mov_b32 ttmp2, m0
	s_waitcnt lgkmcnt(0)
	s_and_b32 s0, s0, 0x3ff
	s_delay_alu instid0(SALU_CYCLE_1) | instskip(NEXT) | instid1(SALU_CYCLE_1)
	s_bitset1_b32 s0, 10
	s_mov_b32 m0, s0
	s_sendmsg sendmsg(MSG_INTERRUPT)
	s_mov_b32 m0, ttmp2
.LBB10_1424:                            ; =>This Inner Loop Header: Depth=1
	s_sethalt 5
	s_branch .LBB10_1424
.LBB10_1425:
	s_trap 2
	s_sendmsg_rtn_b32 s0, sendmsg(MSG_RTN_GET_DOORBELL)
	s_mov_b32 ttmp2, m0
	s_waitcnt lgkmcnt(0)
	s_and_b32 s0, s0, 0x3ff
	s_delay_alu instid0(SALU_CYCLE_1) | instskip(NEXT) | instid1(SALU_CYCLE_1)
	s_bitset1_b32 s0, 10
	s_mov_b32 m0, s0
	s_sendmsg sendmsg(MSG_INTERRUPT)
	s_mov_b32 m0, ttmp2
.LBB10_1426:                            ; =>This Inner Loop Header: Depth=1
	s_sethalt 5
	s_branch .LBB10_1426
.LBB10_1427:
	s_trap 2
	s_sendmsg_rtn_b32 s0, sendmsg(MSG_RTN_GET_DOORBELL)
	s_mov_b32 ttmp2, m0
	s_waitcnt lgkmcnt(0)
	s_and_b32 s0, s0, 0x3ff
	s_delay_alu instid0(SALU_CYCLE_1) | instskip(NEXT) | instid1(SALU_CYCLE_1)
	s_bitset1_b32 s0, 10
	s_mov_b32 m0, s0
	s_sendmsg sendmsg(MSG_INTERRUPT)
	s_mov_b32 m0, ttmp2
.LBB10_1428:                            ; =>This Inner Loop Header: Depth=1
	s_sethalt 5
	s_branch .LBB10_1428
.LBB10_1429:
	s_trap 2
	s_sendmsg_rtn_b32 s0, sendmsg(MSG_RTN_GET_DOORBELL)
	s_mov_b32 ttmp2, m0
	s_waitcnt lgkmcnt(0)
	s_and_b32 s0, s0, 0x3ff
	s_delay_alu instid0(SALU_CYCLE_1) | instskip(NEXT) | instid1(SALU_CYCLE_1)
	s_bitset1_b32 s0, 10
	s_mov_b32 m0, s0
	s_sendmsg sendmsg(MSG_INTERRUPT)
	s_mov_b32 m0, ttmp2
.LBB10_1430:                            ; =>This Inner Loop Header: Depth=1
	s_sethalt 5
	s_branch .LBB10_1430
.LBB10_1431:
	s_trap 2
	s_sendmsg_rtn_b32 s0, sendmsg(MSG_RTN_GET_DOORBELL)
	s_mov_b32 ttmp2, m0
	s_waitcnt lgkmcnt(0)
	s_and_b32 s0, s0, 0x3ff
	s_delay_alu instid0(SALU_CYCLE_1) | instskip(NEXT) | instid1(SALU_CYCLE_1)
	s_bitset1_b32 s0, 10
	s_mov_b32 m0, s0
	s_sendmsg sendmsg(MSG_INTERRUPT)
	s_mov_b32 m0, ttmp2
.LBB10_1432:                            ; =>This Inner Loop Header: Depth=1
	s_sethalt 5
	s_branch .LBB10_1432
.LBB10_1433:
	s_trap 2
	s_sendmsg_rtn_b32 s0, sendmsg(MSG_RTN_GET_DOORBELL)
	s_mov_b32 ttmp2, m0
	s_waitcnt lgkmcnt(0)
	s_and_b32 s0, s0, 0x3ff
	s_delay_alu instid0(SALU_CYCLE_1) | instskip(NEXT) | instid1(SALU_CYCLE_1)
	s_bitset1_b32 s0, 10
	s_mov_b32 m0, s0
	s_sendmsg sendmsg(MSG_INTERRUPT)
	s_mov_b32 m0, ttmp2
.LBB10_1434:                            ; =>This Inner Loop Header: Depth=1
	s_sethalt 5
	s_branch .LBB10_1434
.LBB10_1435:
	s_trap 2
	s_sendmsg_rtn_b32 s0, sendmsg(MSG_RTN_GET_DOORBELL)
	s_mov_b32 ttmp2, m0
	s_waitcnt lgkmcnt(0)
	s_and_b32 s0, s0, 0x3ff
	s_delay_alu instid0(SALU_CYCLE_1) | instskip(NEXT) | instid1(SALU_CYCLE_1)
	s_bitset1_b32 s0, 10
	s_mov_b32 m0, s0
	s_sendmsg sendmsg(MSG_INTERRUPT)
	s_mov_b32 m0, ttmp2
.LBB10_1436:                            ; =>This Inner Loop Header: Depth=1
	s_sethalt 5
	s_branch .LBB10_1436
.LBB10_1437:
	s_trap 2
	s_sendmsg_rtn_b32 s0, sendmsg(MSG_RTN_GET_DOORBELL)
	s_mov_b32 ttmp2, m0
	s_waitcnt lgkmcnt(0)
	s_and_b32 s0, s0, 0x3ff
	s_delay_alu instid0(SALU_CYCLE_1) | instskip(NEXT) | instid1(SALU_CYCLE_1)
	s_bitset1_b32 s0, 10
	s_mov_b32 m0, s0
	s_sendmsg sendmsg(MSG_INTERRUPT)
	s_mov_b32 m0, ttmp2
.LBB10_1438:                            ; =>This Inner Loop Header: Depth=1
	s_sethalt 5
	s_branch .LBB10_1438
.LBB10_1439:
	s_trap 2
	s_sendmsg_rtn_b32 s0, sendmsg(MSG_RTN_GET_DOORBELL)
	s_mov_b32 ttmp2, m0
	s_waitcnt lgkmcnt(0)
	s_and_b32 s0, s0, 0x3ff
	s_delay_alu instid0(SALU_CYCLE_1) | instskip(NEXT) | instid1(SALU_CYCLE_1)
	s_bitset1_b32 s0, 10
	s_mov_b32 m0, s0
	s_sendmsg sendmsg(MSG_INTERRUPT)
	s_mov_b32 m0, ttmp2
.LBB10_1440:                            ; =>This Inner Loop Header: Depth=1
	s_sethalt 5
	s_branch .LBB10_1440
.LBB10_1441:
	s_trap 2
	s_sendmsg_rtn_b32 s0, sendmsg(MSG_RTN_GET_DOORBELL)
	s_mov_b32 ttmp2, m0
	s_waitcnt lgkmcnt(0)
	s_and_b32 s0, s0, 0x3ff
	s_delay_alu instid0(SALU_CYCLE_1) | instskip(NEXT) | instid1(SALU_CYCLE_1)
	s_bitset1_b32 s0, 10
	s_mov_b32 m0, s0
	s_sendmsg sendmsg(MSG_INTERRUPT)
	s_mov_b32 m0, ttmp2
.LBB10_1442:                            ; =>This Inner Loop Header: Depth=1
	s_sethalt 5
	s_branch .LBB10_1442
.LBB10_1443:
	s_trap 2
	s_sendmsg_rtn_b32 s0, sendmsg(MSG_RTN_GET_DOORBELL)
	s_mov_b32 ttmp2, m0
	s_waitcnt lgkmcnt(0)
	s_and_b32 s0, s0, 0x3ff
	s_delay_alu instid0(SALU_CYCLE_1) | instskip(NEXT) | instid1(SALU_CYCLE_1)
	s_bitset1_b32 s0, 10
	s_mov_b32 m0, s0
	s_sendmsg sendmsg(MSG_INTERRUPT)
	s_mov_b32 m0, ttmp2
.LBB10_1444:                            ; =>This Inner Loop Header: Depth=1
	s_sethalt 5
	s_branch .LBB10_1444
.LBB10_1445:
	s_trap 2
	s_sendmsg_rtn_b32 s0, sendmsg(MSG_RTN_GET_DOORBELL)
	s_mov_b32 ttmp2, m0
	s_waitcnt lgkmcnt(0)
	s_and_b32 s0, s0, 0x3ff
	s_delay_alu instid0(SALU_CYCLE_1) | instskip(NEXT) | instid1(SALU_CYCLE_1)
	s_bitset1_b32 s0, 10
	s_mov_b32 m0, s0
	s_sendmsg sendmsg(MSG_INTERRUPT)
	s_mov_b32 m0, ttmp2
.LBB10_1446:                            ; =>This Inner Loop Header: Depth=1
	s_sethalt 5
	s_branch .LBB10_1446
.LBB10_1447:
	s_trap 2
	s_sendmsg_rtn_b32 s0, sendmsg(MSG_RTN_GET_DOORBELL)
	s_mov_b32 ttmp2, m0
	s_waitcnt lgkmcnt(0)
	s_and_b32 s0, s0, 0x3ff
	s_delay_alu instid0(SALU_CYCLE_1) | instskip(NEXT) | instid1(SALU_CYCLE_1)
	s_bitset1_b32 s0, 10
	s_mov_b32 m0, s0
	s_sendmsg sendmsg(MSG_INTERRUPT)
	s_mov_b32 m0, ttmp2
.LBB10_1448:                            ; =>This Inner Loop Header: Depth=1
	s_sethalt 5
	s_branch .LBB10_1448
.LBB10_1449:
	s_trap 2
	s_sendmsg_rtn_b32 s0, sendmsg(MSG_RTN_GET_DOORBELL)
	s_mov_b32 ttmp2, m0
	s_waitcnt lgkmcnt(0)
	s_and_b32 s0, s0, 0x3ff
	s_delay_alu instid0(SALU_CYCLE_1) | instskip(NEXT) | instid1(SALU_CYCLE_1)
	s_bitset1_b32 s0, 10
	s_mov_b32 m0, s0
	s_sendmsg sendmsg(MSG_INTERRUPT)
	s_mov_b32 m0, ttmp2
.LBB10_1450:                            ; =>This Inner Loop Header: Depth=1
	s_sethalt 5
	s_branch .LBB10_1450
.LBB10_1451:
	s_or_b32 exec_lo, exec_lo, s4
	s_and_saveexec_b32 s4, s5
	s_delay_alu instid0(SALU_CYCLE_1)
	s_xor_b32 s4, exec_lo, s4
	s_cbranch_execz .LBB10_1453
; %bb.1452:
	v_mov_b32_e32 v0, 1
	ds_store_b32 v0, v0
	s_cbranch_execnz .LBB10_1536
.LBB10_1453:
	s_or_b32 exec_lo, exec_lo, s3
	;;#ASMSTART
	s_wakeup
	;;#ASMEND
.LBB10_1454:
	s_or_b32 exec_lo, exec_lo, s2
.LBB10_1455:
	s_and_not1_saveexec_b32 s1, s1
	s_cbranch_execz .LBB10_1457
; %bb.1456:
	s_waitcnt lgkmcnt(0)
	s_waitcnt_vscnt null, 0x0
	buffer_gl1_inv
	buffer_gl0_inv
	s_barrier
.LBB10_1457:
	s_or_b32 exec_lo, exec_lo, s0
.LBB10_1458:
	s_and_not1_saveexec_b32 s22, s19
	s_cbranch_execz .LBB10_1460
; %bb.1459:
	s_getpc_b64 s[0:1]
	s_add_u32 s0, s0, __PRETTY_FUNCTION__._ZN10PrimitivesIa7FuncSumIaE12FanSymmetricILi1EELi0E11ProtoSimpleILi2ELi2ELi0ELi2ELi0ELi0EELi0ELb0ELi0ELi0ELi0EEC2EiiPKiS8_PKvPvmhhhP15ncclDevWorkCollP14ncclDevWorkP2pii@rel32@lo+4
	s_addc_u32 s1, s1, __PRETTY_FUNCTION__._ZN10PrimitivesIa7FuncSumIaE12FanSymmetricILi1EELi0E11ProtoSimpleILi2ELi2ELi0ELi2ELi0ELi0EELi0ELb0ELi0ELi0ELi0EEC2EiiPKiS8_PKvPvmhhhP15ncclDevWorkCollP14ncclDevWorkP2pii@rel32@hi+12
	s_delay_alu instid0(SALU_CYCLE_1) | instskip(SKIP_3) | instid1(SALU_CYCLE_1)
	v_dual_mov_b32 v0, s0 :: v_dual_mov_b32 v1, s1
	s_getpc_b64 s[2:3]
	s_add_u32 s2, s2, __assert_fail@rel32@lo+4
	s_addc_u32 s3, s3, __assert_fail@rel32@hi+12
	s_swappc_b64 s[30:31], s[2:3]
	; divergent unreachable
.LBB10_1460:
	s_or_b32 exec_lo, exec_lo, s22
.LBB10_1461:
	s_delay_alu instid0(SALU_CYCLE_1)
	s_or_b32 exec_lo, exec_lo, s21
	s_clause 0x3
	scratch_load_b32 v43, off, s33
	scratch_load_b32 v42, off, s33 offset:4
	scratch_load_b32 v41, off, s33 offset:8
	;; [unrolled: 1-line block ×3, first 2 shown]
	v_readlane_b32 s30, v44, 5
	v_readlane_b32 s31, v44, 6
	v_readlane_b32 s38, v44, 4
	v_readlane_b32 s37, v44, 3
	v_readlane_b32 s36, v44, 2
	v_readlane_b32 s35, v44, 1
	v_readlane_b32 s34, v44, 0
	v_readlane_b32 s0, v44, 7
	s_or_saveexec_b32 s1, -1
	s_clause 0x1
	scratch_load_b32 v44, off, s33 offset:16
	scratch_load_b32 v45, off, s33 offset:20
	s_mov_b32 exec_lo, s1
	s_addk_i32 s32, 0xffe0
	s_mov_b32 s33, s0
	s_waitcnt vmcnt(0) lgkmcnt(0)
	s_setpc_b64 s[30:31]
.LBB10_1462:
	s_trap 2
	s_sendmsg_rtn_b32 s0, sendmsg(MSG_RTN_GET_DOORBELL)
	s_mov_b32 ttmp2, m0
	s_waitcnt lgkmcnt(0)
	s_and_b32 s0, s0, 0x3ff
	s_delay_alu instid0(SALU_CYCLE_1) | instskip(NEXT) | instid1(SALU_CYCLE_1)
	s_bitset1_b32 s0, 10
	s_mov_b32 m0, s0
	s_sendmsg sendmsg(MSG_INTERRUPT)
	s_mov_b32 m0, ttmp2
.LBB10_1463:                            ; =>This Inner Loop Header: Depth=1
	s_sethalt 5
	s_branch .LBB10_1463
.LBB10_1464:
	s_trap 2
	s_sendmsg_rtn_b32 s0, sendmsg(MSG_RTN_GET_DOORBELL)
	s_mov_b32 ttmp2, m0
	s_waitcnt lgkmcnt(0)
	s_and_b32 s0, s0, 0x3ff
	s_delay_alu instid0(SALU_CYCLE_1) | instskip(NEXT) | instid1(SALU_CYCLE_1)
	s_bitset1_b32 s0, 10
	s_mov_b32 m0, s0
	s_sendmsg sendmsg(MSG_INTERRUPT)
	s_mov_b32 m0, ttmp2
.LBB10_1465:                            ; =>This Inner Loop Header: Depth=1
	s_sethalt 5
	s_branch .LBB10_1465
.LBB10_1466:
	s_trap 2
	s_sendmsg_rtn_b32 s0, sendmsg(MSG_RTN_GET_DOORBELL)
	s_mov_b32 ttmp2, m0
	s_waitcnt lgkmcnt(0)
	s_and_b32 s0, s0, 0x3ff
	s_delay_alu instid0(SALU_CYCLE_1) | instskip(NEXT) | instid1(SALU_CYCLE_1)
	s_bitset1_b32 s0, 10
	s_mov_b32 m0, s0
	s_sendmsg sendmsg(MSG_INTERRUPT)
	s_mov_b32 m0, ttmp2
.LBB10_1467:                            ; =>This Inner Loop Header: Depth=1
	s_sethalt 5
	s_branch .LBB10_1467
.LBB10_1468:
	s_trap 2
	s_sendmsg_rtn_b32 s0, sendmsg(MSG_RTN_GET_DOORBELL)
	s_mov_b32 ttmp2, m0
	s_waitcnt lgkmcnt(0)
	s_and_b32 s0, s0, 0x3ff
	s_delay_alu instid0(SALU_CYCLE_1) | instskip(NEXT) | instid1(SALU_CYCLE_1)
	s_bitset1_b32 s0, 10
	s_mov_b32 m0, s0
	s_sendmsg sendmsg(MSG_INTERRUPT)
	s_mov_b32 m0, ttmp2
.LBB10_1469:                            ; =>This Inner Loop Header: Depth=1
	s_sethalt 5
	s_branch .LBB10_1469
.LBB10_1470:
	s_trap 2
	s_sendmsg_rtn_b32 s0, sendmsg(MSG_RTN_GET_DOORBELL)
	s_mov_b32 ttmp2, m0
	s_waitcnt lgkmcnt(0)
	s_and_b32 s0, s0, 0x3ff
	s_delay_alu instid0(SALU_CYCLE_1) | instskip(NEXT) | instid1(SALU_CYCLE_1)
	s_bitset1_b32 s0, 10
	s_mov_b32 m0, s0
	s_sendmsg sendmsg(MSG_INTERRUPT)
	s_mov_b32 m0, ttmp2
.LBB10_1471:                            ; =>This Inner Loop Header: Depth=1
	s_sethalt 5
	s_branch .LBB10_1471
.LBB10_1472:
	s_trap 2
	s_sendmsg_rtn_b32 s0, sendmsg(MSG_RTN_GET_DOORBELL)
	s_mov_b32 ttmp2, m0
	s_waitcnt lgkmcnt(0)
	s_and_b32 s0, s0, 0x3ff
	s_delay_alu instid0(SALU_CYCLE_1) | instskip(NEXT) | instid1(SALU_CYCLE_1)
	s_bitset1_b32 s0, 10
	s_mov_b32 m0, s0
	s_sendmsg sendmsg(MSG_INTERRUPT)
	s_mov_b32 m0, ttmp2
.LBB10_1473:                            ; =>This Inner Loop Header: Depth=1
	s_sethalt 5
	s_branch .LBB10_1473
.LBB10_1474:
	s_trap 2
	s_sendmsg_rtn_b32 s0, sendmsg(MSG_RTN_GET_DOORBELL)
	s_mov_b32 ttmp2, m0
	s_waitcnt lgkmcnt(0)
	s_and_b32 s0, s0, 0x3ff
	s_delay_alu instid0(SALU_CYCLE_1) | instskip(NEXT) | instid1(SALU_CYCLE_1)
	s_bitset1_b32 s0, 10
	s_mov_b32 m0, s0
	s_sendmsg sendmsg(MSG_INTERRUPT)
	s_mov_b32 m0, ttmp2
.LBB10_1475:                            ; =>This Inner Loop Header: Depth=1
	s_sethalt 5
	s_branch .LBB10_1475
.LBB10_1476:
	s_trap 2
	s_sendmsg_rtn_b32 s0, sendmsg(MSG_RTN_GET_DOORBELL)
	s_mov_b32 ttmp2, m0
	s_waitcnt lgkmcnt(0)
	s_and_b32 s0, s0, 0x3ff
	s_delay_alu instid0(SALU_CYCLE_1) | instskip(NEXT) | instid1(SALU_CYCLE_1)
	s_bitset1_b32 s0, 10
	s_mov_b32 m0, s0
	s_sendmsg sendmsg(MSG_INTERRUPT)
	s_mov_b32 m0, ttmp2
.LBB10_1477:                            ; =>This Inner Loop Header: Depth=1
	s_sethalt 5
	s_branch .LBB10_1477
.LBB10_1478:
	s_trap 2
	s_sendmsg_rtn_b32 s0, sendmsg(MSG_RTN_GET_DOORBELL)
	s_mov_b32 ttmp2, m0
	s_waitcnt lgkmcnt(0)
	s_and_b32 s0, s0, 0x3ff
	s_delay_alu instid0(SALU_CYCLE_1) | instskip(NEXT) | instid1(SALU_CYCLE_1)
	s_bitset1_b32 s0, 10
	s_mov_b32 m0, s0
	s_sendmsg sendmsg(MSG_INTERRUPT)
	s_mov_b32 m0, ttmp2
.LBB10_1479:                            ; =>This Inner Loop Header: Depth=1
	s_sethalt 5
	s_branch .LBB10_1479
.LBB10_1480:
	s_trap 2
	s_sendmsg_rtn_b32 s0, sendmsg(MSG_RTN_GET_DOORBELL)
	s_mov_b32 ttmp2, m0
	s_waitcnt lgkmcnt(0)
	s_and_b32 s0, s0, 0x3ff
	s_delay_alu instid0(SALU_CYCLE_1) | instskip(NEXT) | instid1(SALU_CYCLE_1)
	s_bitset1_b32 s0, 10
	s_mov_b32 m0, s0
	s_sendmsg sendmsg(MSG_INTERRUPT)
	s_mov_b32 m0, ttmp2
.LBB10_1481:                            ; =>This Inner Loop Header: Depth=1
	s_sethalt 5
	s_branch .LBB10_1481
.LBB10_1482:
	s_trap 2
	s_sendmsg_rtn_b32 s0, sendmsg(MSG_RTN_GET_DOORBELL)
	s_mov_b32 ttmp2, m0
	s_waitcnt lgkmcnt(0)
	s_and_b32 s0, s0, 0x3ff
	s_delay_alu instid0(SALU_CYCLE_1) | instskip(NEXT) | instid1(SALU_CYCLE_1)
	s_bitset1_b32 s0, 10
	s_mov_b32 m0, s0
	s_sendmsg sendmsg(MSG_INTERRUPT)
	s_mov_b32 m0, ttmp2
.LBB10_1483:                            ; =>This Inner Loop Header: Depth=1
	s_sethalt 5
	s_branch .LBB10_1483
.LBB10_1484:
	s_trap 2
	s_sendmsg_rtn_b32 s0, sendmsg(MSG_RTN_GET_DOORBELL)
	s_mov_b32 ttmp2, m0
	s_waitcnt lgkmcnt(0)
	s_and_b32 s0, s0, 0x3ff
	s_delay_alu instid0(SALU_CYCLE_1) | instskip(NEXT) | instid1(SALU_CYCLE_1)
	s_bitset1_b32 s0, 10
	s_mov_b32 m0, s0
	s_sendmsg sendmsg(MSG_INTERRUPT)
	s_mov_b32 m0, ttmp2
.LBB10_1485:                            ; =>This Inner Loop Header: Depth=1
	s_sethalt 5
	s_branch .LBB10_1485
.LBB10_1486:
	s_trap 2
	s_sendmsg_rtn_b32 s0, sendmsg(MSG_RTN_GET_DOORBELL)
	s_mov_b32 ttmp2, m0
	s_waitcnt lgkmcnt(0)
	s_and_b32 s0, s0, 0x3ff
	s_delay_alu instid0(SALU_CYCLE_1) | instskip(NEXT) | instid1(SALU_CYCLE_1)
	s_bitset1_b32 s0, 10
	s_mov_b32 m0, s0
	s_sendmsg sendmsg(MSG_INTERRUPT)
	s_mov_b32 m0, ttmp2
.LBB10_1487:                            ; =>This Inner Loop Header: Depth=1
	s_sethalt 5
	s_branch .LBB10_1487
.LBB10_1488:
	s_trap 2
	s_sendmsg_rtn_b32 s0, sendmsg(MSG_RTN_GET_DOORBELL)
	s_mov_b32 ttmp2, m0
	s_waitcnt lgkmcnt(0)
	s_and_b32 s0, s0, 0x3ff
	s_delay_alu instid0(SALU_CYCLE_1) | instskip(NEXT) | instid1(SALU_CYCLE_1)
	s_bitset1_b32 s0, 10
	s_mov_b32 m0, s0
	s_sendmsg sendmsg(MSG_INTERRUPT)
	s_mov_b32 m0, ttmp2
.LBB10_1489:                            ; =>This Inner Loop Header: Depth=1
	s_sethalt 5
	s_branch .LBB10_1489
.LBB10_1490:
	s_trap 2
	s_sendmsg_rtn_b32 s0, sendmsg(MSG_RTN_GET_DOORBELL)
	s_mov_b32 ttmp2, m0
	s_waitcnt lgkmcnt(0)
	s_and_b32 s0, s0, 0x3ff
	s_delay_alu instid0(SALU_CYCLE_1) | instskip(NEXT) | instid1(SALU_CYCLE_1)
	s_bitset1_b32 s0, 10
	s_mov_b32 m0, s0
	s_sendmsg sendmsg(MSG_INTERRUPT)
	s_mov_b32 m0, ttmp2
.LBB10_1491:                            ; =>This Inner Loop Header: Depth=1
	s_sethalt 5
	s_branch .LBB10_1491
.LBB10_1492:
	s_trap 2
	s_sendmsg_rtn_b32 s0, sendmsg(MSG_RTN_GET_DOORBELL)
	s_mov_b32 ttmp2, m0
	s_waitcnt lgkmcnt(0)
	s_and_b32 s0, s0, 0x3ff
	s_delay_alu instid0(SALU_CYCLE_1) | instskip(NEXT) | instid1(SALU_CYCLE_1)
	s_bitset1_b32 s0, 10
	s_mov_b32 m0, s0
	s_sendmsg sendmsg(MSG_INTERRUPT)
	s_mov_b32 m0, ttmp2
.LBB10_1493:                            ; =>This Inner Loop Header: Depth=1
	s_sethalt 5
	s_branch .LBB10_1493
.LBB10_1494:
	s_trap 2
	s_sendmsg_rtn_b32 s0, sendmsg(MSG_RTN_GET_DOORBELL)
	s_mov_b32 ttmp2, m0
	s_waitcnt lgkmcnt(0)
	s_and_b32 s0, s0, 0x3ff
	s_delay_alu instid0(SALU_CYCLE_1) | instskip(NEXT) | instid1(SALU_CYCLE_1)
	s_bitset1_b32 s0, 10
	s_mov_b32 m0, s0
	s_sendmsg sendmsg(MSG_INTERRUPT)
	s_mov_b32 m0, ttmp2
.LBB10_1495:                            ; =>This Inner Loop Header: Depth=1
	s_sethalt 5
	s_branch .LBB10_1495
.LBB10_1496:
	s_trap 2
	s_sendmsg_rtn_b32 s0, sendmsg(MSG_RTN_GET_DOORBELL)
	s_mov_b32 ttmp2, m0
	s_waitcnt lgkmcnt(0)
	s_and_b32 s0, s0, 0x3ff
	s_delay_alu instid0(SALU_CYCLE_1) | instskip(NEXT) | instid1(SALU_CYCLE_1)
	s_bitset1_b32 s0, 10
	s_mov_b32 m0, s0
	s_sendmsg sendmsg(MSG_INTERRUPT)
	s_mov_b32 m0, ttmp2
.LBB10_1497:                            ; =>This Inner Loop Header: Depth=1
	s_sethalt 5
	s_branch .LBB10_1497
.LBB10_1498:
	s_trap 2
	s_sendmsg_rtn_b32 s0, sendmsg(MSG_RTN_GET_DOORBELL)
	s_mov_b32 ttmp2, m0
	s_waitcnt lgkmcnt(0)
	s_and_b32 s0, s0, 0x3ff
	s_delay_alu instid0(SALU_CYCLE_1) | instskip(NEXT) | instid1(SALU_CYCLE_1)
	s_bitset1_b32 s0, 10
	s_mov_b32 m0, s0
	s_sendmsg sendmsg(MSG_INTERRUPT)
	s_mov_b32 m0, ttmp2
.LBB10_1499:                            ; =>This Inner Loop Header: Depth=1
	s_sethalt 5
	s_branch .LBB10_1499
.LBB10_1500:
	s_trap 2
	s_sendmsg_rtn_b32 s0, sendmsg(MSG_RTN_GET_DOORBELL)
	s_mov_b32 ttmp2, m0
	s_waitcnt lgkmcnt(0)
	s_and_b32 s0, s0, 0x3ff
	s_delay_alu instid0(SALU_CYCLE_1) | instskip(NEXT) | instid1(SALU_CYCLE_1)
	s_bitset1_b32 s0, 10
	s_mov_b32 m0, s0
	s_sendmsg sendmsg(MSG_INTERRUPT)
	s_mov_b32 m0, ttmp2
.LBB10_1501:                            ; =>This Inner Loop Header: Depth=1
	s_sethalt 5
	s_branch .LBB10_1501
.LBB10_1502:
	s_trap 2
	s_sendmsg_rtn_b32 s0, sendmsg(MSG_RTN_GET_DOORBELL)
	s_mov_b32 ttmp2, m0
	s_waitcnt lgkmcnt(0)
	s_and_b32 s0, s0, 0x3ff
	s_delay_alu instid0(SALU_CYCLE_1) | instskip(NEXT) | instid1(SALU_CYCLE_1)
	s_bitset1_b32 s0, 10
	s_mov_b32 m0, s0
	s_sendmsg sendmsg(MSG_INTERRUPT)
	s_mov_b32 m0, ttmp2
.LBB10_1503:                            ; =>This Inner Loop Header: Depth=1
	s_sethalt 5
	s_branch .LBB10_1503
.LBB10_1504:
	s_trap 2
	s_sendmsg_rtn_b32 s0, sendmsg(MSG_RTN_GET_DOORBELL)
	s_mov_b32 ttmp2, m0
	s_waitcnt lgkmcnt(0)
	s_and_b32 s0, s0, 0x3ff
	s_delay_alu instid0(SALU_CYCLE_1) | instskip(NEXT) | instid1(SALU_CYCLE_1)
	s_bitset1_b32 s0, 10
	s_mov_b32 m0, s0
	s_sendmsg sendmsg(MSG_INTERRUPT)
	s_mov_b32 m0, ttmp2
.LBB10_1505:                            ; =>This Inner Loop Header: Depth=1
	s_sethalt 5
	s_branch .LBB10_1505
.LBB10_1506:
	s_trap 2
	s_sendmsg_rtn_b32 s0, sendmsg(MSG_RTN_GET_DOORBELL)
	s_mov_b32 ttmp2, m0
	s_waitcnt lgkmcnt(0)
	s_and_b32 s0, s0, 0x3ff
	s_delay_alu instid0(SALU_CYCLE_1) | instskip(NEXT) | instid1(SALU_CYCLE_1)
	s_bitset1_b32 s0, 10
	s_mov_b32 m0, s0
	s_sendmsg sendmsg(MSG_INTERRUPT)
	s_mov_b32 m0, ttmp2
.LBB10_1507:                            ; =>This Inner Loop Header: Depth=1
	s_sethalt 5
	s_branch .LBB10_1507
.LBB10_1508:
	s_trap 2
	s_sendmsg_rtn_b32 s0, sendmsg(MSG_RTN_GET_DOORBELL)
	s_mov_b32 ttmp2, m0
	s_waitcnt lgkmcnt(0)
	s_and_b32 s0, s0, 0x3ff
	s_delay_alu instid0(SALU_CYCLE_1) | instskip(NEXT) | instid1(SALU_CYCLE_1)
	s_bitset1_b32 s0, 10
	s_mov_b32 m0, s0
	s_sendmsg sendmsg(MSG_INTERRUPT)
	s_mov_b32 m0, ttmp2
.LBB10_1509:                            ; =>This Inner Loop Header: Depth=1
	s_sethalt 5
	s_branch .LBB10_1509
.LBB10_1510:
	s_trap 2
	s_sendmsg_rtn_b32 s0, sendmsg(MSG_RTN_GET_DOORBELL)
	s_mov_b32 ttmp2, m0
	s_waitcnt lgkmcnt(0)
	s_and_b32 s0, s0, 0x3ff
	s_delay_alu instid0(SALU_CYCLE_1) | instskip(NEXT) | instid1(SALU_CYCLE_1)
	s_bitset1_b32 s0, 10
	s_mov_b32 m0, s0
	s_sendmsg sendmsg(MSG_INTERRUPT)
	s_mov_b32 m0, ttmp2
.LBB10_1511:                            ; =>This Inner Loop Header: Depth=1
	s_sethalt 5
	s_branch .LBB10_1511
.LBB10_1512:
	s_trap 2
	s_sendmsg_rtn_b32 s0, sendmsg(MSG_RTN_GET_DOORBELL)
	s_mov_b32 ttmp2, m0
	s_waitcnt lgkmcnt(0)
	s_and_b32 s0, s0, 0x3ff
	s_delay_alu instid0(SALU_CYCLE_1) | instskip(NEXT) | instid1(SALU_CYCLE_1)
	s_bitset1_b32 s0, 10
	s_mov_b32 m0, s0
	s_sendmsg sendmsg(MSG_INTERRUPT)
	s_mov_b32 m0, ttmp2
.LBB10_1513:                            ; =>This Inner Loop Header: Depth=1
	s_sethalt 5
	s_branch .LBB10_1513
.LBB10_1514:
	s_trap 2
	s_sendmsg_rtn_b32 s0, sendmsg(MSG_RTN_GET_DOORBELL)
	s_mov_b32 ttmp2, m0
	s_waitcnt lgkmcnt(0)
	s_and_b32 s0, s0, 0x3ff
	s_delay_alu instid0(SALU_CYCLE_1) | instskip(NEXT) | instid1(SALU_CYCLE_1)
	s_bitset1_b32 s0, 10
	s_mov_b32 m0, s0
	s_sendmsg sendmsg(MSG_INTERRUPT)
	s_mov_b32 m0, ttmp2
.LBB10_1515:                            ; =>This Inner Loop Header: Depth=1
	s_sethalt 5
	s_branch .LBB10_1515
.LBB10_1516:
	s_trap 2
	s_sendmsg_rtn_b32 s0, sendmsg(MSG_RTN_GET_DOORBELL)
	s_mov_b32 ttmp2, m0
	s_waitcnt lgkmcnt(0)
	s_and_b32 s0, s0, 0x3ff
	s_delay_alu instid0(SALU_CYCLE_1) | instskip(NEXT) | instid1(SALU_CYCLE_1)
	s_bitset1_b32 s0, 10
	s_mov_b32 m0, s0
	s_sendmsg sendmsg(MSG_INTERRUPT)
	s_mov_b32 m0, ttmp2
.LBB10_1517:                            ; =>This Inner Loop Header: Depth=1
	s_sethalt 5
	s_branch .LBB10_1517
.LBB10_1518:
	s_trap 2
	s_sendmsg_rtn_b32 s0, sendmsg(MSG_RTN_GET_DOORBELL)
	s_mov_b32 ttmp2, m0
	s_waitcnt lgkmcnt(0)
	s_and_b32 s0, s0, 0x3ff
	s_delay_alu instid0(SALU_CYCLE_1) | instskip(NEXT) | instid1(SALU_CYCLE_1)
	s_bitset1_b32 s0, 10
	s_mov_b32 m0, s0
	s_sendmsg sendmsg(MSG_INTERRUPT)
	s_mov_b32 m0, ttmp2
.LBB10_1519:                            ; =>This Inner Loop Header: Depth=1
	s_sethalt 5
	s_branch .LBB10_1519
.LBB10_1520:
	s_trap 2
	s_sendmsg_rtn_b32 s0, sendmsg(MSG_RTN_GET_DOORBELL)
	s_mov_b32 ttmp2, m0
	s_waitcnt lgkmcnt(0)
	s_and_b32 s0, s0, 0x3ff
	s_delay_alu instid0(SALU_CYCLE_1) | instskip(NEXT) | instid1(SALU_CYCLE_1)
	s_bitset1_b32 s0, 10
	s_mov_b32 m0, s0
	s_sendmsg sendmsg(MSG_INTERRUPT)
	s_mov_b32 m0, ttmp2
.LBB10_1521:                            ; =>This Inner Loop Header: Depth=1
	s_sethalt 5
	s_branch .LBB10_1521
.LBB10_1522:
	s_trap 2
	s_sendmsg_rtn_b32 s0, sendmsg(MSG_RTN_GET_DOORBELL)
	s_mov_b32 ttmp2, m0
	s_waitcnt lgkmcnt(0)
	s_and_b32 s0, s0, 0x3ff
	s_delay_alu instid0(SALU_CYCLE_1) | instskip(NEXT) | instid1(SALU_CYCLE_1)
	s_bitset1_b32 s0, 10
	s_mov_b32 m0, s0
	s_sendmsg sendmsg(MSG_INTERRUPT)
	s_mov_b32 m0, ttmp2
.LBB10_1523:                            ; =>This Inner Loop Header: Depth=1
	s_sethalt 5
	s_branch .LBB10_1523
.LBB10_1524:
	s_trap 2
	s_sendmsg_rtn_b32 s0, sendmsg(MSG_RTN_GET_DOORBELL)
	s_mov_b32 ttmp2, m0
	s_waitcnt lgkmcnt(0)
	s_and_b32 s0, s0, 0x3ff
	s_delay_alu instid0(SALU_CYCLE_1) | instskip(NEXT) | instid1(SALU_CYCLE_1)
	s_bitset1_b32 s0, 10
	s_mov_b32 m0, s0
	s_sendmsg sendmsg(MSG_INTERRUPT)
	s_mov_b32 m0, ttmp2
.LBB10_1525:                            ; =>This Inner Loop Header: Depth=1
	s_sethalt 5
	s_branch .LBB10_1525
.LBB10_1526:
	s_trap 2
	s_sendmsg_rtn_b32 s0, sendmsg(MSG_RTN_GET_DOORBELL)
	s_mov_b32 ttmp2, m0
	s_waitcnt lgkmcnt(0)
	s_and_b32 s0, s0, 0x3ff
	s_delay_alu instid0(SALU_CYCLE_1) | instskip(NEXT) | instid1(SALU_CYCLE_1)
	s_bitset1_b32 s0, 10
	s_mov_b32 m0, s0
	s_sendmsg sendmsg(MSG_INTERRUPT)
	s_mov_b32 m0, ttmp2
.LBB10_1527:                            ; =>This Inner Loop Header: Depth=1
	s_sethalt 5
	s_branch .LBB10_1527
.LBB10_1528:
	s_trap 2
	s_sendmsg_rtn_b32 s0, sendmsg(MSG_RTN_GET_DOORBELL)
	s_mov_b32 ttmp2, m0
	s_waitcnt lgkmcnt(0)
	s_and_b32 s0, s0, 0x3ff
	s_delay_alu instid0(SALU_CYCLE_1) | instskip(NEXT) | instid1(SALU_CYCLE_1)
	s_bitset1_b32 s0, 10
	s_mov_b32 m0, s0
	s_sendmsg sendmsg(MSG_INTERRUPT)
	s_mov_b32 m0, ttmp2
.LBB10_1529:                            ; =>This Inner Loop Header: Depth=1
	s_sethalt 5
	s_branch .LBB10_1529
.LBB10_1530:
	s_trap 2
	s_sendmsg_rtn_b32 s0, sendmsg(MSG_RTN_GET_DOORBELL)
	s_mov_b32 ttmp2, m0
	s_waitcnt lgkmcnt(0)
	s_and_b32 s0, s0, 0x3ff
	s_delay_alu instid0(SALU_CYCLE_1) | instskip(NEXT) | instid1(SALU_CYCLE_1)
	s_bitset1_b32 s0, 10
	s_mov_b32 m0, s0
	s_sendmsg sendmsg(MSG_INTERRUPT)
	s_mov_b32 m0, ttmp2
.LBB10_1531:                            ; =>This Inner Loop Header: Depth=1
	s_sethalt 5
	s_branch .LBB10_1531
.LBB10_1532:
	s_trap 2
	s_sendmsg_rtn_b32 s0, sendmsg(MSG_RTN_GET_DOORBELL)
	s_mov_b32 ttmp2, m0
	s_waitcnt lgkmcnt(0)
	s_and_b32 s0, s0, 0x3ff
	s_delay_alu instid0(SALU_CYCLE_1) | instskip(NEXT) | instid1(SALU_CYCLE_1)
	s_bitset1_b32 s0, 10
	s_mov_b32 m0, s0
	s_sendmsg sendmsg(MSG_INTERRUPT)
	s_mov_b32 m0, ttmp2
.LBB10_1533:                            ; =>This Inner Loop Header: Depth=1
	s_sethalt 5
	s_branch .LBB10_1533
.LBB10_1534:
	s_trap 2
	s_sendmsg_rtn_b32 s0, sendmsg(MSG_RTN_GET_DOORBELL)
	s_mov_b32 ttmp2, m0
	s_waitcnt lgkmcnt(0)
	s_and_b32 s0, s0, 0x3ff
	s_delay_alu instid0(SALU_CYCLE_1) | instskip(NEXT) | instid1(SALU_CYCLE_1)
	s_bitset1_b32 s0, 10
	s_mov_b32 m0, s0
	s_sendmsg sendmsg(MSG_INTERRUPT)
	s_mov_b32 m0, ttmp2
.LBB10_1535:                            ; =>This Inner Loop Header: Depth=1
	s_sethalt 5
	s_branch .LBB10_1535
.LBB10_1536:
	s_trap 2
	s_sendmsg_rtn_b32 s0, sendmsg(MSG_RTN_GET_DOORBELL)
	s_mov_b32 ttmp2, m0
	s_waitcnt lgkmcnt(0)
	s_and_b32 s0, s0, 0x3ff
	s_delay_alu instid0(SALU_CYCLE_1) | instskip(NEXT) | instid1(SALU_CYCLE_1)
	s_bitset1_b32 s0, 10
	s_mov_b32 m0, s0
	s_sendmsg sendmsg(MSG_INTERRUPT)
	s_mov_b32 m0, ttmp2
.LBB10_1537:                            ; =>This Inner Loop Header: Depth=1
	s_sethalt 5
	s_branch .LBB10_1537
.LBB10_1538:
	s_trap 2
	s_sendmsg_rtn_b32 s0, sendmsg(MSG_RTN_GET_DOORBELL)
	s_mov_b32 ttmp2, m0
	s_waitcnt lgkmcnt(0)
	s_and_b32 s0, s0, 0x3ff
	s_delay_alu instid0(SALU_CYCLE_1) | instskip(NEXT) | instid1(SALU_CYCLE_1)
	s_bitset1_b32 s0, 10
	s_mov_b32 m0, s0
	s_sendmsg sendmsg(MSG_INTERRUPT)
	s_mov_b32 m0, ttmp2
.LBB10_1539:                            ; =>This Inner Loop Header: Depth=1
	s_sethalt 5
	s_branch .LBB10_1539
.LBB10_1540:
	s_trap 2
	s_sendmsg_rtn_b32 s0, sendmsg(MSG_RTN_GET_DOORBELL)
	s_mov_b32 ttmp2, m0
	s_waitcnt lgkmcnt(0)
	s_and_b32 s0, s0, 0x3ff
	s_delay_alu instid0(SALU_CYCLE_1) | instskip(NEXT) | instid1(SALU_CYCLE_1)
	s_bitset1_b32 s0, 10
	s_mov_b32 m0, s0
	s_sendmsg sendmsg(MSG_INTERRUPT)
	s_mov_b32 m0, ttmp2
.LBB10_1541:                            ; =>This Inner Loop Header: Depth=1
	s_sethalt 5
	s_branch .LBB10_1541
.LBB10_1542:
	s_trap 2
	s_sendmsg_rtn_b32 s0, sendmsg(MSG_RTN_GET_DOORBELL)
	s_mov_b32 ttmp2, m0
	s_waitcnt lgkmcnt(0)
	s_and_b32 s0, s0, 0x3ff
	s_delay_alu instid0(SALU_CYCLE_1) | instskip(NEXT) | instid1(SALU_CYCLE_1)
	s_bitset1_b32 s0, 10
	s_mov_b32 m0, s0
	s_sendmsg sendmsg(MSG_INTERRUPT)
	s_mov_b32 m0, ttmp2
.LBB10_1543:                            ; =>This Inner Loop Header: Depth=1
	s_sethalt 5
	s_branch .LBB10_1543
.LBB10_1544:
	s_trap 2
	s_sendmsg_rtn_b32 s0, sendmsg(MSG_RTN_GET_DOORBELL)
	s_mov_b32 ttmp2, m0
	s_waitcnt lgkmcnt(0)
	s_and_b32 s0, s0, 0x3ff
	s_delay_alu instid0(SALU_CYCLE_1) | instskip(NEXT) | instid1(SALU_CYCLE_1)
	s_bitset1_b32 s0, 10
	s_mov_b32 m0, s0
	s_sendmsg sendmsg(MSG_INTERRUPT)
	s_mov_b32 m0, ttmp2
.LBB10_1545:                            ; =>This Inner Loop Header: Depth=1
	s_sethalt 5
	s_branch .LBB10_1545
.LBB10_1546:
	s_trap 2
	s_sendmsg_rtn_b32 s0, sendmsg(MSG_RTN_GET_DOORBELL)
	s_mov_b32 ttmp2, m0
	s_waitcnt lgkmcnt(0)
	s_and_b32 s0, s0, 0x3ff
	s_delay_alu instid0(SALU_CYCLE_1) | instskip(NEXT) | instid1(SALU_CYCLE_1)
	s_bitset1_b32 s0, 10
	s_mov_b32 m0, s0
	s_sendmsg sendmsg(MSG_INTERRUPT)
	s_mov_b32 m0, ttmp2
.LBB10_1547:                            ; =>This Inner Loop Header: Depth=1
	s_sethalt 5
	s_branch .LBB10_1547
.LBB10_1548:
	s_trap 2
	s_sendmsg_rtn_b32 s0, sendmsg(MSG_RTN_GET_DOORBELL)
	s_mov_b32 ttmp2, m0
	s_waitcnt lgkmcnt(0)
	s_and_b32 s0, s0, 0x3ff
	s_delay_alu instid0(SALU_CYCLE_1) | instskip(NEXT) | instid1(SALU_CYCLE_1)
	s_bitset1_b32 s0, 10
	s_mov_b32 m0, s0
	s_sendmsg sendmsg(MSG_INTERRUPT)
	s_mov_b32 m0, ttmp2
.LBB10_1549:                            ; =>This Inner Loop Header: Depth=1
	s_sethalt 5
	s_branch .LBB10_1549
.LBB10_1550:
	s_trap 2
	s_sendmsg_rtn_b32 s0, sendmsg(MSG_RTN_GET_DOORBELL)
	s_mov_b32 ttmp2, m0
	s_waitcnt lgkmcnt(0)
	s_and_b32 s0, s0, 0x3ff
	s_delay_alu instid0(SALU_CYCLE_1) | instskip(NEXT) | instid1(SALU_CYCLE_1)
	s_bitset1_b32 s0, 10
	s_mov_b32 m0, s0
	s_sendmsg sendmsg(MSG_INTERRUPT)
	s_mov_b32 m0, ttmp2
.LBB10_1551:                            ; =>This Inner Loop Header: Depth=1
	s_sethalt 5
	s_branch .LBB10_1551
.LBB10_1552:
	s_trap 2
	s_sendmsg_rtn_b32 s0, sendmsg(MSG_RTN_GET_DOORBELL)
	s_mov_b32 ttmp2, m0
	s_waitcnt lgkmcnt(0)
	s_and_b32 s0, s0, 0x3ff
	s_delay_alu instid0(SALU_CYCLE_1) | instskip(NEXT) | instid1(SALU_CYCLE_1)
	s_bitset1_b32 s0, 10
	s_mov_b32 m0, s0
	s_sendmsg sendmsg(MSG_INTERRUPT)
	s_mov_b32 m0, ttmp2
.LBB10_1553:                            ; =>This Inner Loop Header: Depth=1
	s_sethalt 5
	s_branch .LBB10_1553
.LBB10_1554:
	s_trap 2
	s_sendmsg_rtn_b32 s0, sendmsg(MSG_RTN_GET_DOORBELL)
	s_mov_b32 ttmp2, m0
	s_waitcnt lgkmcnt(0)
	s_and_b32 s0, s0, 0x3ff
	s_delay_alu instid0(SALU_CYCLE_1) | instskip(NEXT) | instid1(SALU_CYCLE_1)
	s_bitset1_b32 s0, 10
	s_mov_b32 m0, s0
	s_sendmsg sendmsg(MSG_INTERRUPT)
	s_mov_b32 m0, ttmp2
.LBB10_1555:                            ; =>This Inner Loop Header: Depth=1
	s_sethalt 5
	s_branch .LBB10_1555
.LBB10_1556:
	s_trap 2
	s_sendmsg_rtn_b32 s0, sendmsg(MSG_RTN_GET_DOORBELL)
	s_mov_b32 ttmp2, m0
	s_waitcnt lgkmcnt(0)
	s_and_b32 s0, s0, 0x3ff
	s_delay_alu instid0(SALU_CYCLE_1) | instskip(NEXT) | instid1(SALU_CYCLE_1)
	s_bitset1_b32 s0, 10
	s_mov_b32 m0, s0
	s_sendmsg sendmsg(MSG_INTERRUPT)
	s_mov_b32 m0, ttmp2
.LBB10_1557:                            ; =>This Inner Loop Header: Depth=1
	s_sethalt 5
	s_branch .LBB10_1557
.LBB10_1558:
	s_trap 2
	s_sendmsg_rtn_b32 s0, sendmsg(MSG_RTN_GET_DOORBELL)
	s_mov_b32 ttmp2, m0
	s_waitcnt lgkmcnt(0)
	s_and_b32 s0, s0, 0x3ff
	s_delay_alu instid0(SALU_CYCLE_1) | instskip(NEXT) | instid1(SALU_CYCLE_1)
	s_bitset1_b32 s0, 10
	s_mov_b32 m0, s0
	s_sendmsg sendmsg(MSG_INTERRUPT)
	s_mov_b32 m0, ttmp2
.LBB10_1559:                            ; =>This Inner Loop Header: Depth=1
	s_sethalt 5
	s_branch .LBB10_1559
.LBB10_1560:
	s_trap 2
	s_sendmsg_rtn_b32 s0, sendmsg(MSG_RTN_GET_DOORBELL)
	s_mov_b32 ttmp2, m0
	s_waitcnt lgkmcnt(0)
	s_and_b32 s0, s0, 0x3ff
	s_delay_alu instid0(SALU_CYCLE_1) | instskip(NEXT) | instid1(SALU_CYCLE_1)
	s_bitset1_b32 s0, 10
	s_mov_b32 m0, s0
	s_sendmsg sendmsg(MSG_INTERRUPT)
	s_mov_b32 m0, ttmp2
.LBB10_1561:                            ; =>This Inner Loop Header: Depth=1
	s_sethalt 5
	s_branch .LBB10_1561
.LBB10_1562:
	s_trap 2
	s_sendmsg_rtn_b32 s0, sendmsg(MSG_RTN_GET_DOORBELL)
	s_mov_b32 ttmp2, m0
	s_waitcnt lgkmcnt(0)
	s_and_b32 s0, s0, 0x3ff
	s_delay_alu instid0(SALU_CYCLE_1) | instskip(NEXT) | instid1(SALU_CYCLE_1)
	s_bitset1_b32 s0, 10
	s_mov_b32 m0, s0
	s_sendmsg sendmsg(MSG_INTERRUPT)
	s_mov_b32 m0, ttmp2
.LBB10_1563:                            ; =>This Inner Loop Header: Depth=1
	s_sethalt 5
	s_branch .LBB10_1563
.LBB10_1564:
	s_trap 2
	s_sendmsg_rtn_b32 s0, sendmsg(MSG_RTN_GET_DOORBELL)
	s_mov_b32 ttmp2, m0
	s_waitcnt lgkmcnt(0)
	s_and_b32 s0, s0, 0x3ff
	s_delay_alu instid0(SALU_CYCLE_1) | instskip(NEXT) | instid1(SALU_CYCLE_1)
	s_bitset1_b32 s0, 10
	s_mov_b32 m0, s0
	s_sendmsg sendmsg(MSG_INTERRUPT)
	s_mov_b32 m0, ttmp2
.LBB10_1565:                            ; =>This Inner Loop Header: Depth=1
	s_sethalt 5
	s_branch .LBB10_1565
.LBB10_1566:
	s_trap 2
	s_sendmsg_rtn_b32 s0, sendmsg(MSG_RTN_GET_DOORBELL)
	s_mov_b32 ttmp2, m0
	s_waitcnt lgkmcnt(0)
	s_and_b32 s0, s0, 0x3ff
	s_delay_alu instid0(SALU_CYCLE_1) | instskip(NEXT) | instid1(SALU_CYCLE_1)
	s_bitset1_b32 s0, 10
	s_mov_b32 m0, s0
	s_sendmsg sendmsg(MSG_INTERRUPT)
	s_mov_b32 m0, ttmp2
.LBB10_1567:                            ; =>This Inner Loop Header: Depth=1
	s_sethalt 5
	s_branch .LBB10_1567
.LBB10_1568:
	s_trap 2
	s_sendmsg_rtn_b32 s0, sendmsg(MSG_RTN_GET_DOORBELL)
	s_mov_b32 ttmp2, m0
	s_waitcnt lgkmcnt(0)
	s_and_b32 s0, s0, 0x3ff
	s_delay_alu instid0(SALU_CYCLE_1) | instskip(NEXT) | instid1(SALU_CYCLE_1)
	s_bitset1_b32 s0, 10
	s_mov_b32 m0, s0
	s_sendmsg sendmsg(MSG_INTERRUPT)
	s_mov_b32 m0, ttmp2
.LBB10_1569:                            ; =>This Inner Loop Header: Depth=1
	s_sethalt 5
	s_branch .LBB10_1569
.LBB10_1570:
	s_trap 2
	s_sendmsg_rtn_b32 s0, sendmsg(MSG_RTN_GET_DOORBELL)
	s_mov_b32 ttmp2, m0
	s_waitcnt lgkmcnt(0)
	s_and_b32 s0, s0, 0x3ff
	s_delay_alu instid0(SALU_CYCLE_1) | instskip(NEXT) | instid1(SALU_CYCLE_1)
	s_bitset1_b32 s0, 10
	s_mov_b32 m0, s0
	s_sendmsg sendmsg(MSG_INTERRUPT)
	s_mov_b32 m0, ttmp2
.LBB10_1571:                            ; =>This Inner Loop Header: Depth=1
	s_sethalt 5
	s_branch .LBB10_1571
.LBB10_1572:
	s_trap 2
	s_sendmsg_rtn_b32 s0, sendmsg(MSG_RTN_GET_DOORBELL)
	s_mov_b32 ttmp2, m0
	s_waitcnt lgkmcnt(0)
	s_and_b32 s0, s0, 0x3ff
	s_delay_alu instid0(SALU_CYCLE_1) | instskip(NEXT) | instid1(SALU_CYCLE_1)
	s_bitset1_b32 s0, 10
	s_mov_b32 m0, s0
	s_sendmsg sendmsg(MSG_INTERRUPT)
	s_mov_b32 m0, ttmp2
.LBB10_1573:                            ; =>This Inner Loop Header: Depth=1
	s_sethalt 5
	s_branch .LBB10_1573
.LBB10_1574:
	s_trap 2
	s_sendmsg_rtn_b32 s0, sendmsg(MSG_RTN_GET_DOORBELL)
	s_mov_b32 ttmp2, m0
	s_waitcnt lgkmcnt(0)
	s_and_b32 s0, s0, 0x3ff
	s_delay_alu instid0(SALU_CYCLE_1) | instskip(NEXT) | instid1(SALU_CYCLE_1)
	s_bitset1_b32 s0, 10
	s_mov_b32 m0, s0
	s_sendmsg sendmsg(MSG_INTERRUPT)
	s_mov_b32 m0, ttmp2
.LBB10_1575:                            ; =>This Inner Loop Header: Depth=1
	s_sethalt 5
	s_branch .LBB10_1575
.LBB10_1576:
	s_trap 2
	s_sendmsg_rtn_b32 s0, sendmsg(MSG_RTN_GET_DOORBELL)
	s_mov_b32 ttmp2, m0
	s_waitcnt lgkmcnt(0)
	s_and_b32 s0, s0, 0x3ff
	s_delay_alu instid0(SALU_CYCLE_1) | instskip(NEXT) | instid1(SALU_CYCLE_1)
	s_bitset1_b32 s0, 10
	s_mov_b32 m0, s0
	s_sendmsg sendmsg(MSG_INTERRUPT)
	s_mov_b32 m0, ttmp2
.LBB10_1577:                            ; =>This Inner Loop Header: Depth=1
	s_sethalt 5
	s_branch .LBB10_1577
.LBB10_1578:
	s_trap 2
	s_sendmsg_rtn_b32 s0, sendmsg(MSG_RTN_GET_DOORBELL)
	s_mov_b32 ttmp2, m0
	s_waitcnt lgkmcnt(0)
	s_and_b32 s0, s0, 0x3ff
	s_delay_alu instid0(SALU_CYCLE_1) | instskip(NEXT) | instid1(SALU_CYCLE_1)
	s_bitset1_b32 s0, 10
	s_mov_b32 m0, s0
	s_sendmsg sendmsg(MSG_INTERRUPT)
	s_mov_b32 m0, ttmp2
.LBB10_1579:                            ; =>This Inner Loop Header: Depth=1
	s_sethalt 5
	s_branch .LBB10_1579
.LBB10_1580:
	s_trap 2
	s_sendmsg_rtn_b32 s0, sendmsg(MSG_RTN_GET_DOORBELL)
	s_mov_b32 ttmp2, m0
	s_waitcnt lgkmcnt(0)
	s_and_b32 s0, s0, 0x3ff
	s_delay_alu instid0(SALU_CYCLE_1) | instskip(NEXT) | instid1(SALU_CYCLE_1)
	s_bitset1_b32 s0, 10
	s_mov_b32 m0, s0
	s_sendmsg sendmsg(MSG_INTERRUPT)
	s_mov_b32 m0, ttmp2
.LBB10_1581:                            ; =>This Inner Loop Header: Depth=1
	s_sethalt 5
	s_branch .LBB10_1581
.LBB10_1582:
	s_trap 2
	s_sendmsg_rtn_b32 s0, sendmsg(MSG_RTN_GET_DOORBELL)
	s_mov_b32 ttmp2, m0
	s_waitcnt lgkmcnt(0)
	s_and_b32 s0, s0, 0x3ff
	s_delay_alu instid0(SALU_CYCLE_1) | instskip(NEXT) | instid1(SALU_CYCLE_1)
	s_bitset1_b32 s0, 10
	s_mov_b32 m0, s0
	s_sendmsg sendmsg(MSG_INTERRUPT)
	s_mov_b32 m0, ttmp2
.LBB10_1583:                            ; =>This Inner Loop Header: Depth=1
	s_sethalt 5
	s_branch .LBB10_1583
.LBB10_1584:
	s_trap 2
	s_sendmsg_rtn_b32 s0, sendmsg(MSG_RTN_GET_DOORBELL)
	s_mov_b32 ttmp2, m0
	s_waitcnt lgkmcnt(0)
	s_and_b32 s0, s0, 0x3ff
	s_delay_alu instid0(SALU_CYCLE_1) | instskip(NEXT) | instid1(SALU_CYCLE_1)
	s_bitset1_b32 s0, 10
	s_mov_b32 m0, s0
	s_sendmsg sendmsg(MSG_INTERRUPT)
	s_mov_b32 m0, ttmp2
.LBB10_1585:                            ; =>This Inner Loop Header: Depth=1
	s_sethalt 5
	s_branch .LBB10_1585
.LBB10_1586:
	s_trap 2
	s_sendmsg_rtn_b32 s0, sendmsg(MSG_RTN_GET_DOORBELL)
	s_mov_b32 ttmp2, m0
	s_waitcnt lgkmcnt(0)
	s_and_b32 s0, s0, 0x3ff
	s_delay_alu instid0(SALU_CYCLE_1) | instskip(NEXT) | instid1(SALU_CYCLE_1)
	s_bitset1_b32 s0, 10
	s_mov_b32 m0, s0
	s_sendmsg sendmsg(MSG_INTERRUPT)
	s_mov_b32 m0, ttmp2
.LBB10_1587:                            ; =>This Inner Loop Header: Depth=1
	s_sethalt 5
	s_branch .LBB10_1587
.LBB10_1588:
	s_trap 2
	s_sendmsg_rtn_b32 s0, sendmsg(MSG_RTN_GET_DOORBELL)
	s_mov_b32 ttmp2, m0
	s_waitcnt lgkmcnt(0)
	s_and_b32 s0, s0, 0x3ff
	s_delay_alu instid0(SALU_CYCLE_1) | instskip(NEXT) | instid1(SALU_CYCLE_1)
	s_bitset1_b32 s0, 10
	s_mov_b32 m0, s0
	s_sendmsg sendmsg(MSG_INTERRUPT)
	s_mov_b32 m0, ttmp2
.LBB10_1589:                            ; =>This Inner Loop Header: Depth=1
	s_sethalt 5
	s_branch .LBB10_1589
.LBB10_1590:
	s_trap 2
	s_sendmsg_rtn_b32 s0, sendmsg(MSG_RTN_GET_DOORBELL)
	s_mov_b32 ttmp2, m0
	s_waitcnt lgkmcnt(0)
	s_and_b32 s0, s0, 0x3ff
	s_delay_alu instid0(SALU_CYCLE_1) | instskip(NEXT) | instid1(SALU_CYCLE_1)
	s_bitset1_b32 s0, 10
	s_mov_b32 m0, s0
	s_sendmsg sendmsg(MSG_INTERRUPT)
	s_mov_b32 m0, ttmp2
.LBB10_1591:                            ; =>This Inner Loop Header: Depth=1
	s_sethalt 5
	s_branch .LBB10_1591
.LBB10_1592:
	s_trap 2
	s_sendmsg_rtn_b32 s0, sendmsg(MSG_RTN_GET_DOORBELL)
	s_mov_b32 ttmp2, m0
	s_waitcnt lgkmcnt(0)
	s_and_b32 s0, s0, 0x3ff
	s_delay_alu instid0(SALU_CYCLE_1) | instskip(NEXT) | instid1(SALU_CYCLE_1)
	s_bitset1_b32 s0, 10
	s_mov_b32 m0, s0
	s_sendmsg sendmsg(MSG_INTERRUPT)
	s_mov_b32 m0, ttmp2
.LBB10_1593:                            ; =>This Inner Loop Header: Depth=1
	s_sethalt 5
	s_branch .LBB10_1593
.LBB10_1594:
	s_trap 2
	s_sendmsg_rtn_b32 s0, sendmsg(MSG_RTN_GET_DOORBELL)
	s_mov_b32 ttmp2, m0
	s_waitcnt lgkmcnt(0)
	s_and_b32 s0, s0, 0x3ff
	s_delay_alu instid0(SALU_CYCLE_1) | instskip(NEXT) | instid1(SALU_CYCLE_1)
	s_bitset1_b32 s0, 10
	s_mov_b32 m0, s0
	s_sendmsg sendmsg(MSG_INTERRUPT)
	s_mov_b32 m0, ttmp2
.LBB10_1595:                            ; =>This Inner Loop Header: Depth=1
	s_sethalt 5
	s_branch .LBB10_1595
.LBB10_1596:
	s_trap 2
	s_sendmsg_rtn_b32 s0, sendmsg(MSG_RTN_GET_DOORBELL)
	s_mov_b32 ttmp2, m0
	s_waitcnt lgkmcnt(0)
	s_and_b32 s0, s0, 0x3ff
	s_delay_alu instid0(SALU_CYCLE_1) | instskip(NEXT) | instid1(SALU_CYCLE_1)
	s_bitset1_b32 s0, 10
	s_mov_b32 m0, s0
	s_sendmsg sendmsg(MSG_INTERRUPT)
	s_mov_b32 m0, ttmp2
.LBB10_1597:                            ; =>This Inner Loop Header: Depth=1
	s_sethalt 5
	s_branch .LBB10_1597
.LBB10_1598:
	s_trap 2
	s_sendmsg_rtn_b32 s0, sendmsg(MSG_RTN_GET_DOORBELL)
	s_mov_b32 ttmp2, m0
	s_waitcnt lgkmcnt(0)
	s_and_b32 s0, s0, 0x3ff
	s_delay_alu instid0(SALU_CYCLE_1) | instskip(NEXT) | instid1(SALU_CYCLE_1)
	s_bitset1_b32 s0, 10
	s_mov_b32 m0, s0
	s_sendmsg sendmsg(MSG_INTERRUPT)
	s_mov_b32 m0, ttmp2
.LBB10_1599:                            ; =>This Inner Loop Header: Depth=1
	s_sethalt 5
	s_branch .LBB10_1599
.LBB10_1600:
	s_trap 2
	s_sendmsg_rtn_b32 s0, sendmsg(MSG_RTN_GET_DOORBELL)
	s_mov_b32 ttmp2, m0
	s_waitcnt lgkmcnt(0)
	s_and_b32 s0, s0, 0x3ff
	s_delay_alu instid0(SALU_CYCLE_1) | instskip(NEXT) | instid1(SALU_CYCLE_1)
	s_bitset1_b32 s0, 10
	s_mov_b32 m0, s0
	s_sendmsg sendmsg(MSG_INTERRUPT)
	s_mov_b32 m0, ttmp2
.LBB10_1601:                            ; =>This Inner Loop Header: Depth=1
	s_sethalt 5
	s_branch .LBB10_1601
.LBB10_1602:
	s_trap 2
	s_sendmsg_rtn_b32 s0, sendmsg(MSG_RTN_GET_DOORBELL)
	s_mov_b32 ttmp2, m0
	s_waitcnt lgkmcnt(0)
	s_and_b32 s0, s0, 0x3ff
	s_delay_alu instid0(SALU_CYCLE_1) | instskip(NEXT) | instid1(SALU_CYCLE_1)
	s_bitset1_b32 s0, 10
	s_mov_b32 m0, s0
	s_sendmsg sendmsg(MSG_INTERRUPT)
	s_mov_b32 m0, ttmp2
.LBB10_1603:                            ; =>This Inner Loop Header: Depth=1
	s_sethalt 5
	s_branch .LBB10_1603
.LBB10_1604:
	s_trap 2
	s_sendmsg_rtn_b32 s0, sendmsg(MSG_RTN_GET_DOORBELL)
	s_mov_b32 ttmp2, m0
	s_waitcnt lgkmcnt(0)
	s_and_b32 s0, s0, 0x3ff
	s_delay_alu instid0(SALU_CYCLE_1) | instskip(NEXT) | instid1(SALU_CYCLE_1)
	s_bitset1_b32 s0, 10
	s_mov_b32 m0, s0
	s_sendmsg sendmsg(MSG_INTERRUPT)
	s_mov_b32 m0, ttmp2
.LBB10_1605:                            ; =>This Inner Loop Header: Depth=1
	s_sethalt 5
	s_branch .LBB10_1605
.LBB10_1606:
	s_trap 2
	s_sendmsg_rtn_b32 s0, sendmsg(MSG_RTN_GET_DOORBELL)
	s_mov_b32 ttmp2, m0
	s_waitcnt lgkmcnt(0)
	s_and_b32 s0, s0, 0x3ff
	s_delay_alu instid0(SALU_CYCLE_1) | instskip(NEXT) | instid1(SALU_CYCLE_1)
	s_bitset1_b32 s0, 10
	s_mov_b32 m0, s0
	s_sendmsg sendmsg(MSG_INTERRUPT)
	s_mov_b32 m0, ttmp2
.LBB10_1607:                            ; =>This Inner Loop Header: Depth=1
	s_sethalt 5
	s_branch .LBB10_1607
.LBB10_1608:
	s_trap 2
	s_sendmsg_rtn_b32 s0, sendmsg(MSG_RTN_GET_DOORBELL)
	s_mov_b32 ttmp2, m0
	s_waitcnt lgkmcnt(0)
	s_and_b32 s0, s0, 0x3ff
	s_delay_alu instid0(SALU_CYCLE_1) | instskip(NEXT) | instid1(SALU_CYCLE_1)
	s_bitset1_b32 s0, 10
	s_mov_b32 m0, s0
	s_sendmsg sendmsg(MSG_INTERRUPT)
	s_mov_b32 m0, ttmp2
.LBB10_1609:                            ; =>This Inner Loop Header: Depth=1
	s_sethalt 5
	s_branch .LBB10_1609
.LBB10_1610:
	s_trap 2
	s_sendmsg_rtn_b32 s0, sendmsg(MSG_RTN_GET_DOORBELL)
	s_mov_b32 ttmp2, m0
	s_waitcnt lgkmcnt(0)
	s_and_b32 s0, s0, 0x3ff
	s_delay_alu instid0(SALU_CYCLE_1) | instskip(NEXT) | instid1(SALU_CYCLE_1)
	s_bitset1_b32 s0, 10
	s_mov_b32 m0, s0
	s_sendmsg sendmsg(MSG_INTERRUPT)
	s_mov_b32 m0, ttmp2
.LBB10_1611:                            ; =>This Inner Loop Header: Depth=1
	s_sethalt 5
	s_branch .LBB10_1611
.Lfunc_end10:
	.size	_ZN12_GLOBAL__N_17runRingIa7FuncSumIaE11ProtoSimpleILi2ELi2ELi0ELi2ELi0ELi0EELi0ELi2ELi0ELb0EEEviiP15ncclDevWorkColl, .Lfunc_end10-_ZN12_GLOBAL__N_17runRingIa7FuncSumIaE11ProtoSimpleILi2ELi2ELi0ELi2ELi0ELi0EELi0ELi2ELi0ELb0EEEviiP15ncclDevWorkColl
                                        ; -- End function
	.section	.AMDGPU.csdata,"",@progbits
; Function info:
; codeLenInByte = 46800
; NumSgprs: 41
; NumVgprs: 184
; ScratchSize: 96
; MemoryBound: 0
	.text
	.p2align	2                               ; -- Begin function _Z46ncclDevFunc_AllGather_RING_SIMPLE_Sum_i8_0_0_2v
	.type	_Z46ncclDevFunc_AllGather_RING_SIMPLE_Sum_i8_0_0_2v,@function
_Z46ncclDevFunc_AllGather_RING_SIMPLE_Sum_i8_0_0_2v: ; @_Z46ncclDevFunc_AllGather_RING_SIMPLE_Sum_i8_0_0_2v
; %bb.0:
	s_waitcnt vmcnt(0) expcnt(0) lgkmcnt(0)
	s_mov_b32 s0, s33
	s_mov_b32 s33, s32
	s_or_saveexec_b32 s1, -1
	scratch_store_b32 off, v42, s33 offset:16 ; 4-byte Folded Spill
	s_mov_b32 exec_lo, s1
	v_writelane_b32 v42, s0, 13
	s_add_i32 s32, s32, 32
	s_clause 0x3
	scratch_store_b32 off, v40, s33 offset:12
	; meta instruction
	scratch_store_b32 off, v41, s33 offset:8
	; meta instruction
	;; [unrolled: 2-line block ×3, first 2 shown]
	scratch_store_b32 off, v45, s33
	v_writelane_b32 v42, s34, 0
	v_writelane_b32 v42, s35, 1
	;; [unrolled: 1-line block ×13, first 2 shown]
	s_cbranch_execnz .LBB11_13
; %bb.1:
	ds_load_b32 v0, v0
	s_waitcnt lgkmcnt(0)
	v_cmp_gt_i32_e32 vcc_lo, 1, v0
	s_cbranch_vccnz .LBB11_12
; %bb.2:
	v_and_b32_e32 v40, 0x3ff, v31
	s_mov_b32 s44, 0
	s_mov_b64 s[42:43], src_shared_base
.LBB11_3:                               ; =>This Inner Loop Header: Depth=1
	s_cbranch_execnz .LBB11_15
; %bb.4:                                ;   in Loop: Header=BB11_3 Depth=1
	ds_load_b32 v0, v0
	s_cmp_eq_u32 s44, 0
	s_cbranch_scc1 .LBB11_8
; %bb.5:                                ;   in Loop: Header=BB11_3 Depth=1
	s_cbranch_execnz .LBB11_19
; %bb.6:                                ;   in Loop: Header=BB11_3 Depth=1
	s_waitcnt lgkmcnt(0)
	ds_load_b32 v1, v0
	s_waitcnt lgkmcnt(0)
	v_xor_b32_e32 v1, v1, v0
	s_delay_alu instid0(VALU_DEP_1) | instskip(NEXT) | instid1(VALU_DEP_1)
	v_and_b32_e32 v1, 0xff0000, v1
	v_cmp_eq_u32_e32 vcc_lo, 0, v1
	s_cbranch_vccnz .LBB11_8
; %bb.7:                                ;   in Loop: Header=BB11_3 Depth=1
	s_waitcnt_vscnt null, 0x0
	s_barrier
	buffer_gl0_inv
	ds_load_b32 v0, v0
.LBB11_8:                               ;   in Loop: Header=BB11_3 Depth=1
	s_waitcnt lgkmcnt(0)
	v_lshrrev_b32_e32 v0, 11, v0
	s_mov_b32 s42, exec_lo
	s_delay_alu instid0(VALU_DEP_1) | instskip(NEXT) | instid1(VALU_DEP_1)
	v_and_b32_e32 v1, 0x1fe0, v0
	v_cmpx_lt_u32_e64 v40, v1
	s_cbranch_execz .LBB11_10
; %bb.9:                                ;   in Loop: Header=BB11_3 Depth=1
	v_dual_mov_b32 v41, v31 :: v_dual_mov_b32 v0, v40
	v_mov_b32_e32 v3, s43
	s_getpc_b64 s[0:1]
	s_add_u32 s0, s0, _ZN12_GLOBAL__N_17runRingIa7FuncSumIaE11ProtoSimpleILi2ELi2ELi0ELi2ELi0ELi0EELi0ELi2ELi0ELb0EEEviiP15ncclDevWorkColl@rel32@lo+4
	s_addc_u32 s1, s1, _ZN12_GLOBAL__N_17runRingIa7FuncSumIaE11ProtoSimpleILi2ELi2ELi0ELi2ELi0ELi0EELi0ELi2ELi0ELb0EEEviiP15ncclDevWorkColl@rel32@hi+12
	s_mov_b64 s[40:41], s[8:9]
	s_mov_b32 s39, s12
	s_swappc_b64 s[30:31], s[0:1]
	v_mov_b32_e32 v31, v41
	s_mov_b32 s12, s39
	s_mov_b64 s[8:9], s[40:41]
.LBB11_10:                              ;   in Loop: Header=BB11_3 Depth=1
	s_or_b32 exec_lo, exec_lo, s42
	s_cbranch_execnz .LBB11_17
; %bb.11:                               ;   in Loop: Header=BB11_3 Depth=1
	ds_load_b32 v0, v0
	s_add_i32 s44, s44, 1
	s_waitcnt lgkmcnt(0)
	v_cmp_lt_i32_e32 vcc_lo, s44, v0
	s_cbranch_vccnz .LBB11_3
.LBB11_12:
	s_clause 0x3
	scratch_load_b32 v45, off, s33
	scratch_load_b32 v44, off, s33 offset:4
	scratch_load_b32 v41, off, s33 offset:8
	;; [unrolled: 1-line block ×3, first 2 shown]
	v_readlane_b32 s30, v42, 11
	v_readlane_b32 s31, v42, 12
	;; [unrolled: 1-line block ×14, first 2 shown]
	s_or_saveexec_b32 s1, -1
	scratch_load_b32 v42, off, s33 offset:16 ; 4-byte Folded Reload
	s_mov_b32 exec_lo, s1
	s_addk_i32 s32, 0xffe0
	s_mov_b32 s33, s0
	s_waitcnt vmcnt(0)
	s_setpc_b64 s[30:31]
.LBB11_13:
	s_trap 2
	s_sendmsg_rtn_b32 s0, sendmsg(MSG_RTN_GET_DOORBELL)
	s_mov_b32 ttmp2, m0
	s_waitcnt lgkmcnt(0)
	s_and_b32 s0, s0, 0x3ff
	s_delay_alu instid0(SALU_CYCLE_1) | instskip(NEXT) | instid1(SALU_CYCLE_1)
	s_bitset1_b32 s0, 10
	s_mov_b32 m0, s0
	s_sendmsg sendmsg(MSG_INTERRUPT)
	s_mov_b32 m0, ttmp2
.LBB11_14:                              ; =>This Inner Loop Header: Depth=1
	s_sethalt 5
	s_branch .LBB11_14
.LBB11_15:
	s_trap 2
	s_sendmsg_rtn_b32 s0, sendmsg(MSG_RTN_GET_DOORBELL)
	s_mov_b32 ttmp2, m0
	s_waitcnt lgkmcnt(0)
	s_and_b32 s0, s0, 0x3ff
	s_delay_alu instid0(SALU_CYCLE_1) | instskip(NEXT) | instid1(SALU_CYCLE_1)
	s_bitset1_b32 s0, 10
	s_mov_b32 m0, s0
	s_sendmsg sendmsg(MSG_INTERRUPT)
	s_mov_b32 m0, ttmp2
.LBB11_16:                              ; =>This Inner Loop Header: Depth=1
	s_sethalt 5
	s_branch .LBB11_16
.LBB11_17:
	s_trap 2
	s_sendmsg_rtn_b32 s0, sendmsg(MSG_RTN_GET_DOORBELL)
	s_mov_b32 ttmp2, m0
	s_waitcnt lgkmcnt(0)
	s_and_b32 s0, s0, 0x3ff
	s_delay_alu instid0(SALU_CYCLE_1) | instskip(NEXT) | instid1(SALU_CYCLE_1)
	s_bitset1_b32 s0, 10
	s_mov_b32 m0, s0
	s_sendmsg sendmsg(MSG_INTERRUPT)
	s_mov_b32 m0, ttmp2
.LBB11_18:                              ; =>This Inner Loop Header: Depth=1
	s_sethalt 5
	s_branch .LBB11_18
.LBB11_19:
	s_trap 2
	s_sendmsg_rtn_b32 s0, sendmsg(MSG_RTN_GET_DOORBELL)
	s_mov_b32 ttmp2, m0
	s_waitcnt lgkmcnt(0)
	s_and_b32 s0, s0, 0x3ff
	s_delay_alu instid0(SALU_CYCLE_1) | instskip(NEXT) | instid1(SALU_CYCLE_1)
	s_bitset1_b32 s0, 10
	s_mov_b32 m0, s0
	s_sendmsg sendmsg(MSG_INTERRUPT)
	s_mov_b32 m0, ttmp2
.LBB11_20:                              ; =>This Inner Loop Header: Depth=1
	s_sethalt 5
	s_branch .LBB11_20
.Lfunc_end11:
	.size	_Z46ncclDevFunc_AllGather_RING_SIMPLE_Sum_i8_0_0_2v, .Lfunc_end11-_Z46ncclDevFunc_AllGather_RING_SIMPLE_Sum_i8_0_0_2v
                                        ; -- End function
	.section	.AMDGPU.csdata,"",@progbits
; Function info:
; codeLenInByte = 820
; NumSgprs: 47
; NumVgprs: 184
; ScratchSize: 128
; MemoryBound: 0
	.text
	.p2align	2                               ; -- Begin function _Z41ncclDevFunc_AllGather_PAT_LL_Sum_i8_0_0_2v
	.type	_Z41ncclDevFunc_AllGather_PAT_LL_Sum_i8_0_0_2v,@function
_Z41ncclDevFunc_AllGather_PAT_LL_Sum_i8_0_0_2v: ; @_Z41ncclDevFunc_AllGather_PAT_LL_Sum_i8_0_0_2v
; %bb.0:
	s_waitcnt vmcnt(0) expcnt(0) lgkmcnt(0)
	s_cbranch_execnz .LBB12_3
; %bb.1:
	ds_load_b32 v0, v0
	s_waitcnt lgkmcnt(0)
	v_cmp_gt_i32_e32 vcc_lo, 1, v0
	s_cbranch_vccnz .LBB12_13
; %bb.2:
	s_mov_b32 s0, 0
	s_branch .LBB12_6
.LBB12_3:
	s_trap 2
	s_sendmsg_rtn_b32 s0, sendmsg(MSG_RTN_GET_DOORBELL)
	s_mov_b32 ttmp2, m0
	s_waitcnt lgkmcnt(0)
	s_and_b32 s0, s0, 0x3ff
	s_delay_alu instid0(SALU_CYCLE_1) | instskip(NEXT) | instid1(SALU_CYCLE_1)
	s_bitset1_b32 s0, 10
	s_mov_b32 m0, s0
	s_sendmsg sendmsg(MSG_INTERRUPT)
	s_mov_b32 m0, ttmp2
.LBB12_4:                               ; =>This Inner Loop Header: Depth=1
	s_sethalt 5
	s_branch .LBB12_4
	.p2align	6
.LBB12_5:                               ;   in Loop: Header=BB12_6 Depth=1
	s_add_i32 s0, s0, 1
	s_waitcnt lgkmcnt(0)
	v_cmp_lt_i32_e32 vcc_lo, s0, v0
	s_cbranch_vccz .LBB12_13
.LBB12_6:                               ; =>This Inner Loop Header: Depth=1
	s_cmp_eq_u32 s0, 0
	s_cbranch_scc1 .LBB12_5
; %bb.7:                                ;   in Loop: Header=BB12_6 Depth=1
	s_cbranch_execnz .LBB12_11
; %bb.8:                                ;   in Loop: Header=BB12_6 Depth=1
	ds_load_b32 v1, v0
	s_waitcnt lgkmcnt(0)
	v_xor_b32_e32 v1, v1, v1
	s_delay_alu instid0(VALU_DEP_1) | instskip(NEXT) | instid1(VALU_DEP_1)
	v_and_b32_e32 v1, 0xff0000, v1
	v_cmp_eq_u32_e32 vcc_lo, 0, v1
	s_cbranch_vccnz .LBB12_5
; %bb.9:                                ;   in Loop: Header=BB12_6 Depth=1
	s_waitcnt_vscnt null, 0x0
	s_barrier
	buffer_gl0_inv
	s_cbranch_execnz .LBB12_14
; %bb.10:                               ;   in Loop: Header=BB12_6 Depth=1
	ds_load_b32 v0, v0
	s_branch .LBB12_5
.LBB12_11:
	s_trap 2
	s_sendmsg_rtn_b32 s0, sendmsg(MSG_RTN_GET_DOORBELL)
	s_mov_b32 ttmp2, m0
	s_waitcnt lgkmcnt(0)
	s_and_b32 s0, s0, 0x3ff
	s_delay_alu instid0(SALU_CYCLE_1) | instskip(NEXT) | instid1(SALU_CYCLE_1)
	s_bitset1_b32 s0, 10
	s_mov_b32 m0, s0
	s_sendmsg sendmsg(MSG_INTERRUPT)
	s_mov_b32 m0, ttmp2
.LBB12_12:                              ; =>This Inner Loop Header: Depth=1
	s_sethalt 5
	s_branch .LBB12_12
.LBB12_13:
	s_setpc_b64 s[30:31]
.LBB12_14:
	s_trap 2
	s_sendmsg_rtn_b32 s0, sendmsg(MSG_RTN_GET_DOORBELL)
	s_mov_b32 ttmp2, m0
	s_waitcnt lgkmcnt(0)
	s_and_b32 s0, s0, 0x3ff
	s_delay_alu instid0(SALU_CYCLE_1) | instskip(NEXT) | instid1(SALU_CYCLE_1)
	s_bitset1_b32 s0, 10
	s_mov_b32 m0, s0
	s_sendmsg sendmsg(MSG_INTERRUPT)
	s_mov_b32 m0, ttmp2
.LBB12_15:                              ; =>This Inner Loop Header: Depth=1
	s_sethalt 5
	s_branch .LBB12_15
.Lfunc_end12:
	.size	_Z41ncclDevFunc_AllGather_PAT_LL_Sum_i8_0_0_2v, .Lfunc_end12-_Z41ncclDevFunc_AllGather_PAT_LL_Sum_i8_0_0_2v
                                        ; -- End function
	.section	.AMDGPU.csdata,"",@progbits
; Function info:
; codeLenInByte = 292
; NumSgprs: 34
; NumVgprs: 2
; ScratchSize: 0
; MemoryBound: 0
	.text
	.p2align	2                               ; -- Begin function _Z45ncclDevFunc_AllGather_PAT_SIMPLE_Sum_i8_0_0_2v
	.type	_Z45ncclDevFunc_AllGather_PAT_SIMPLE_Sum_i8_0_0_2v,@function
_Z45ncclDevFunc_AllGather_PAT_SIMPLE_Sum_i8_0_0_2v: ; @_Z45ncclDevFunc_AllGather_PAT_SIMPLE_Sum_i8_0_0_2v
; %bb.0:
	s_waitcnt vmcnt(0) expcnt(0) lgkmcnt(0)
	s_or_saveexec_b32 s0, -1
	scratch_store_b32 off, v40, s32 offset:344 ; 4-byte Folded Spill
	s_mov_b32 exec_lo, s0
	v_writelane_b32 v40, s34, 0
	v_writelane_b32 v40, s30, 1
	;; [unrolled: 1-line block ×3, first 2 shown]
	s_cbranch_execnz .LBB13_425
; %bb.1:
	ds_load_b32 v0, v0
	s_waitcnt lgkmcnt(0)
	v_cmp_gt_i32_e32 vcc_lo, 1, v0
	s_cbranch_vccnz .LBB13_424
; %bb.2:
	s_load_b32 s0, s[8:9], 0x0
	v_dual_mov_b32 v16, 0 :: v_dual_and_b32 v39, 0x3ff, v31
	s_mov_b32 s18, 0
	s_delay_alu instid0(VALU_DEP_1) | instskip(SKIP_3) | instid1(VALU_DEP_4)
	v_and_b32_e32 v48, 31, v39
	v_cmp_eq_u32_e64 s2, 0x80, v39
	v_cmp_ne_u32_e64 s3, 0x80, v39
	v_cmp_gt_u32_e64 s4, 0x80, v39
	v_cmp_eq_u32_e64 s5, 0, v48
	s_waitcnt lgkmcnt(0)
	s_cmp_lt_u32 s12, s0
	s_cselect_b32 s0, 12, 18
	s_delay_alu instid0(SALU_CYCLE_1)
	s_add_u32 s0, s8, s0
	s_addc_u32 s1, s9, 0
	global_load_u16 v38, v16, s[0:1]
	v_cmp_gt_u32_e64 s0, 32, v39
	v_cmp_eq_u32_e64 s1, 0, v39
	s_cbranch_execnz .LBB13_427
; %bb.3:
	v_dual_mov_b32 v19, 1 :: v_dual_mov_b32 v50, 2
	v_dual_mov_b32 v49, -1 :: v_dual_mov_b32 v18, 4
	s_mov_b32 s19, s32
	s_mov_b32 s14, 0
	s_brev_b32 s15, 1
	s_addk_i32 s19, 0xd8
	s_mov_b64 s[16:17], src_shared_base
.LBB13_4:                               ; =>This Loop Header: Depth=1
                                        ;     Child Loop BB13_27 Depth 2
                                        ;     Child Loop BB13_36 Depth 2
                                        ;     Child Loop BB13_56 Depth 2
                                        ;     Child Loop BB13_71 Depth 2
                                        ;       Child Loop BB13_73 Depth 3
                                        ;       Child Loop BB13_83 Depth 3
	;; [unrolled: 1-line block ×12, first 2 shown]
                                        ;     Child Loop BB13_273 Depth 2
                                        ;     Child Loop BB13_286 Depth 2
	;; [unrolled: 1-line block ×6, first 2 shown]
                                        ;       Child Loop BB13_327 Depth 3
                                        ;       Child Loop BB13_387 Depth 3
	;; [unrolled: 1-line block ×4, first 2 shown]
	s_cbranch_execnz .LBB13_429
; %bb.5:                                ;   in Loop: Header=BB13_4 Depth=1
	ds_load_b32 v0, v0
	s_cmp_eq_u32 s18, 0
	s_waitcnt lgkmcnt(0)
	v_readfirstlane_b32 s8, v0
	s_cbranch_scc1 .LBB13_10
; %bb.6:                                ;   in Loop: Header=BB13_4 Depth=1
	s_cbranch_execnz .LBB13_431
; %bb.7:                                ;   in Loop: Header=BB13_4 Depth=1
	ds_load_b32 v0, v0
	s_waitcnt lgkmcnt(0)
	v_xor_b32_e32 v0, s8, v0
	s_delay_alu instid0(VALU_DEP_1) | instskip(NEXT) | instid1(VALU_DEP_1)
	v_and_b32_e32 v0, 0xff0000, v0
	v_cmp_eq_u32_e32 vcc_lo, 0, v0
	s_cbranch_vccnz .LBB13_10
; %bb.8:                                ;   in Loop: Header=BB13_4 Depth=1
	s_waitcnt vmcnt(0)
	s_waitcnt_vscnt null, 0x0
	s_barrier
	buffer_gl0_inv
	s_cbranch_execnz .LBB13_437
; %bb.9:                                ;   in Loop: Header=BB13_4 Depth=1
	ds_load_b32 v0, v0
	s_waitcnt lgkmcnt(0)
	v_readfirstlane_b32 s8, v0
.LBB13_10:                              ;   in Loop: Header=BB13_4 Depth=1
	s_delay_alu instid0(VALU_DEP_1) | instskip(SKIP_2) | instid1(SALU_CYCLE_1)
	s_lshr_b32 s6, s8, 11
	s_mov_b32 s16, exec_lo
	s_and_b32 s7, s6, 0x1fe0
	v_cmpx_gt_u32_e64 s7, v39
	s_cbranch_execz .LBB13_422
; %bb.11:                               ;   in Loop: Header=BB13_4 Depth=1
	s_cbranch_execnz .LBB13_435
; %bb.12:                               ;   in Loop: Header=BB13_4 Depth=1
	ds_load_2addr_b64 v[0:3], v0 offset1:1
	s_and_b32 s6, s8, 0xff
	s_bfe_u32 s10, s8, 0x80008
	s_not_b32 s9, s6
	s_delay_alu instid0(SALU_CYCLE_1) | instskip(NEXT) | instid1(SALU_CYCLE_1)
	s_add_i32 s11, s10, s9
	s_ashr_i32 s12, s11, 31
	s_waitcnt lgkmcnt(0)
	ds_load_b64 v[8:9], v0
	ds_load_b32 v4, v0
	v_mul_lo_u32 v5, v2, s12
	v_mul_hi_u32 v6, v2, s11
	v_mul_lo_u32 v7, v3, s11
	s_delay_alu instid0(VALU_DEP_2) | instskip(SKIP_1) | instid1(VALU_DEP_2)
	v_add_nc_u32_e32 v5, v6, v5
	v_mul_lo_u32 v6, v2, s11
	v_add_nc_u32_e32 v5, v5, v7
	s_waitcnt lgkmcnt(1)
	v_readfirstlane_b32 s21, v8
	s_waitcnt lgkmcnt(0)
	v_cmp_ne_u32_e32 vcc_lo, s6, v4
	s_delay_alu instid0(VALU_DEP_4)
	v_add_co_u32 v10, s6, v6, v0
	v_readfirstlane_b32 s20, v9
	v_add_co_ci_u32_e64 v11, s6, v5, v1, s6
	s_cbranch_vccz .LBB13_16
; %bb.13:                               ;   in Loop: Header=BB13_4 Depth=1
	v_cmp_ne_u32_e32 vcc_lo, s10, v4
	s_cbranch_vccz .LBB13_17
; %bb.14:                               ;   in Loop: Header=BB13_4 Depth=1
	s_cbranch_execnz .LBB13_443
; %bb.15:                               ;   in Loop: Header=BB13_4 Depth=1
	v_add_nc_u32_e32 v6, s9, v4
	ds_load_b64 v[4:5], v0
	s_mov_b32 s6, 0
	v_ashrrev_i32_e32 v7, 31, v6
	v_mul_hi_u32 v12, v2, v6
	v_mul_lo_u32 v13, v3, v6
	v_mul_lo_u32 v6, v2, v6
	s_delay_alu instid0(VALU_DEP_4) | instskip(NEXT) | instid1(VALU_DEP_1)
	v_mul_lo_u32 v7, v2, v7
	v_add_nc_u32_e32 v7, v12, v7
	s_delay_alu instid0(VALU_DEP_1) | instskip(SKIP_3) | instid1(VALU_DEP_3)
	v_add_nc_u32_e32 v7, v7, v13
	s_waitcnt lgkmcnt(0)
	v_lshrrev_b64 v[12:13], 12, v[4:5]
	v_add_co_u32 v4, vcc_lo, v6, v0
	v_add_co_ci_u32_e32 v5, vcc_lo, v7, v1, vcc_lo
	s_branch .LBB13_18
.LBB13_16:                              ;   in Loop: Header=BB13_4 Depth=1
	s_mov_b32 s6, -1
                                        ; implicit-def: $vgpr12_vgpr13
                                        ; implicit-def: $vgpr4_vgpr5
	s_branch .LBB13_22
.LBB13_17:                              ;   in Loop: Header=BB13_4 Depth=1
	s_mov_b32 s6, -1
                                        ; implicit-def: $vgpr12_vgpr13
                                        ; implicit-def: $vgpr4_vgpr5
.LBB13_18:                              ;   in Loop: Header=BB13_4 Depth=1
	s_delay_alu instid0(SALU_CYCLE_1)
	s_and_not1_b32 vcc_lo, exec_lo, s6
	s_cbranch_vccnz .LBB13_21
; %bb.19:                               ;   in Loop: Header=BB13_4 Depth=1
	s_cbranch_execnz .LBB13_447
; %bb.20:                               ;   in Loop: Header=BB13_4 Depth=1
	ds_load_b32 v2, v0
	v_dual_mov_b32 v4, v10 :: v_dual_mov_b32 v5, v11
	s_waitcnt lgkmcnt(0)
	v_lshrrev_b32_e32 v12, 1, v2
	v_dual_mov_b32 v2, v8 :: v_dual_mov_b32 v3, v9
.LBB13_21:                              ;   in Loop: Header=BB13_4 Depth=1
	s_mov_b32 s6, 0
.LBB13_22:                              ;   in Loop: Header=BB13_4 Depth=1
	s_delay_alu instid0(SALU_CYCLE_1)
	s_and_not1_b32 vcc_lo, exec_lo, s6
	s_cbranch_vccnz .LBB13_25
; %bb.23:                               ;   in Loop: Header=BB13_4 Depth=1
	s_cbranch_execnz .LBB13_439
; %bb.24:                               ;   in Loop: Header=BB13_4 Depth=1
	ds_load_b64 v[2:3], v0
	v_mov_b32_e32 v4, 0
	v_mov_b32_e32 v5, 0
	s_waitcnt lgkmcnt(0)
	v_lshlrev_b64 v[12:13], 9, v[2:3]
	v_dual_mov_b32 v3, v1 :: v_dual_mov_b32 v2, v0
.LBB13_25:                              ;   in Loop: Header=BB13_4 Depth=1
	s_waitcnt vmcnt(0)
	s_waitcnt_vscnt null, 0x0
	s_barrier
	buffer_gl0_inv
	s_and_saveexec_b32 s6, s0
	s_cbranch_execz .LBB13_28
; %bb.26:                               ;   in Loop: Header=BB13_4 Depth=1
	v_mov_b32_e32 v0, v39
	s_bfe_u32 s8, s8, 0x80010
	s_mov_b32 s9, 0
	s_mulk_i32 s8, 0x700
                                        ; implicit-def: $vgpr1
.LBB13_27:                              ;   Parent Loop BB13_4 Depth=1
                                        ; =>  This Inner Loop Header: Depth=2
	s_delay_alu instid0(VALU_DEP_1) | instskip(SKIP_4) | instid1(SALU_CYCLE_1)
	v_add_nc_u32_e32 v0, s7, v0
	ds_store_b32 v1, v16
	v_add_nc_u32_e32 v1, s8, v1
	v_cmp_lt_u32_e32 vcc_lo, 31, v0
	s_or_b32 s9, vcc_lo, s9
	s_and_not1_b32 exec_lo, exec_lo, s9
	s_cbranch_execnz .LBB13_27
.LBB13_28:                              ;   in Loop: Header=BB13_4 Depth=1
	s_or_b32 exec_lo, exec_lo, s6
	s_and_saveexec_b32 s6, s1
	s_cbranch_execz .LBB13_30
; %bb.29:                               ;   in Loop: Header=BB13_4 Depth=1
	v_mov_b32_e32 v17, v16
	ds_store_b64 v0, v[16:17]
	s_cbranch_execnz .LBB13_441
.LBB13_30:                              ;   in Loop: Header=BB13_4 Depth=1
	s_or_b32 exec_lo, exec_lo, s6
	s_and_saveexec_b32 s6, s2
	s_cbranch_execz .LBB13_32
; %bb.31:                               ;   in Loop: Header=BB13_4 Depth=1
	ds_store_b32 v0, v16
	s_cbranch_execnz .LBB13_445
.LBB13_32:                              ;   in Loop: Header=BB13_4 Depth=1
	s_or_b32 exec_lo, exec_lo, s6
	s_waitcnt lgkmcnt(0)
	s_barrier
	buffer_gl0_inv
	s_and_saveexec_b32 s6, s3
	s_delay_alu instid0(SALU_CYCLE_1)
	s_xor_b32 s22, exec_lo, s6
	s_cbranch_execz .LBB13_298
; %bb.33:                               ;   in Loop: Header=BB13_4 Depth=1
	s_and_saveexec_b32 s23, s4
	s_cbranch_execz .LBB13_297
; %bb.34:                               ;   in Loop: Header=BB13_4 Depth=1
	s_cbranch_execnz .LBB13_453
; %bb.35:                               ;   in Loop: Header=BB13_4 Depth=1
	ds_load_b128 v[0:3], v0
	s_mov_b32 s6, 0
.LBB13_36:                              ;   Parent Loop BB13_4 Depth=1
                                        ; =>  This Inner Loop Header: Depth=2
	s_cbranch_execnz .LBB13_455
; %bb.37:                               ;   in Loop: Header=BB13_36 Depth=2
	v_mov_b32_e32 v17, v16
	flat_load_b32 v4, v[16:17] glc dlc
	s_waitcnt vmcnt(0) lgkmcnt(0)
	v_cmp_ne_u32_e32 vcc_lo, 0, v4
	s_or_b32 s6, vcc_lo, s6
	s_delay_alu instid0(SALU_CYCLE_1)
	s_and_not1_b32 exec_lo, exec_lo, s6
	s_cbranch_execnz .LBB13_36
; %bb.38:                               ;   in Loop: Header=BB13_4 Depth=1
	s_or_b32 exec_lo, exec_lo, s6
	v_lshlrev_b32_e32 v5, 5, v4
	v_bfe_i32 v4, v4, 26, 1
	s_delay_alu instid0(VALU_DEP_2) | instskip(NEXT) | instid1(VALU_DEP_1)
	v_sub_nc_u32_e32 v6, 0, v5
	v_max_i32_e32 v5, v5, v6
	s_delay_alu instid0(VALU_DEP_1) | instskip(SKIP_1) | instid1(VALU_DEP_2)
	v_cvt_f32_u32_e32 v6, v5
	v_sub_nc_u32_e32 v7, 0, v5
	v_rcp_iflag_f32_e32 v6, v6
	s_waitcnt_depctr 0xfff
	v_mul_f32_e32 v6, 0x4f7ffffe, v6
	s_delay_alu instid0(VALU_DEP_1) | instskip(NEXT) | instid1(VALU_DEP_1)
	v_cvt_u32_f32_e32 v6, v6
	v_mul_lo_u32 v7, v7, v6
	s_delay_alu instid0(VALU_DEP_1) | instskip(NEXT) | instid1(VALU_DEP_1)
	v_mul_hi_u32 v7, v6, v7
	v_add_nc_u32_e32 v6, v6, v7
	s_delay_alu instid0(VALU_DEP_1) | instskip(NEXT) | instid1(VALU_DEP_1)
	v_lshrrev_b32_e32 v6, 25, v6
	v_mul_lo_u32 v7, v6, v5
	v_add_nc_u32_e32 v8, 1, v6
	s_delay_alu instid0(VALU_DEP_2) | instskip(NEXT) | instid1(VALU_DEP_1)
	v_sub_nc_u32_e32 v7, 0x80, v7
	v_sub_nc_u32_e32 v9, v7, v5
	v_cmp_ge_u32_e32 vcc_lo, v7, v5
	s_delay_alu instid0(VALU_DEP_2) | instskip(NEXT) | instid1(VALU_DEP_1)
	v_dual_cndmask_b32 v7, v7, v9 :: v_dual_cndmask_b32 v6, v6, v8
	v_cmp_ge_u32_e32 vcc_lo, v7, v5
	s_delay_alu instid0(VALU_DEP_2) | instskip(NEXT) | instid1(VALU_DEP_1)
	v_add_nc_u32_e32 v8, 1, v6
	v_cndmask_b32_e32 v5, v6, v8, vcc_lo
	s_delay_alu instid0(VALU_DEP_1) | instskip(NEXT) | instid1(VALU_DEP_1)
	v_xor_b32_e32 v5, v5, v4
	v_sub_nc_u32_e32 v20, v5, v4
	s_delay_alu instid0(VALU_DEP_1) | instskip(NEXT) | instid1(VALU_DEP_1)
	v_lshlrev_b32_e32 v51, 5, v20
	v_sub_nc_u32_e32 v4, 0, v51
	s_delay_alu instid0(VALU_DEP_1) | instskip(NEXT) | instid1(VALU_DEP_1)
	v_max_i32_e32 v10, v51, v4
	v_cvt_f32_u32_e32 v4, v10
	v_sub_nc_u32_e32 v5, 0, v10
	s_delay_alu instid0(VALU_DEP_2) | instskip(SKIP_2) | instid1(VALU_DEP_1)
	v_rcp_iflag_f32_e32 v4, v4
	s_waitcnt_depctr 0xfff
	v_mul_f32_e32 v4, 0x4f7ffffe, v4
	v_cvt_u32_f32_e32 v4, v4
	s_delay_alu instid0(VALU_DEP_1) | instskip(NEXT) | instid1(VALU_DEP_1)
	v_mul_lo_u32 v5, v5, v4
	v_mul_hi_u32 v5, v4, v5
	s_delay_alu instid0(VALU_DEP_1) | instskip(NEXT) | instid1(VALU_DEP_1)
	v_add_nc_u32_e32 v11, v4, v5
	v_mul_hi_u32 v4, v39, v11
	s_delay_alu instid0(VALU_DEP_1) | instskip(NEXT) | instid1(VALU_DEP_1)
	v_mul_lo_u32 v5, v4, v10
	v_sub_nc_u32_e32 v5, v39, v5
	s_delay_alu instid0(VALU_DEP_1) | instskip(SKIP_1) | instid1(VALU_DEP_1)
	v_sub_nc_u32_e32 v6, v5, v10
	v_cmp_ge_u32_e64 s6, v5, v10
	v_cndmask_b32_e64 v5, v5, v6, s6
	s_delay_alu instid0(VALU_DEP_1)
	v_cmp_ge_u32_e32 vcc_lo, v5, v10
	s_cbranch_execnz .LBB13_457
; %bb.39:                               ;   in Loop: Header=BB13_4 Depth=1
	v_add_nc_u32_e32 v5, 1, v4
	v_bfe_i32 v8, v20, 26, 1
	v_mov_b32_e32 v17, 0x800
	s_delay_alu instid0(VALU_DEP_3) | instskip(SKIP_1) | instid1(VALU_DEP_1)
	v_cndmask_b32_e64 v4, v4, v5, s6
	s_mov_b32 s6, exec_lo
	v_add_nc_u32_e32 v5, 1, v4
	s_delay_alu instid0(VALU_DEP_1) | instskip(NEXT) | instid1(VALU_DEP_1)
	v_cndmask_b32_e32 v4, v4, v5, vcc_lo
	v_xor_b32_e32 v4, v4, v8
	s_delay_alu instid0(VALU_DEP_1) | instskip(SKIP_2) | instid1(VALU_DEP_1)
	v_sub_nc_u32_e32 v52, v4, v8
	ds_load_b64 v[4:5], v0
	v_mul_lo_u32 v9, v52, v51
	v_sub_nc_u32_e32 v21, v39, v9
	s_delay_alu instid0(VALU_DEP_1)
	v_cmpx_gt_i32_e32 5, v21
	s_cbranch_execz .LBB13_41
; %bb.40:                               ;   in Loop: Header=BB13_4 Depth=1
	v_ashrrev_i32_e32 v22, 31, v21
	s_getpc_b64 s[8:9]
	s_add_u32 s8, s8, __const.Primitives.roles.6@rel32@lo+4
	s_addc_u32 s9, s9, __const.Primitives.roles.6@rel32@hi+12
	s_delay_alu instid0(VALU_DEP_1) | instskip(NEXT) | instid1(VALU_DEP_1)
	v_lshlrev_b64 v[6:7], 2, v[21:22]
	v_add_co_u32 v6, vcc_lo, v6, s8
	s_delay_alu instid0(VALU_DEP_2)
	v_add_co_ci_u32_e32 v7, vcc_lo, s9, v7, vcc_lo
	global_load_b32 v6, v[6:7], off
	s_waitcnt vmcnt(0)
	v_or_b32_e32 v17, 0x800, v6
.LBB13_41:                              ;   in Loop: Header=BB13_4 Depth=1
	s_or_b32 exec_lo, exec_lo, s6
	ds_load_b32 v6, v0
	s_cbranch_execnz .LBB13_459
; %bb.42:                               ;   in Loop: Header=BB13_4 Depth=1
	v_lshlrev_b64 v[12:13], v21, 1
	s_waitcnt lgkmcnt(0)
	v_ashrrev_i32_e32 v7, 31, v6
	v_cmp_gt_i32_e64 s6, 32, v21
	s_delay_alu instid0(VALU_DEP_2) | instskip(NEXT) | instid1(VALU_DEP_2)
	v_cmp_lt_u64_e32 vcc_lo, v[12:13], v[6:7]
	s_and_b32 s7, s6, vcc_lo
	s_delay_alu instid0(SALU_CYCLE_1)
	s_and_saveexec_b32 s6, s7
	s_cbranch_execz .LBB13_45
; %bb.43:                               ;   in Loop: Header=BB13_4 Depth=1
	v_cvt_f32_u32_e32 v7, v6
	s_delay_alu instid0(VALU_DEP_1)
	v_rcp_iflag_f32_e32 v7, v7
	s_waitcnt_depctr 0xfff
	v_mul_f32_e32 v12, 0x4f7ffffe, v7
	ds_load_b32 v7, v0
	v_cvt_u32_f32_e32 v13, v12
	v_sub_nc_u32_e32 v12, 0, v6
	s_delay_alu instid0(VALU_DEP_1) | instskip(NEXT) | instid1(VALU_DEP_1)
	v_mul_lo_u32 v12, v12, v13
	v_mul_hi_u32 v14, v13, v12
	v_lshlrev_b32_e64 v12, v21, 1
	s_waitcnt lgkmcnt(0)
	s_delay_alu instid0(VALU_DEP_1) | instskip(NEXT) | instid1(VALU_DEP_3)
	v_add_nc_u32_e32 v15, v7, v12
	v_add_nc_u32_e32 v13, v13, v14
	s_delay_alu instid0(VALU_DEP_1) | instskip(NEXT) | instid1(VALU_DEP_1)
	v_mul_hi_u32 v14, v15, v13
	v_mul_lo_u32 v14, v14, v6
	s_delay_alu instid0(VALU_DEP_1) | instskip(NEXT) | instid1(VALU_DEP_1)
	v_sub_nc_u32_e32 v14, v15, v14
	v_sub_nc_u32_e32 v15, v14, v6
	v_cmp_ge_u32_e32 vcc_lo, v14, v6
	s_delay_alu instid0(VALU_DEP_2) | instskip(NEXT) | instid1(VALU_DEP_1)
	v_cndmask_b32_e32 v14, v14, v15, vcc_lo
	v_cmp_ge_u32_e32 vcc_lo, v14, v6
	s_cbranch_execnz .LBB13_463
; %bb.44:                               ;   in Loop: Header=BB13_4 Depth=1
	v_sub_nc_u32_e32 v12, v6, v12
	s_mov_b32 s8, s14
	s_mov_b32 s9, s14
	v_sub_nc_u32_e32 v15, v14, v6
	ds_load_b64 v[26:27], v0
	v_add_nc_u32_e32 v7, v12, v7
	s_delay_alu instid0(VALU_DEP_1) | instskip(NEXT) | instid1(VALU_DEP_1)
	v_mul_hi_u32 v12, v7, v13
	v_mul_lo_u32 v12, v12, v6
	s_delay_alu instid0(VALU_DEP_1) | instskip(NEXT) | instid1(VALU_DEP_1)
	v_sub_nc_u32_e32 v7, v7, v12
	v_sub_nc_u32_e32 v12, v7, v6
	v_cndmask_b32_e32 v14, v14, v15, vcc_lo
	s_delay_alu instid0(VALU_DEP_1) | instskip(NEXT) | instid1(VALU_DEP_1)
	v_ashrrev_i32_e32 v15, 31, v14
	v_lshlrev_b64 v[14:15], 3, v[14:15]
	s_waitcnt lgkmcnt(0)
	s_delay_alu instid0(VALU_DEP_1) | instskip(NEXT) | instid1(VALU_DEP_2)
	v_add_co_u32 v14, vcc_lo, v26, v14
	v_add_co_ci_u32_e32 v15, vcc_lo, v27, v15, vcc_lo
	flat_load_b64 v[14:15], v[14:15]
	s_waitcnt vmcnt(0) lgkmcnt(0)
	v_add_co_u32 v22, vcc_lo, 0x1f8, v14
	v_add_co_ci_u32_e32 v23, vcc_lo, 0, v15, vcc_lo
	v_cmp_ge_u32_e32 vcc_lo, v7, v6
	ds_store_b64 v0, v[22:23]
	s_clause 0x1
	flat_load_b64 v[22:23], v[14:15] offset:520
	flat_load_b64 v[28:29], v[14:15] offset:608
	v_cndmask_b32_e32 v7, v7, v12, vcc_lo
	s_delay_alu instid0(VALU_DEP_1) | instskip(SKIP_1) | instid1(VALU_DEP_2)
	v_sub_nc_u32_e32 v12, v7, v6
	v_cmp_ge_u32_e32 vcc_lo, v7, v6
	v_cndmask_b32_e32 v6, v7, v12, vcc_lo
	s_waitcnt vmcnt(1) lgkmcnt(1)
	ds_store_b64 v0, v[22:23]
	flat_load_b128 v[22:25], v[14:15] offset:552
	s_waitcnt vmcnt(1) lgkmcnt(2)
	ds_store_b64 v0, v[28:29]
	s_waitcnt vmcnt(0) lgkmcnt(1)
	ds_store_b64 v0, v[22:23]
	flat_load_b64 v[12:13], v[22:23] glc
	v_mov_b32_e32 v23, s9
	v_ashrrev_i32_e32 v7, 31, v6
	ds_store_b64 v0, v[24:25]
	v_mov_b32_e32 v22, s8
	v_lshlrev_b64 v[6:7], 3, v[6:7]
	s_delay_alu instid0(VALU_DEP_1) | instskip(NEXT) | instid1(VALU_DEP_2)
	v_add_co_u32 v6, vcc_lo, v26, v6
	v_add_co_ci_u32_e32 v7, vcc_lo, v27, v7, vcc_lo
	flat_load_b64 v[6:7], v[6:7]
	s_waitcnt vmcnt(0) lgkmcnt(0)
	flat_load_b64 v[24:25], v[6:7] offset:104
	flat_load_b32 v26, v[14:15] offset:576
	s_waitcnt vmcnt(1) lgkmcnt(1)
	ds_store_2addr_b64 v0, v[24:25], v[6:7] offset1:1
	flat_load_b64 v[14:15], v[6:7] offset:96
	s_waitcnt vmcnt(0) lgkmcnt(0)
	ds_store_b64 v0, v[14:15]
	s_clause 0x1
	flat_load_b64 v[14:15], v[6:7] offset:16
	flat_load_b64 v[24:25], v[6:7] offset:56
	ds_store_b64 v0, v[12:13]
	ds_store_b64 v0, v[22:23]
	ds_store_b32 v0, v26
	s_waitcnt vmcnt(0) lgkmcnt(3)
	ds_store_2addr_b64 v0, v[14:15], v[24:25] offset1:1
	flat_load_b64 v[12:13], v[24:25] glc
	flat_load_b64 v[14:15], v[6:7] offset:48
	s_waitcnt vmcnt(0) lgkmcnt(0)
	ds_store_2addr_b64 v0, v[14:15], v[12:13] offset1:1
	flat_load_b32 v6, v[6:7] offset:72
	ds_store_b64 v0, v[22:23]
	s_waitcnt vmcnt(0) lgkmcnt(1)
	ds_store_b32 v0, v6
.LBB13_45:                              ;   in Loop: Header=BB13_4 Depth=1
	s_or_b32 exec_lo, exec_lo, s6
	s_cbranch_execnz .LBB13_461
; %bb.46:                               ;   in Loop: Header=BB13_4 Depth=1
	s_mov_b32 s6, exec_lo
	v_cmpx_eq_u32_e32 0, v21
	s_cbranch_execz .LBB13_48
; %bb.47:                               ;   in Loop: Header=BB13_4 Depth=1
	ds_store_2addr_b64 v0, v[2:3], v[0:1] offset0:14 offset1:15
	ds_store_b64 v0, v[4:5]
	s_cbranch_execnz .LBB13_467
.LBB13_48:                              ;   in Loop: Header=BB13_4 Depth=1
	s_or_b32 exec_lo, exec_lo, s6
	v_cmp_ne_u32_e64 s6, v51, v38
                                        ; implicit-def: $vgpr22_vgpr23
                                        ; implicit-def: $vgpr0
	s_delay_alu instid0(VALU_DEP_1) | instskip(NEXT) | instid1(SALU_CYCLE_1)
	s_and_saveexec_b32 s7, s6
	s_xor_b32 s7, exec_lo, s7
	s_cbranch_execz .LBB13_67
; %bb.49:                               ;   in Loop: Header=BB13_4 Depth=1
	v_mov_b32_e32 v22, 0
	v_dual_mov_b32 v23, 0 :: v_dual_mov_b32 v0, v48
	s_and_saveexec_b32 s8, s5
	s_cbranch_execz .LBB13_66
; %bb.50:                               ;   in Loop: Header=BB13_4 Depth=1
	s_mov_b32 s10, exec_lo
	s_mov_b32 s9, exec_lo
	v_mbcnt_lo_u32_b32 v0, s10, 0
	s_waitcnt lgkmcnt(0)
	buffer_gl1_inv
	buffer_gl0_inv
	v_cmpx_eq_u32_e32 0, v0
	s_cbranch_execz .LBB13_52
; %bb.51:                               ;   in Loop: Header=BB13_4 Depth=1
	s_bcnt1_i32_b32 s10, s10
	s_delay_alu instid0(SALU_CYCLE_1)
	v_dual_mov_b32 v1, v16 :: v_dual_mov_b32 v0, s10
	ds_add_u64 v0, v[0:1]
	s_cbranch_execnz .LBB13_473
.LBB13_52:                              ;   in Loop: Header=BB13_4 Depth=1
	s_or_b32 exec_lo, exec_lo, s9
	s_cbranch_execnz .LBB13_471
; %bb.53:                               ;   in Loop: Header=BB13_4 Depth=1
	ds_load_b64 v[0:1], v0
	s_waitcnt lgkmcnt(0)
	v_cmp_lt_u64_e32 vcc_lo, 3, v[0:1]
	s_cbranch_vccnz .LBB13_65
; %bb.54:                               ;   in Loop: Header=BB13_4 Depth=1
	s_mov_b32 s9, 0
	s_mov_b32 s12, 0
                                        ; implicit-def: $sgpr10
                                        ; implicit-def: $sgpr11
	s_branch .LBB13_56
.LBB13_55:                              ;   in Loop: Header=BB13_56 Depth=2
	s_or_b32 exec_lo, exec_lo, s25
	s_delay_alu instid0(SALU_CYCLE_1) | instskip(NEXT) | instid1(SALU_CYCLE_1)
	s_and_b32 s13, exec_lo, s24
	s_or_b32 s9, s13, s9
	s_and_not1_b32 s10, s10, exec_lo
	s_and_b32 s13, s11, exec_lo
	s_delay_alu instid0(SALU_CYCLE_1)
	s_or_b32 s10, s10, s13
	s_and_not1_b32 exec_lo, exec_lo, s9
	s_cbranch_execz .LBB13_62
.LBB13_56:                              ;   Parent Loop BB13_4 Depth=1
                                        ; =>  This Inner Loop Header: Depth=2
	s_add_i32 s12, s12, 1
                                        ; implicit-def: $sgpr24
	s_delay_alu instid0(SALU_CYCLE_1) | instskip(SKIP_1) | instid1(SALU_CYCLE_1)
	s_cmpk_lg_i32 s12, 0x2710
	s_cselect_b32 s13, -1, 0
	s_and_b32 vcc_lo, exec_lo, s13
	s_cbranch_vccz .LBB13_60
.LBB13_57:                              ;   in Loop: Header=BB13_56 Depth=2
	s_and_not1_b32 s11, s11, exec_lo
	s_and_b32 s25, s24, exec_lo
	s_mov_b32 s24, -1
	s_or_b32 s11, s11, s25
	s_and_saveexec_b32 s25, s13
	s_cbranch_execz .LBB13_55
; %bb.58:                               ;   in Loop: Header=BB13_56 Depth=2
	s_sleep 1
	s_cbranch_execnz .LBB13_477
; %bb.59:                               ;   in Loop: Header=BB13_56 Depth=2
	ds_load_b64 v[0:1], v0
	s_and_not1_b32 s11, s11, exec_lo
	s_waitcnt lgkmcnt(0)
	v_cmp_lt_u64_e32 vcc_lo, 3, v[0:1]
	s_or_not1_b32 s24, vcc_lo, exec_lo
	s_branch .LBB13_55
.LBB13_60:                              ;   in Loop: Header=BB13_56 Depth=2
	s_cbranch_execnz .LBB13_479
; %bb.61:                               ;   in Loop: Header=BB13_56 Depth=2
	ds_load_b64 v[0:1], v0
	s_and_not1_b32 s13, s13, exec_lo
	s_mov_b32 s12, 0
	s_mov_b32 s24, -1
	s_waitcnt lgkmcnt(0)
	flat_load_b32 v0, v[0:1] glc
	s_waitcnt vmcnt(0) lgkmcnt(0)
	buffer_gl1_inv
	buffer_gl0_inv
	v_cmp_eq_u32_e32 vcc_lo, 0, v0
	s_and_b32 s25, vcc_lo, exec_lo
	s_delay_alu instid0(SALU_CYCLE_1)
	s_or_b32 s13, s13, s25
	s_branch .LBB13_57
.LBB13_62:                              ;   in Loop: Header=BB13_4 Depth=1
	s_or_b32 exec_lo, exec_lo, s9
	s_and_saveexec_b32 s9, s10
	s_delay_alu instid0(SALU_CYCLE_1)
	s_xor_b32 s9, exec_lo, s9
	s_cbranch_execz .LBB13_64
; %bb.63:                               ;   in Loop: Header=BB13_4 Depth=1
	ds_store_b32 v0, v19
	s_cbranch_execnz .LBB13_515
.LBB13_64:                              ;   in Loop: Header=BB13_4 Depth=1
	s_or_b32 exec_lo, exec_lo, s9
.LBB13_65:                              ;   in Loop: Header=BB13_4 Depth=1
	v_mov_b32_e32 v22, 4
	v_dual_mov_b32 v23, 0 :: v_dual_mov_b32 v0, 0
	;;#ASMSTART
	s_wakeup
	;;#ASMEND
.LBB13_66:                              ;   in Loop: Header=BB13_4 Depth=1
	s_or_b32 exec_lo, exec_lo, s8
.LBB13_67:                              ;   in Loop: Header=BB13_4 Depth=1
	s_and_not1_saveexec_b32 s7, s7
	s_cbranch_execz .LBB13_69
; %bb.68:                               ;   in Loop: Header=BB13_4 Depth=1
	v_mov_b32_e32 v22, 0
	v_dual_mov_b32 v23, 0 :: v_dual_mov_b32 v0, v48
	s_waitcnt lgkmcnt(0)
	buffer_gl1_inv
	buffer_gl0_inv
	s_barrier
.LBB13_69:                              ;   in Loop: Header=BB13_4 Depth=1
	s_or_b32 exec_lo, exec_lo, s7
	v_lshrrev_b32_e32 v1, 25, v11
	v_cmp_eq_u32_e64 s7, 0, v0
	s_mov_b32 s24, 0
	s_delay_alu instid0(VALU_DEP_2) | instskip(NEXT) | instid1(VALU_DEP_1)
	v_mul_lo_u32 v2, v1, v10
	v_sub_nc_u32_e32 v2, 0x80, v2
	s_delay_alu instid0(VALU_DEP_1) | instskip(SKIP_1) | instid1(VALU_DEP_1)
	v_sub_nc_u32_e32 v3, v2, v10
	v_cmp_ge_u32_e64 s8, v2, v10
	v_cndmask_b32_e64 v2, v2, v3, s8
	s_delay_alu instid0(VALU_DEP_1)
	v_cmp_ge_u32_e32 vcc_lo, v2, v10
	s_cbranch_execnz .LBB13_465
; %bb.70:                               ;   in Loop: Header=BB13_4 Depth=1
	v_ashrrev_i32_e32 v0, 31, v21
	v_add_nc_u32_e32 v2, 1, v1
	v_lshlrev_b32_e32 v53, 11, v20
	v_lshlrev_b32_e32 v54, 9, v20
	v_cmp_eq_u32_e64 s9, v39, v9
	v_lshrrev_b32_e32 v0, 27, v0
	v_cndmask_b32_e64 v1, v1, v2, s8
	v_subrev_nc_u32_e32 v2, 32, v51
	v_add_nc_u32_e32 v5, 0xfffffe00, v54
	v_ashrrev_i32_e32 v82, 31, v53
	v_add_nc_u32_e32 v0, v21, v0
	v_add_nc_u32_e32 v3, 1, v1
	v_ashrrev_i32_e32 v83, 31, v54
	v_ashrrev_i32_e32 v7, 31, v5
	;; [unrolled: 1-line block ×3, first 2 shown]
	s_delay_alu instid0(VALU_DEP_4) | instskip(SKIP_2) | instid1(VALU_DEP_3)
	v_dual_cndmask_b32 v1, v1, v3 :: v_dual_and_b32 v4, 0xffffffe0, v0
	v_ashrrev_i32_e32 v55, 5, v0
	v_add_nc_u32_e32 v0, 0xfffff800, v53
                                        ; implicit-def: $vgpr24_vgpr25
	v_sub_nc_u32_e32 v64, v21, v4
	v_ashrrev_i32_e32 v4, 31, v2
	s_delay_alu instid0(VALU_DEP_4) | instskip(NEXT) | instid1(VALU_DEP_4)
	v_lshlrev_b32_e32 v3, 11, v55
	v_ashrrev_i32_e32 v6, 31, v0
	v_add_co_u32 v66, vcc_lo, 0x800, v0
	v_xor_b32_e32 v1, v1, v8
	s_delay_alu instid0(VALU_DEP_4) | instskip(NEXT) | instid1(VALU_DEP_4)
	v_lshl_add_u32 v65, v64, 4, v3
	v_add_co_ci_u32_e32 v67, vcc_lo, 0, v6, vcc_lo
	v_add_co_u32 v70, vcc_lo, 0x200, v5
	v_add_co_ci_u32_e32 v71, vcc_lo, 0, v7, vcc_lo
	v_add_co_u32 v80, vcc_lo, v2, 32
	v_sub_nc_u32_e32 v68, v1, v8
	v_cmp_gt_i32_e64 s8, 1, v64
	v_ashrrev_i32_e32 v69, 31, v65
	v_add_co_ci_u32_e32 v81, vcc_lo, 0, v4, vcc_lo
.LBB13_71:                              ;   Parent Loop BB13_4 Depth=1
                                        ; =>  This Loop Header: Depth=2
                                        ;       Child Loop BB13_73 Depth 3
                                        ;       Child Loop BB13_83 Depth 3
	;; [unrolled: 1-line block ×12, first 2 shown]
	s_cbranch_execnz .LBB13_469
; %bb.72:                               ;   in Loop: Header=BB13_71 Depth=2
	s_mov_b32 s10, 0
.LBB13_73:                              ;   Parent Loop BB13_4 Depth=1
                                        ;     Parent Loop BB13_71 Depth=2
                                        ; =>    This Inner Loop Header: Depth=3
	ds_load_b32 v0, v0 offset:36
	s_waitcnt lgkmcnt(0)
	v_cmp_ne_u32_e32 vcc_lo, 0, v0
	s_or_b32 s10, vcc_lo, s10
	s_delay_alu instid0(SALU_CYCLE_1)
	s_and_not1_b32 exec_lo, exec_lo, s10
	s_cbranch_execnz .LBB13_73
; %bb.74:                               ;   in Loop: Header=BB13_71 Depth=2
	s_or_b32 exec_lo, exec_lo, s10
	ds_load_b32 v85, v0 offset:32
	v_and_b32_e32 v0, 2, v0
	s_mov_b32 s10, exec_lo
	s_delay_alu instid0(VALU_DEP_1)
	v_cmpx_ne_u32_e32 0, v0
	s_xor_b32 s10, exec_lo, s10
	s_cbranch_execz .LBB13_116
; %bb.75:                               ;   in Loop: Header=BB13_71 Depth=2
	s_and_saveexec_b32 s11, s6
	s_delay_alu instid0(SALU_CYCLE_1)
	s_xor_b32 s11, exec_lo, s11
	s_cbranch_execz .LBB13_93
; %bb.76:                               ;   in Loop: Header=BB13_71 Depth=2
	s_and_saveexec_b32 s12, s7
	s_cbranch_execz .LBB13_92
; %bb.77:                               ;   in Loop: Header=BB13_71 Depth=2
	s_mov_b32 s25, exec_lo
	s_mov_b32 s13, exec_lo
	v_mbcnt_lo_u32_b32 v0, s25, 0
	s_waitcnt lgkmcnt(0)
	buffer_gl1_inv
	buffer_gl0_inv
	v_cmpx_eq_u32_e32 0, v0
	s_cbranch_execz .LBB13_79
; %bb.78:                               ;   in Loop: Header=BB13_71 Depth=2
	s_bcnt1_i32_b32 s25, s25
	s_delay_alu instid0(SALU_CYCLE_1)
	v_dual_mov_b32 v1, v16 :: v_dual_mov_b32 v0, s25
	ds_add_u64 v0, v[0:1]
	s_cbranch_execnz .LBB13_493
.LBB13_79:                              ;   in Loop: Header=BB13_71 Depth=2
	s_or_b32 exec_lo, exec_lo, s13
	s_cbranch_execnz .LBB13_485
; %bb.80:                               ;   in Loop: Header=BB13_71 Depth=2
	ds_load_b64 v[0:1], v0
	v_add_co_u32 v22, vcc_lo, v22, 4
	v_add_co_ci_u32_e32 v23, vcc_lo, 0, v23, vcc_lo
	s_mov_b32 s13, exec_lo
	s_waitcnt lgkmcnt(0)
	s_delay_alu instid0(VALU_DEP_1)
	v_cmpx_lt_u64_e64 v[0:1], v[22:23]
	s_cbranch_execz .LBB13_91
; %bb.81:                               ;   in Loop: Header=BB13_71 Depth=2
	s_mov_b32 s25, 0
	s_mov_b32 s28, 0
                                        ; implicit-def: $sgpr26
                                        ; implicit-def: $sgpr27
	s_branch .LBB13_83
.LBB13_82:                              ;   in Loop: Header=BB13_83 Depth=3
	s_or_b32 exec_lo, exec_lo, vcc_hi
	s_delay_alu instid0(SALU_CYCLE_1) | instskip(NEXT) | instid1(SALU_CYCLE_1)
	s_and_b32 s29, exec_lo, vcc_lo
	s_or_b32 s25, s29, s25
	s_and_not1_b32 s26, s26, exec_lo
	s_and_b32 s29, s27, exec_lo
	s_delay_alu instid0(SALU_CYCLE_1)
	s_or_b32 s26, s26, s29
	s_and_not1_b32 exec_lo, exec_lo, s25
	s_cbranch_execz .LBB13_89
.LBB13_83:                              ;   Parent Loop BB13_4 Depth=1
                                        ;     Parent Loop BB13_71 Depth=2
                                        ; =>    This Inner Loop Header: Depth=3
	s_add_i32 s28, s28, 1
                                        ; implicit-def: $vcc_hi
	s_delay_alu instid0(SALU_CYCLE_1) | instskip(SKIP_1) | instid1(SALU_CYCLE_1)
	s_cmpk_lg_i32 s28, 0x2710
	s_cselect_b32 s29, -1, 0
	s_and_b32 vcc_lo, exec_lo, s29
	s_cbranch_vccnz .LBB13_86
; %bb.84:                               ;   in Loop: Header=BB13_83 Depth=3
	s_cbranch_execnz .LBB13_505
; %bb.85:                               ;   in Loop: Header=BB13_83 Depth=3
	ds_load_b64 v[0:1], v0
	s_and_not1_b32 s29, s29, exec_lo
	s_mov_b32 s28, 0
	s_waitcnt lgkmcnt(0)
	flat_load_b32 v0, v[0:1] glc
	s_waitcnt vmcnt(0) lgkmcnt(0)
	buffer_gl1_inv
	buffer_gl0_inv
	v_cmp_eq_u32_e32 vcc_lo, 0, v0
	s_mov_b32 vcc_hi, -1
	s_and_b32 vcc_lo, vcc_lo, exec_lo
	s_delay_alu instid0(SALU_CYCLE_1)
	s_or_b32 s29, s29, vcc_lo
.LBB13_86:                              ;   in Loop: Header=BB13_83 Depth=3
	s_and_not1_b32 s27, s27, exec_lo
	s_and_b32 vcc_hi, vcc_hi, exec_lo
	s_mov_b32 vcc_lo, -1
	s_or_b32 s27, s27, vcc_hi
	s_and_saveexec_b32 vcc_hi, s29
	s_cbranch_execz .LBB13_82
; %bb.87:                               ;   in Loop: Header=BB13_83 Depth=3
	s_sleep 1
	s_cbranch_execnz .LBB13_501
; %bb.88:                               ;   in Loop: Header=BB13_83 Depth=3
	ds_load_b64 v[0:1], v0
	s_and_not1_b32 s27, s27, exec_lo
	s_waitcnt lgkmcnt(0)
	v_cmp_ge_u64_e32 vcc_lo, v[0:1], v[22:23]
	s_or_not1_b32 vcc_lo, vcc_lo, exec_lo
	s_branch .LBB13_82
.LBB13_89:                              ;   in Loop: Header=BB13_71 Depth=2
	s_or_b32 exec_lo, exec_lo, s25
	s_and_saveexec_b32 s25, s26
	s_delay_alu instid0(SALU_CYCLE_1)
	s_xor_b32 s25, exec_lo, s25
	s_cbranch_execz .LBB13_91
; %bb.90:                               ;   in Loop: Header=BB13_71 Depth=2
	ds_store_b32 v0, v19
	s_cbranch_execnz .LBB13_533
.LBB13_91:                              ;   in Loop: Header=BB13_71 Depth=2
	s_or_b32 exec_lo, exec_lo, s13
	;;#ASMSTART
	s_wakeup
	;;#ASMEND
.LBB13_92:                              ;   in Loop: Header=BB13_71 Depth=2
	s_or_b32 exec_lo, exec_lo, s12
.LBB13_93:                              ;   in Loop: Header=BB13_71 Depth=2
	s_and_not1_saveexec_b32 s11, s11
	s_cbranch_execz .LBB13_95
; %bb.94:                               ;   in Loop: Header=BB13_71 Depth=2
	s_waitcnt lgkmcnt(0)
	buffer_gl1_inv
	buffer_gl0_inv
	s_waitcnt_vscnt null, 0x0
	s_barrier
.LBB13_95:                              ;   in Loop: Header=BB13_71 Depth=2
	s_or_b32 exec_lo, exec_lo, s11
	s_and_saveexec_b32 s11, s6
	s_delay_alu instid0(SALU_CYCLE_1)
	s_xor_b32 s11, exec_lo, s11
	s_cbranch_execz .LBB13_113
; %bb.96:                               ;   in Loop: Header=BB13_71 Depth=2
	s_and_saveexec_b32 s12, s7
	s_cbranch_execz .LBB13_112
; %bb.97:                               ;   in Loop: Header=BB13_71 Depth=2
	s_mov_b32 s25, exec_lo
	s_mov_b32 s13, exec_lo
	v_mbcnt_lo_u32_b32 v0, s25, 0
	s_waitcnt lgkmcnt(0)
	buffer_gl1_inv
	buffer_gl0_inv
	v_cmpx_eq_u32_e32 0, v0
	s_cbranch_execz .LBB13_99
; %bb.98:                               ;   in Loop: Header=BB13_71 Depth=2
	s_bcnt1_i32_b32 s25, s25
	s_delay_alu instid0(SALU_CYCLE_1)
	v_dual_mov_b32 v1, v16 :: v_dual_mov_b32 v0, s25
	ds_add_u64 v0, v[0:1]
	s_cbranch_execnz .LBB13_495
.LBB13_99:                              ;   in Loop: Header=BB13_71 Depth=2
	s_or_b32 exec_lo, exec_lo, s13
	s_cbranch_execnz .LBB13_491
; %bb.100:                              ;   in Loop: Header=BB13_71 Depth=2
	ds_load_b64 v[0:1], v0
	v_add_co_u32 v22, vcc_lo, v22, 4
	v_add_co_ci_u32_e32 v23, vcc_lo, 0, v23, vcc_lo
	s_mov_b32 s13, exec_lo
	s_waitcnt lgkmcnt(0)
	s_delay_alu instid0(VALU_DEP_1)
	v_cmpx_lt_u64_e64 v[0:1], v[22:23]
	s_cbranch_execz .LBB13_111
; %bb.101:                              ;   in Loop: Header=BB13_71 Depth=2
	s_mov_b32 s25, 0
	s_mov_b32 s28, 0
                                        ; implicit-def: $sgpr26
                                        ; implicit-def: $sgpr27
	s_branch .LBB13_103
.LBB13_102:                             ;   in Loop: Header=BB13_103 Depth=3
	s_or_b32 exec_lo, exec_lo, vcc_hi
	s_delay_alu instid0(SALU_CYCLE_1) | instskip(NEXT) | instid1(SALU_CYCLE_1)
	s_and_b32 s29, exec_lo, vcc_lo
	s_or_b32 s25, s29, s25
	s_and_not1_b32 s26, s26, exec_lo
	s_and_b32 s29, s27, exec_lo
	s_delay_alu instid0(SALU_CYCLE_1)
	s_or_b32 s26, s26, s29
	s_and_not1_b32 exec_lo, exec_lo, s25
	s_cbranch_execz .LBB13_109
.LBB13_103:                             ;   Parent Loop BB13_4 Depth=1
                                        ;     Parent Loop BB13_71 Depth=2
                                        ; =>    This Inner Loop Header: Depth=3
	s_add_i32 s28, s28, 1
                                        ; implicit-def: $vcc_hi
	s_delay_alu instid0(SALU_CYCLE_1) | instskip(SKIP_1) | instid1(SALU_CYCLE_1)
	s_cmpk_lg_i32 s28, 0x2710
	s_cselect_b32 s29, -1, 0
	s_and_b32 vcc_lo, exec_lo, s29
	s_cbranch_vccz .LBB13_107
.LBB13_104:                             ;   in Loop: Header=BB13_103 Depth=3
	s_and_not1_b32 s27, s27, exec_lo
	s_and_b32 vcc_hi, vcc_hi, exec_lo
	s_mov_b32 vcc_lo, -1
	s_or_b32 s27, s27, vcc_hi
	s_and_saveexec_b32 vcc_hi, s29
	s_cbranch_execz .LBB13_102
; %bb.105:                              ;   in Loop: Header=BB13_103 Depth=3
	s_sleep 1
	s_cbranch_execnz .LBB13_507
; %bb.106:                              ;   in Loop: Header=BB13_103 Depth=3
	ds_load_b64 v[0:1], v0
	s_and_not1_b32 s27, s27, exec_lo
	s_waitcnt lgkmcnt(0)
	v_cmp_ge_u64_e32 vcc_lo, v[0:1], v[22:23]
	s_or_not1_b32 vcc_lo, vcc_lo, exec_lo
	s_branch .LBB13_102
.LBB13_107:                             ;   in Loop: Header=BB13_103 Depth=3
	s_cbranch_execnz .LBB13_509
; %bb.108:                              ;   in Loop: Header=BB13_103 Depth=3
	ds_load_b64 v[0:1], v0
	s_and_not1_b32 s29, s29, exec_lo
	s_mov_b32 s28, 0
	s_waitcnt lgkmcnt(0)
	flat_load_b32 v0, v[0:1] glc
	s_waitcnt vmcnt(0) lgkmcnt(0)
	buffer_gl1_inv
	buffer_gl0_inv
	v_cmp_eq_u32_e32 vcc_lo, 0, v0
	s_mov_b32 vcc_hi, -1
	s_and_b32 vcc_lo, vcc_lo, exec_lo
	s_delay_alu instid0(SALU_CYCLE_1)
	s_or_b32 s29, s29, vcc_lo
	s_branch .LBB13_104
.LBB13_109:                             ;   in Loop: Header=BB13_71 Depth=2
	s_or_b32 exec_lo, exec_lo, s25
	s_and_saveexec_b32 s25, s26
	s_delay_alu instid0(SALU_CYCLE_1)
	s_xor_b32 s25, exec_lo, s25
	s_cbranch_execz .LBB13_111
; %bb.110:                              ;   in Loop: Header=BB13_71 Depth=2
	ds_store_b32 v0, v19
	s_cbranch_execnz .LBB13_535
.LBB13_111:                             ;   in Loop: Header=BB13_71 Depth=2
	s_or_b32 exec_lo, exec_lo, s13
	;;#ASMSTART
	s_wakeup
	;;#ASMEND
.LBB13_112:                             ;   in Loop: Header=BB13_71 Depth=2
	s_or_b32 exec_lo, exec_lo, s12
.LBB13_113:                             ;   in Loop: Header=BB13_71 Depth=2
	s_and_not1_saveexec_b32 s11, s11
	s_cbranch_execz .LBB13_115
; %bb.114:                              ;   in Loop: Header=BB13_71 Depth=2
	s_waitcnt lgkmcnt(0)
	buffer_gl1_inv
	buffer_gl0_inv
	s_waitcnt_vscnt null, 0x0
	s_barrier
.LBB13_115:                             ;   in Loop: Header=BB13_71 Depth=2
	s_or_b32 exec_lo, exec_lo, s11
.LBB13_116:                             ;   in Loop: Header=BB13_71 Depth=2
	s_and_not1_saveexec_b32 s25, s10
	s_cbranch_execz .LBB13_259
; %bb.117:                              ;   in Loop: Header=BB13_71 Depth=2
	ds_load_b64 v[4:5], v0
	ds_load_2addr_b64 v[0:3], v0 offset0:14 offset1:15
	v_dual_mov_b32 v26, 0 :: v_dual_and_b32 v7, 36, v17
	v_mov_b32_e32 v27, 0
	s_waitcnt lgkmcnt(0)
	ds_load_b32 v6, v0 offset:28
	ds_load_2addr_b32 v[28:29], v0 offset0:5 offset1:6
	v_cmp_lt_i32_e32 vcc_lo, -1, v4
	v_cmp_ne_u32_e64 s10, 0, v7
	s_delay_alu instid0(VALU_DEP_1) | instskip(NEXT) | instid1(SALU_CYCLE_1)
	s_and_b32 s26, vcc_lo, s10
	s_and_saveexec_b32 s10, s26
	s_cbranch_execz .LBB13_120
; %bb.118:                              ;   in Loop: Header=BB13_71 Depth=2
	s_cbranch_execnz .LBB13_475
; %bb.119:                              ;   in Loop: Header=BB13_71 Depth=2
	ds_load_b64 v[24:25], v0
	v_mov_b32_e32 v27, s17
.LBB13_120:                             ;   in Loop: Header=BB13_71 Depth=2
	s_or_b32 exec_lo, exec_lo, s10
	v_and_b32_e32 v4, 24, v17
	v_cmp_lt_i32_e32 vcc_lo, -1, v5
	s_delay_alu instid0(VALU_DEP_2) | instskip(NEXT) | instid1(VALU_DEP_1)
	v_cmp_ne_u32_e64 s10, 0, v4
	s_and_b32 s27, vcc_lo, s10
	s_delay_alu instid0(SALU_CYCLE_1)
	s_and_saveexec_b32 s10, s27
	s_cbranch_execz .LBB13_123
; %bb.121:                              ;   in Loop: Header=BB13_71 Depth=2
	s_cbranch_execnz .LBB13_481
; %bb.122:                              ;   in Loop: Header=BB13_71 Depth=2
	s_waitcnt lgkmcnt(0)
	ds_load_b64 v[24:25], v0
	v_mov_b32_e32 v27, s17
.LBB13_123:                             ;   in Loop: Header=BB13_71 Depth=2
	s_or_b32 exec_lo, exec_lo, s10
	v_and_b32_e32 v4, 4, v17
	s_waitcnt lgkmcnt(1)
	v_max_i32_e32 v86, 0, v6
	s_delay_alu instid0(VALU_DEP_2) | instskip(SKIP_1) | instid1(SALU_CYCLE_1)
	v_cmp_ne_u32_e32 vcc_lo, 0, v4
	s_and_b32 s11, s26, vcc_lo
	s_and_saveexec_b32 s10, s11
	s_cbranch_execz .LBB13_143
; %bb.124:                              ;   in Loop: Header=BB13_71 Depth=2
	s_clause 0x1
	flat_load_b64 v[4:5], v[26:27] offset:24
	flat_load_b32 v9, v[26:27] offset:64
	ds_load_2addr_b32 v[6:7], v0 offset0:2 offset1:4
	s_mov_b32 s11, 0
                                        ; implicit-def: $sgpr12
                                        ; implicit-def: $sgpr28
                                        ; implicit-def: $sgpr13
	s_waitcnt lgkmcnt(0)
	v_add_nc_u32_e32 v7, v24, v7
	s_delay_alu instid0(VALU_DEP_1) | instskip(SKIP_1) | instid1(VALU_DEP_1)
	v_and_b32_e32 v10, 7, v7
	s_waitcnt vmcnt(0)
	v_mad_i64_i32 v[7:8], null, v10, v9, v[4:5]
	v_ashrrev_i32_e32 v5, 31, v6
	s_delay_alu instid0(VALU_DEP_2) | instskip(NEXT) | instid1(VALU_DEP_2)
	v_add_co_u32 v4, vcc_lo, v7, v6
	v_add_co_ci_u32_e32 v5, vcc_lo, v8, v5, vcc_lo
	v_mov_b32_e32 v8, 0
	v_add_co_u32 v6, vcc_lo, v24, 1
	v_add_co_ci_u32_e32 v7, vcc_lo, 0, v25, vcc_lo
	ds_store_b64 v0, v[4:5] offset:584
	s_branch .LBB13_129
.LBB13_125:                             ;   in Loop: Header=BB13_129 Depth=3
	s_or_b32 exec_lo, exec_lo, s34
	v_mov_b32_e32 v4, 0
	s_or_not1_b32 s31, s31, exec_lo
.LBB13_126:                             ;   in Loop: Header=BB13_129 Depth=3
	s_or_b32 exec_lo, exec_lo, s30
	s_delay_alu instid0(VALU_DEP_1)
	v_mov_b32_e32 v8, v4
	s_and_b32 s30, s31, exec_lo
.LBB13_127:                             ;   in Loop: Header=BB13_129 Depth=3
	s_or_b32 exec_lo, exec_lo, vcc_hi
	s_xor_b32 vcc_lo, s30, -1
	s_and_not1_b32 s28, s28, exec_lo
	s_and_b32 vcc_lo, vcc_lo, exec_lo
	s_and_not1_b32 s13, s13, exec_lo
	s_or_b32 s28, s28, vcc_lo
                                        ; implicit-def: $vgpr4_vgpr5
.LBB13_128:                             ;   in Loop: Header=BB13_129 Depth=3
	s_or_b32 exec_lo, exec_lo, s29
	s_delay_alu instid0(SALU_CYCLE_1) | instskip(NEXT) | instid1(SALU_CYCLE_1)
	s_and_b32 s29, exec_lo, s28
	s_or_b32 s11, s29, s11
	s_and_not1_b32 s12, s12, exec_lo
	s_and_b32 s29, s13, exec_lo
	s_delay_alu instid0(SALU_CYCLE_1)
	s_or_b32 s12, s12, s29
	s_and_not1_b32 exec_lo, exec_lo, s11
	s_cbranch_execz .LBB13_136
.LBB13_129:                             ;   Parent Loop BB13_4 Depth=1
                                        ;     Parent Loop BB13_71 Depth=2
                                        ; =>    This Inner Loop Header: Depth=3
	flat_load_b64 v[9:10], v[26:27] offset:48
	ds_load_b32 v4, v0 offset:16
	s_or_b32 s13, s13, exec_lo
	s_or_b32 s28, s28, exec_lo
	s_mov_b32 s29, exec_lo
	s_waitcnt lgkmcnt(0)
	v_ashrrev_i32_e32 v5, 31, v4
	v_add_co_u32 v11, vcc_lo, v6, v4
	s_delay_alu instid0(VALU_DEP_2) | instskip(SKIP_1) | instid1(VALU_DEP_1)
	v_add_co_ci_u32_e32 v12, vcc_lo, v7, v5, vcc_lo
	s_waitcnt vmcnt(0)
	v_cmpx_lt_u64_e64 v[9:10], v[11:12]
	s_cbranch_execz .LBB13_128
; %bb.130:                              ;   in Loop: Header=BB13_129 Depth=3
	flat_load_b64 v[4:5], v[26:27] offset:40
	v_and_b32_e32 v9, 64, v17
	s_mov_b32 s30, 0
	s_mov_b32 vcc_hi, exec_lo
	s_waitcnt vmcnt(0) lgkmcnt(0)
	flat_load_b64 v[4:5], v[4:5] glc
	s_waitcnt vmcnt(0) lgkmcnt(0)
	flat_store_b64 v[26:27], v[4:5] offset:48
	v_cmpx_eq_u32_e32 0, v9
	s_cbranch_execz .LBB13_127
; %bb.131:                              ;   in Loop: Header=BB13_129 Depth=3
	v_add_nc_u32_e32 v4, 1, v8
	s_mov_b32 s31, -1
	s_mov_b32 s30, exec_lo
	v_cmpx_lt_i32_e32 0x270e, v8
	s_cbranch_execz .LBB13_126
; %bb.132:                              ;   in Loop: Header=BB13_129 Depth=3
	s_cbranch_execnz .LBB13_483
; %bb.133:                              ;   in Loop: Header=BB13_129 Depth=3
	ds_load_b64 v[4:5], v0
	s_mov_b32 s34, exec_lo
	s_waitcnt lgkmcnt(0)
	s_waitcnt_vscnt null, 0x0
	flat_load_b32 v4, v[4:5] glc
	s_waitcnt vmcnt(0) lgkmcnt(0)
	buffer_gl1_inv
	buffer_gl0_inv
	v_cmpx_ne_u32_e32 0, v4
	s_cbranch_execz .LBB13_125
; %bb.134:                              ;   in Loop: Header=BB13_129 Depth=3
	ds_store_b32 v0, v4
	s_cbranch_execnz .LBB13_499
; %bb.135:                              ;   in Loop: Header=BB13_129 Depth=3
	v_or_b32_e32 v17, 64, v17
	s_xor_b32 s31, exec_lo, -1
	s_branch .LBB13_125
.LBB13_136:                             ;   in Loop: Header=BB13_71 Depth=2
	s_or_b32 exec_lo, exec_lo, s11
	s_xor_b32 s11, s12, -1
	s_delay_alu instid0(SALU_CYCLE_1) | instskip(NEXT) | instid1(SALU_CYCLE_1)
	s_and_saveexec_b32 s12, s11
	s_xor_b32 s11, exec_lo, s12
	s_cbranch_execz .LBB13_138
; %bb.137:                              ;   in Loop: Header=BB13_71 Depth=2
	ds_load_b32 v4, v0 offset:16
	s_waitcnt lgkmcnt(0)
	v_ashrrev_i32_e32 v5, 31, v4
.LBB13_138:                             ;   in Loop: Header=BB13_71 Depth=2
	s_or_b32 exec_lo, exec_lo, s11
	flat_load_b96 v[6:8], v[26:27] offset:56
	ds_load_b32 v9, v0 offset:8
	v_add_co_u32 v12, vcc_lo, v4, v24
	v_add_co_ci_u32_e32 v13, vcc_lo, v5, v25, vcc_lo
	s_mov_b32 s11, exec_lo
	s_waitcnt lgkmcnt(0)
	v_add_nc_u32_e32 v9, v9, v86
	s_delay_alu instid0(VALU_DEP_1) | instskip(SKIP_2) | instid1(VALU_DEP_2)
	v_ashrrev_i32_e32 v10, 31, v9
	s_waitcnt vmcnt(0)
	v_ashrrev_i32_e32 v11, 31, v8
	v_mad_u64_u32 v[4:5], null, v12, v8, v[9:10]
	v_mul_lo_u32 v8, v13, v8
	s_delay_alu instid0(VALU_DEP_3) | instskip(NEXT) | instid1(VALU_DEP_1)
	v_mul_lo_u32 v9, v12, v11
	v_add3_u32 v5, v8, v5, v9
	s_delay_alu instid0(VALU_DEP_1)
	v_cmpx_ge_u64_e64 v[6:7], v[4:5]
	s_xor_b32 s11, exec_lo, s11
	s_cbranch_execz .LBB13_140
; %bb.139:                              ;   in Loop: Header=BB13_71 Depth=2
	ds_load_b64 v[4:5], v0 offset:136
	s_waitcnt lgkmcnt(0)
	ds_store_b64 v0, v[4:5] offset:208
.LBB13_140:                             ;   in Loop: Header=BB13_71 Depth=2
	s_and_not1_saveexec_b32 s11, s11
	s_cbranch_execz .LBB13_142
; %bb.141:                              ;   in Loop: Header=BB13_71 Depth=2
	ds_load_b64 v[4:5], v0 offset:48
	s_waitcnt lgkmcnt(0)
	v_add_co_u32 v4, vcc_lo, v2, v4
	v_add_co_ci_u32_e32 v5, vcc_lo, v3, v5, vcc_lo
	ds_store_b64 v0, v[4:5]
.LBB13_142:                             ;   in Loop: Header=BB13_71 Depth=2
	s_or_b32 exec_lo, exec_lo, s11
.LBB13_143:                             ;   in Loop: Header=BB13_71 Depth=2
	s_delay_alu instid0(SALU_CYCLE_1) | instskip(SKIP_1) | instid1(VALU_DEP_1)
	s_or_b32 exec_lo, exec_lo, s10
	v_and_b32_e32 v4, 8, v17
	v_cmp_ne_u32_e32 vcc_lo, 0, v4
	s_and_b32 s11, s27, vcc_lo
	s_delay_alu instid0(SALU_CYCLE_1)
	s_and_saveexec_b32 s10, s11
	s_cbranch_execz .LBB13_157
; %bb.144:                              ;   in Loop: Header=BB13_71 Depth=2
	s_waitcnt lgkmcnt(0)
	v_add_co_u32 v4, vcc_lo, v24, 1
	v_add_co_ci_u32_e32 v5, vcc_lo, 0, v25, vcc_lo
	v_mov_b32_e32 v6, 0
	s_mov_b32 s11, 0
                                        ; implicit-def: $sgpr12
	s_branch .LBB13_149
.LBB13_145:                             ;   in Loop: Header=BB13_149 Depth=3
	s_or_b32 exec_lo, exec_lo, s30
	v_mov_b32_e32 v7, 0
	s_or_not1_b32 vcc_hi, vcc_hi, exec_lo
.LBB13_146:                             ;   in Loop: Header=BB13_149 Depth=3
	s_or_b32 exec_lo, exec_lo, s29
	s_delay_alu instid0(VALU_DEP_1)
	v_mov_b32_e32 v6, v7
	s_and_b32 s29, vcc_hi, exec_lo
.LBB13_147:                             ;   in Loop: Header=BB13_149 Depth=3
	s_or_b32 exec_lo, exec_lo, s28
	s_xor_b32 s28, s29, -1
	s_and_not1_b32 s12, s12, exec_lo
	s_and_b32 s28, s28, exec_lo
	s_delay_alu instid0(SALU_CYCLE_1)
	s_or_b32 s12, s12, s28
.LBB13_148:                             ;   in Loop: Header=BB13_149 Depth=3
	s_or_b32 exec_lo, exec_lo, s13
	s_delay_alu instid0(SALU_CYCLE_1) | instskip(NEXT) | instid1(SALU_CYCLE_1)
	s_and_b32 s13, exec_lo, s12
	s_or_b32 s11, s13, s11
	s_delay_alu instid0(SALU_CYCLE_1)
	s_and_not1_b32 exec_lo, exec_lo, s11
	s_cbranch_execz .LBB13_156
.LBB13_149:                             ;   Parent Loop BB13_4 Depth=1
                                        ;     Parent Loop BB13_71 Depth=2
                                        ; =>    This Inner Loop Header: Depth=3
	flat_load_b64 v[7:8], v[26:27] offset:48
	s_or_b32 s12, s12, exec_lo
	s_mov_b32 s13, exec_lo
	s_waitcnt vmcnt(0) lgkmcnt(0)
	v_add_co_u32 v7, vcc_lo, v7, 8
	v_add_co_ci_u32_e32 v8, vcc_lo, 0, v8, vcc_lo
	s_delay_alu instid0(VALU_DEP_1)
	v_cmpx_lt_u64_e64 v[7:8], v[4:5]
	s_cbranch_execz .LBB13_148
; %bb.150:                              ;   in Loop: Header=BB13_149 Depth=3
	flat_load_b64 v[7:8], v[26:27] offset:32
	v_and_b32_e32 v9, 64, v17
	s_mov_b32 s29, 0
	s_mov_b32 s28, exec_lo
	s_waitcnt vmcnt(0) lgkmcnt(0)
	flat_load_b64 v[7:8], v[7:8] glc
	s_waitcnt vmcnt(0) lgkmcnt(0)
	flat_store_b64 v[26:27], v[7:8] offset:48
	v_cmpx_eq_u32_e32 0, v9
	s_cbranch_execz .LBB13_147
; %bb.151:                              ;   in Loop: Header=BB13_149 Depth=3
	v_add_nc_u32_e32 v7, 1, v6
	s_mov_b32 vcc_hi, -1
	s_mov_b32 s29, exec_lo
	v_cmpx_lt_i32_e32 0x270e, v6
	s_cbranch_execz .LBB13_146
; %bb.152:                              ;   in Loop: Header=BB13_149 Depth=3
	s_cbranch_execnz .LBB13_489
; %bb.153:                              ;   in Loop: Header=BB13_149 Depth=3
	ds_load_b64 v[6:7], v0
	s_mov_b32 s30, exec_lo
	s_waitcnt lgkmcnt(0)
	s_waitcnt_vscnt null, 0x0
	flat_load_b32 v6, v[6:7] glc
	s_waitcnt vmcnt(0) lgkmcnt(0)
	buffer_gl1_inv
	buffer_gl0_inv
	v_cmpx_ne_u32_e32 0, v6
	s_cbranch_execz .LBB13_145
; %bb.154:                              ;   in Loop: Header=BB13_149 Depth=3
	ds_store_b32 v0, v6
	s_cbranch_execnz .LBB13_503
; %bb.155:                              ;   in Loop: Header=BB13_149 Depth=3
	v_or_b32_e32 v17, 64, v17
	s_xor_b32 vcc_hi, exec_lo, -1
	s_branch .LBB13_145
.LBB13_156:                             ;   in Loop: Header=BB13_71 Depth=2
	s_or_b32 exec_lo, exec_lo, s11
	s_clause 0x1
	flat_load_b64 v[4:5], v[26:27] offset:24
	flat_load_b32 v8, v[26:27] offset:64
	ds_load_b32 v9, v0 offset:12
	v_and_b32_e32 v10, 7, v24
	s_waitcnt vmcnt(0) lgkmcnt(1)
	s_delay_alu instid0(VALU_DEP_1) | instskip(SKIP_2) | instid1(VALU_DEP_2)
	v_mad_i64_i32 v[6:7], null, v10, v8, v[4:5]
	s_waitcnt lgkmcnt(0)
	v_ashrrev_i32_e32 v5, 31, v9
	v_add_co_u32 v4, vcc_lo, v6, v9
	s_delay_alu instid0(VALU_DEP_2)
	v_add_co_ci_u32_e32 v5, vcc_lo, v7, v5, vcc_lo
	ds_store_b64 v0, v[4:5] offset:584
.LBB13_157:                             ;   in Loop: Header=BB13_71 Depth=2
	s_or_b32 exec_lo, exec_lo, s10
	s_cbranch_execnz .LBB13_487
; %bb.158:                              ;   in Loop: Header=BB13_71 Depth=2
	ds_load_b32 v4, v0
	ds_load_b64 v[30:31], v0
	v_and_b32_e32 v5, 1, v17
	s_delay_alu instid0(VALU_DEP_1) | instskip(SKIP_2) | instid1(VALU_DEP_2)
	v_cmp_eq_u32_e64 s10, 1, v5
	s_waitcnt lgkmcnt(1)
	v_cmp_gt_i32_e32 vcc_lo, 0, v4
	s_and_b32 s12, vcc_lo, s10
	s_delay_alu instid0(SALU_CYCLE_1)
	s_and_saveexec_b32 s11, s12
	s_cbranch_execz .LBB13_162
; %bb.159:                              ;   in Loop: Header=BB13_71 Depth=2
	ds_load_b64 v[6:7], v0 offset:40
	s_mov_b32 s12, exec_lo
	s_waitcnt lgkmcnt(0)
	v_add_co_u32 v4, vcc_lo, v6, v86
	v_add_co_ci_u32_e32 v5, vcc_lo, 0, v7, vcc_lo
	v_add_co_u32 v0, vcc_lo, v0, v6
	v_add_co_ci_u32_e32 v1, vcc_lo, v1, v7, vcc_lo
	ds_store_b64 v0, v[0:1] offset:584
	v_cmpx_lt_u64_e64 v[30:31], v[4:5]
	s_cbranch_execz .LBB13_161
; %bb.160:                              ;   in Loop: Header=BB13_71 Depth=2
	ds_load_b64 v[0:1], v0 offset:48
	v_dual_mov_b32 v31, v5 :: v_dual_mov_b32 v30, v4
	s_waitcnt lgkmcnt(0)
	v_add_co_u32 v0, vcc_lo, v2, v0
	v_add_co_ci_u32_e32 v1, vcc_lo, v3, v1, vcc_lo
.LBB13_161:                             ;   in Loop: Header=BB13_71 Depth=2
	s_or_b32 exec_lo, exec_lo, s12
	ds_store_b64 v0, v[0:1]
.LBB13_162:                             ;   in Loop: Header=BB13_71 Depth=2
	s_or_b32 exec_lo, exec_lo, s11
	s_and_saveexec_b32 s11, s6
	s_delay_alu instid0(SALU_CYCLE_1)
	s_xor_b32 s11, exec_lo, s11
	s_cbranch_execz .LBB13_180
; %bb.163:                              ;   in Loop: Header=BB13_71 Depth=2
	s_and_saveexec_b32 s12, s7
	s_cbranch_execz .LBB13_179
; %bb.164:                              ;   in Loop: Header=BB13_71 Depth=2
	s_mov_b32 s28, exec_lo
	s_mov_b32 s13, exec_lo
	v_mbcnt_lo_u32_b32 v0, s28, 0
	s_waitcnt lgkmcnt(0)
	s_waitcnt_vscnt null, 0x0
	buffer_gl1_inv
	buffer_gl0_inv
	v_cmpx_eq_u32_e32 0, v0
	s_cbranch_execz .LBB13_166
; %bb.165:                              ;   in Loop: Header=BB13_71 Depth=2
	s_bcnt1_i32_b32 s28, s28
	s_delay_alu instid0(SALU_CYCLE_1)
	v_dual_mov_b32 v1, v16 :: v_dual_mov_b32 v0, s28
	ds_add_u64 v0, v[0:1]
	s_cbranch_execnz .LBB13_513
.LBB13_166:                             ;   in Loop: Header=BB13_71 Depth=2
	s_or_b32 exec_lo, exec_lo, s13
	s_cbranch_execnz .LBB13_511
; %bb.167:                              ;   in Loop: Header=BB13_71 Depth=2
	ds_load_b64 v[0:1], v0
	v_add_co_u32 v22, vcc_lo, v22, 4
	v_add_co_ci_u32_e32 v23, vcc_lo, 0, v23, vcc_lo
	s_mov_b32 s13, exec_lo
	s_waitcnt lgkmcnt(0)
	s_delay_alu instid0(VALU_DEP_1)
	v_cmpx_lt_u64_e64 v[0:1], v[22:23]
	s_cbranch_execz .LBB13_178
; %bb.168:                              ;   in Loop: Header=BB13_71 Depth=2
	s_mov_b32 s28, 0
	s_mov_b32 s30, 0
                                        ; implicit-def: $sgpr29
                                        ; implicit-def: $vcc_hi
	s_branch .LBB13_170
.LBB13_169:                             ;   in Loop: Header=BB13_170 Depth=3
	s_or_b32 exec_lo, exec_lo, s34
	s_delay_alu instid0(SALU_CYCLE_1) | instskip(NEXT) | instid1(SALU_CYCLE_1)
	s_and_b32 vcc_lo, exec_lo, vcc_lo
	s_or_b32 s28, vcc_lo, s28
	s_and_not1_b32 s29, s29, exec_lo
	s_and_b32 vcc_lo, vcc_hi, exec_lo
	s_delay_alu instid0(SALU_CYCLE_1)
	s_or_b32 s29, s29, vcc_lo
	s_and_not1_b32 exec_lo, exec_lo, s28
	s_cbranch_execz .LBB13_176
.LBB13_170:                             ;   Parent Loop BB13_4 Depth=1
                                        ;     Parent Loop BB13_71 Depth=2
                                        ; =>    This Inner Loop Header: Depth=3
	s_add_i32 s30, s30, 1
                                        ; implicit-def: $sgpr34
	s_delay_alu instid0(SALU_CYCLE_1) | instskip(SKIP_1) | instid1(SALU_CYCLE_1)
	s_cmpk_lg_i32 s30, 0x2710
	s_cselect_b32 s31, -1, 0
	s_and_b32 vcc_lo, exec_lo, s31
	s_cbranch_vccz .LBB13_174
.LBB13_171:                             ;   in Loop: Header=BB13_170 Depth=3
	s_and_not1_b32 vcc_hi, vcc_hi, exec_lo
	s_and_b32 s34, s34, exec_lo
	s_mov_b32 vcc_lo, -1
	s_or_b32 vcc_hi, vcc_hi, s34
	s_and_saveexec_b32 s34, s31
	s_cbranch_execz .LBB13_169
; %bb.172:                              ;   in Loop: Header=BB13_170 Depth=3
	s_sleep 1
	s_cbranch_execnz .LBB13_521
; %bb.173:                              ;   in Loop: Header=BB13_170 Depth=3
	ds_load_b64 v[0:1], v0
	s_waitcnt lgkmcnt(0)
	v_cmp_ge_u64_e32 vcc_lo, v[0:1], v[22:23]
	s_and_not1_b32 vcc_hi, vcc_hi, exec_lo
	s_or_not1_b32 vcc_lo, vcc_lo, exec_lo
	s_branch .LBB13_169
.LBB13_174:                             ;   in Loop: Header=BB13_170 Depth=3
	s_cbranch_execnz .LBB13_527
; %bb.175:                              ;   in Loop: Header=BB13_170 Depth=3
	ds_load_b64 v[0:1], v0
	s_and_not1_b32 s31, s31, exec_lo
	s_mov_b32 s30, 0
	s_mov_b32 s34, -1
	s_waitcnt lgkmcnt(0)
	flat_load_b32 v0, v[0:1] glc
	s_waitcnt vmcnt(0) lgkmcnt(0)
	buffer_gl1_inv
	buffer_gl0_inv
	v_cmp_eq_u32_e32 vcc_lo, 0, v0
	s_and_b32 vcc_lo, vcc_lo, exec_lo
	s_delay_alu instid0(SALU_CYCLE_1)
	s_or_b32 s31, s31, vcc_lo
	s_branch .LBB13_171
.LBB13_176:                             ;   in Loop: Header=BB13_71 Depth=2
	s_or_b32 exec_lo, exec_lo, s28
	s_and_saveexec_b32 s28, s29
	s_delay_alu instid0(SALU_CYCLE_1)
	s_xor_b32 s28, exec_lo, s28
	s_cbranch_execz .LBB13_178
; %bb.177:                              ;   in Loop: Header=BB13_71 Depth=2
	ds_store_b32 v0, v19
	s_cbranch_execnz .LBB13_537
.LBB13_178:                             ;   in Loop: Header=BB13_71 Depth=2
	s_or_b32 exec_lo, exec_lo, s13
	;;#ASMSTART
	s_wakeup
	;;#ASMEND
.LBB13_179:                             ;   in Loop: Header=BB13_71 Depth=2
	s_or_b32 exec_lo, exec_lo, s12
.LBB13_180:                             ;   in Loop: Header=BB13_71 Depth=2
	s_and_not1_saveexec_b32 s11, s11
	s_cbranch_execz .LBB13_182
; %bb.181:                              ;   in Loop: Header=BB13_71 Depth=2
	s_waitcnt lgkmcnt(0)
	s_waitcnt_vscnt null, 0x0
	buffer_gl1_inv
	buffer_gl0_inv
	s_barrier
.LBB13_182:                             ;   in Loop: Header=BB13_71 Depth=2
	s_or_b32 exec_lo, exec_lo, s11
	ds_load_b32 v5, v0 offset:4
	ds_load_2addr_b64 v[0:3], v0 offset0:17 offset1:26
	s_cbranch_execnz .LBB13_497
; %bb.183:                              ;   in Loop: Header=BB13_71 Depth=2
	s_waitcnt lgkmcnt(0)
	ds_load_b32 v4, v0
	s_mov_b32 s11, -1
	s_and_saveexec_b32 s12, s8
	s_cbranch_execz .LBB13_185
; %bb.184:                              ;   in Loop: Header=BB13_71 Depth=2
	ds_load_b32 v6, v0 offset:584
	s_waitcnt lgkmcnt(0)
	v_and_b32_e32 v6, 15, v6
	s_delay_alu instid0(VALU_DEP_1)
	v_cmp_eq_u32_e32 vcc_lo, 0, v6
	s_or_not1_b32 s11, vcc_lo, exec_lo
.LBB13_185:                             ;   in Loop: Header=BB13_71 Depth=2
	s_or_b32 exec_lo, exec_lo, s12
	v_cmp_gt_i32_e32 vcc_lo, 0, v5
	v_lshrrev_b32_e32 v6, 28, v5
	s_mov_b32 s12, exec_lo
	v_cndmask_b32_e64 v5, 2, 1, vcc_lo
	v_cmp_eq_u64_e32 vcc_lo, v[0:1], v[2:3]
	s_delay_alu instid0(VALU_DEP_3) | instskip(NEXT) | instid1(VALU_DEP_1)
	v_and_b32_e32 v6, 8, v6
	v_add_nc_u32_e32 v87, v0, v6
	s_delay_alu instid0(VALU_DEP_4) | instskip(NEXT) | instid1(VALU_DEP_1)
	v_subrev_co_ci_u32_e32 v96, vcc_lo, 0, v5, vcc_lo
	v_cmpx_lt_i32_e64 v64, v96
	s_cbranch_execz .LBB13_187
; %bb.186:                              ;   in Loop: Header=BB13_71 Depth=2
	s_delay_alu instid0(VALU_DEP_3) | instskip(SKIP_3) | instid1(VALU_DEP_1)
	v_lshl_add_u32 v0, v64, 3, v87
	ds_load_b32 v0, v0 offset:584
	s_waitcnt lgkmcnt(0)
	v_and_b32_e32 v0, 15, v0
	v_cmp_eq_u32_e32 vcc_lo, 0, v0
	s_and_b32 s13, s11, vcc_lo
	s_and_not1_b32 s11, s11, exec_lo
	s_and_b32 s13, s13, exec_lo
	s_delay_alu instid0(SALU_CYCLE_1)
	s_or_b32 s11, s11, s13
.LBB13_187:                             ;   in Loop: Header=BB13_71 Depth=2
	s_or_b32 exec_lo, exec_lo, s12
	s_xor_b32 s11, s11, -1
	v_mov_b32_e32 v6, 0
	v_cndmask_b32_e64 v0, 0, 1, s11
	s_waitcnt lgkmcnt(0)
	v_cmp_eq_u32_e64 s11, 0, v4
	;;#ASMSTART
	;;#ASMEND
	s_delay_alu instid0(VALU_DEP_2) | instskip(NEXT) | instid1(VALU_DEP_2)
	v_cmp_ne_u32_e32 vcc_lo, 0, v0
	v_cndmask_b32_e64 v97, 0, v86, s11
	s_mov_b32 s11, -1
	s_cbranch_vccz .LBB13_189
; %bb.188:                              ;   in Loop: Header=BB13_71 Depth=2
	v_dual_mov_b32 v7, v21 :: v_dual_mov_b32 v4, v55
	s_branch .LBB13_206
.LBB13_189:                             ;   in Loop: Header=BB13_71 Depth=2
	s_delay_alu instid0(VALU_DEP_1) | instskip(SKIP_1) | instid1(VALU_DEP_1)
	v_lshrrev_b32_e32 v0, 11, v97
	s_mov_b32 s13, exec_lo
	v_sub_nc_u32_e32 v98, v0, v55
	s_delay_alu instid0(VALU_DEP_1)
	v_cmpx_lt_i32_e32 0, v98
	s_cbranch_execz .LBB13_195
; %bb.190:                              ;   in Loop: Header=BB13_71 Depth=2
	ds_load_b64 v[32:33], v0 offset:584
	ds_load_b64 v[34:35], v87 offset:584
	v_mov_b32_e32 v36, 0
	v_mov_b32_e32 v37, 0
	v_cmp_lt_u32_e32 vcc_lo, 1, v96
	s_mov_b32 s28, 0
	s_branch .LBB13_192
.LBB13_191:                             ;   in Loop: Header=BB13_192 Depth=3
	s_or_b32 exec_lo, exec_lo, s12
	v_add_co_u32 v36, s11, v36, v53
	v_sub_nc_u32_e32 v98, v98, v20
	v_add_co_ci_u32_e64 v37, s11, v37, v82, s11
	v_add_co_u32 v32, s11, v32, v66
	s_delay_alu instid0(VALU_DEP_1) | instskip(NEXT) | instid1(VALU_DEP_4)
	v_add_co_ci_u32_e64 v33, s11, v33, v67, s11
	v_cmp_gt_i32_e64 s11, 1, v98
	v_add_co_u32 v34, s12, v34, v66
	s_delay_alu instid0(VALU_DEP_1) | instskip(NEXT) | instid1(VALU_DEP_3)
	v_add_co_ci_u32_e64 v35, s12, v35, v67, s12
	s_or_b32 s28, s11, s28
	s_delay_alu instid0(SALU_CYCLE_1)
	s_and_not1_b32 exec_lo, exec_lo, s28
	s_cbranch_execz .LBB13_194
.LBB13_192:                             ;   Parent Loop BB13_4 Depth=1
                                        ;     Parent Loop BB13_71 Depth=2
                                        ; =>    This Inner Loop Header: Depth=3
	s_waitcnt lgkmcnt(1)
	v_add_co_u32 v0, s11, v65, v32
	s_delay_alu instid0(VALU_DEP_1) | instskip(SKIP_2) | instid1(VALU_DEP_1)
	v_add_co_ci_u32_e64 v1, s11, v69, v33, s11
	s_waitcnt lgkmcnt(0)
	v_add_co_u32 v99, s11, v65, v34
	v_add_co_ci_u32_e64 v100, s11, v69, v35, s11
	s_clause 0x3
	global_load_b128 v[12:15], v[0:1], off slc dlc
	global_load_b128 v[8:11], v[0:1], off offset:512 slc dlc
	global_load_b128 v[4:7], v[0:1], off offset:1024 slc dlc
	;; [unrolled: 1-line block ×3, first 2 shown]
	s_waitcnt vmcnt(3)
	global_store_b128 v[99:100], v[12:15], off glc slc dlc
	s_waitcnt vmcnt(2)
	global_store_b128 v[99:100], v[8:11], off offset:512 glc slc dlc
	s_waitcnt vmcnt(1)
	global_store_b128 v[99:100], v[4:7], off offset:1024 glc slc dlc
	;; [unrolled: 2-line block ×3, first 2 shown]
	s_and_saveexec_b32 s12, vcc_lo
	s_cbranch_execz .LBB13_191
; %bb.193:                              ;   in Loop: Header=BB13_192 Depth=3
	ds_load_b64 v[99:100], v87 offset:592
	v_add_co_u32 v101, s11, v65, v36
	s_delay_alu instid0(VALU_DEP_1) | instskip(SKIP_1) | instid1(VALU_DEP_2)
	v_add_co_ci_u32_e64 v102, s11, v69, v37, s11
	s_waitcnt lgkmcnt(0)
	v_add_co_u32 v99, s11, v101, v99
	s_delay_alu instid0(VALU_DEP_1)
	v_add_co_ci_u32_e64 v100, s11, v102, v100, s11
	s_clause 0x3
	global_store_b128 v[99:100], v[12:15], off glc slc dlc
	global_store_b128 v[99:100], v[8:11], off offset:512 glc slc dlc
	global_store_b128 v[99:100], v[4:7], off offset:1024 glc slc dlc
	;; [unrolled: 1-line block ×3, first 2 shown]
	s_branch .LBB13_191
.LBB13_194:                             ;   in Loop: Header=BB13_71 Depth=2
	s_or_b32 exec_lo, exec_lo, s28
.LBB13_195:                             ;   in Loop: Header=BB13_71 Depth=2
	s_delay_alu instid0(SALU_CYCLE_1) | instskip(SKIP_4) | instid1(VALU_DEP_2)
	s_or_b32 exec_lo, exec_lo, s13
	v_and_b32_e32 v0, 0x7ffff800, v97
	v_mov_b32_e32 v6, 0
	s_mov_b32 s11, 0
	s_mov_b32 s28, exec_lo
                                        ; implicit-def: $vgpr7
                                        ; implicit-def: $vgpr4
	v_cmpx_ne_u32_e64 v0, v97
	s_cbranch_execz .LBB13_205
; %bb.196:                              ;   in Loop: Header=BB13_71 Depth=2
	v_lshlrev_b32_e32 v1, 5, v98
	v_bfe_u32 v5, v97, 9, 2
	s_mov_b32 s29, exec_lo
	s_delay_alu instid0(VALU_DEP_2) | instskip(NEXT) | instid1(VALU_DEP_1)
	v_sub_nc_u32_e32 v1, v64, v1
	v_ashrrev_i32_e32 v2, 31, v1
	s_delay_alu instid0(VALU_DEP_1) | instskip(NEXT) | instid1(VALU_DEP_1)
	v_lshrrev_b32_e32 v2, 27, v2
	v_add_nc_u32_e32 v2, v1, v2
	s_delay_alu instid0(VALU_DEP_1) | instskip(SKIP_1) | instid1(VALU_DEP_2)
	v_and_b32_e32 v3, 0xffffffe0, v2
	v_ashrrev_i32_e32 v2, 5, v2
	v_sub_nc_u32_e32 v12, v1, v3
	v_and_b32_e32 v3, 0x7ff, v97
	v_and_b32_e32 v1, 0x600, v97
	s_delay_alu instid0(VALU_DEP_3) | instskip(NEXT) | instid1(VALU_DEP_2)
	v_lshlrev_b32_e32 v4, 4, v12
	v_sub_nc_u32_e32 v13, v3, v1
	s_delay_alu instid0(VALU_DEP_2) | instskip(NEXT) | instid1(VALU_DEP_2)
	v_lshl_add_u32 v1, v2, 9, v4
	v_cmp_lt_i32_e32 vcc_lo, 15, v13
	s_delay_alu instid0(VALU_DEP_2) | instskip(SKIP_1) | instid1(VALU_DEP_1)
	v_sub_nc_u32_e32 v15, v3, v1
	v_add_co_ci_u32_e64 v4, s11, 0, v5, vcc_lo
	v_sub_nc_u32_e32 v14, v4, v2
	s_delay_alu instid0(VALU_DEP_3)
	v_cmpx_lt_i32_e32 15, v15
	s_cbranch_execz .LBB13_202
; %bb.197:                              ;   in Loop: Header=BB13_71 Depth=2
	ds_load_b64 v[4:5], v87 offset:584
	ds_load_b64 v[6:7], v0 offset:584
	v_add_nc_u32_e32 v8, v1, v0
	v_cmp_lt_i32_e64 s11, 1, v96
	s_mov_b32 vcc_hi, 0
	s_delay_alu instid0(VALU_DEP_2) | instskip(NEXT) | instid1(VALU_DEP_1)
	v_ashrrev_i32_e32 v9, 31, v8
	v_dual_mov_b32 v11, v9 :: v_dual_mov_b32 v10, v8
	s_set_inst_prefetch_distance 0x1
	s_branch .LBB13_199
.LBB13_198:                             ;   in Loop: Header=BB13_199 Depth=3
	s_or_b32 exec_lo, exec_lo, s13
	v_sub_nc_u32_e32 v15, v15, v54
	v_add_co_u32 v10, s12, v10, v54
	s_delay_alu instid0(VALU_DEP_1) | instskip(NEXT) | instid1(VALU_DEP_3)
	v_add_co_ci_u32_e64 v11, s12, v11, v83, s12
	v_cmp_gt_i32_e64 s12, 16, v15
	v_add_co_u32 v8, s13, v8, v70
	v_sub_nc_u32_e32 v14, v14, v20
	v_add_co_ci_u32_e64 v9, s13, v9, v71, s13
	s_delay_alu instid0(VALU_DEP_4) | instskip(NEXT) | instid1(SALU_CYCLE_1)
	s_or_b32 vcc_hi, s12, vcc_hi
	s_and_not1_b32 exec_lo, exec_lo, vcc_hi
	s_cbranch_execz .LBB13_201
.LBB13_199:                             ;   Parent Loop BB13_4 Depth=1
                                        ;     Parent Loop BB13_71 Depth=2
                                        ; =>    This Inner Loop Header: Depth=3
	s_waitcnt lgkmcnt(0)
	v_add_co_u32 v0, s12, v6, v8
	s_delay_alu instid0(VALU_DEP_1) | instskip(SKIP_1) | instid1(VALU_DEP_1)
	v_add_co_ci_u32_e64 v1, s12, v7, v9, s12
	v_add_co_u32 v32, s12, v4, v8
	v_add_co_ci_u32_e64 v33, s12, v5, v9, s12
	global_load_b128 v[0:3], v[0:1], off slc dlc
	s_waitcnt vmcnt(0)
	global_store_b128 v[32:33], v[0:3], off glc slc dlc
	s_and_saveexec_b32 s13, s11
	s_cbranch_execz .LBB13_198
; %bb.200:                              ;   in Loop: Header=BB13_199 Depth=3
	ds_load_b64 v[32:33], v87 offset:592
	s_waitcnt lgkmcnt(0)
	v_add_co_u32 v32, s12, v10, v32
	s_delay_alu instid0(VALU_DEP_1)
	v_add_co_ci_u32_e64 v33, s12, v11, v33, s12
	global_store_b128 v[32:33], v[0:3], off glc slc dlc
	s_branch .LBB13_198
.LBB13_201:                             ;   in Loop: Header=BB13_71 Depth=2
	s_set_inst_prefetch_distance 0x2
	s_or_b32 exec_lo, exec_lo, vcc_hi
.LBB13_202:                             ;   in Loop: Header=BB13_71 Depth=2
	s_delay_alu instid0(SALU_CYCLE_1) | instskip(SKIP_3) | instid1(VALU_DEP_1)
	s_or_b32 exec_lo, exec_lo, s29
	v_dual_mov_b32 v6, 0 :: v_dual_and_b32 v1, 15, v97
	s_mov_b32 s12, 0
	s_mov_b32 s13, exec_lo
                                        ; implicit-def: $vgpr7
                                        ; implicit-def: $vgpr4
	v_cndmask_b32_e32 v0, v13, v1, vcc_lo
	s_delay_alu instid0(VALU_DEP_1)
	v_cmpx_ne_u32_e32 0, v0
	s_cbranch_execz .LBB13_204
; %bb.203:                              ;   in Loop: Header=BB13_71 Depth=2
	v_cmp_lt_i32_e64 s11, 0, v14
	v_sub_nc_u32_e32 v1, v13, v1
	v_and_b32_e32 v3, 0x7ffffe00, v97
	s_mov_b32 s12, exec_lo
	s_delay_alu instid0(VALU_DEP_3) | instskip(NEXT) | instid1(VALU_DEP_1)
	v_cndmask_b32_e64 v2, 0, v20, s11
	v_sub_nc_u32_e32 v2, v2, v14
	s_delay_alu instid0(VALU_DEP_1) | instskip(NEXT) | instid1(VALU_DEP_1)
	v_lshl_add_u32 v7, v2, 5, v12
	v_ashrrev_i32_e32 v2, 31, v7
	s_delay_alu instid0(VALU_DEP_1) | instskip(NEXT) | instid1(VALU_DEP_1)
	v_lshrrev_b32_e32 v2, 27, v2
	v_dual_cndmask_b32 v1, 0, v1 :: v_dual_add_nc_u32 v2, v7, v2
	s_delay_alu instid0(VALU_DEP_1) | instskip(NEXT) | instid1(VALU_DEP_2)
	v_add_nc_u32_e32 v6, v1, v3
	v_ashrrev_i32_e32 v4, 5, v2
.LBB13_204:                             ;   in Loop: Header=BB13_71 Depth=2
	s_or_b32 exec_lo, exec_lo, s13
	v_mov_b32_e32 v97, v0
	s_and_b32 s11, s12, exec_lo
.LBB13_205:                             ;   in Loop: Header=BB13_71 Depth=2
	s_or_b32 exec_lo, exec_lo, s28
.LBB13_206:                             ;   in Loop: Header=BB13_71 Depth=2
	s_and_saveexec_b32 s13, s11
	s_cbranch_execz .LBB13_219
; %bb.207:                              ;   in Loop: Header=BB13_71 Depth=2
	v_ashrrev_i32_e32 v0, 31, v97
	s_mov_b32 s28, exec_lo
	s_delay_alu instid0(VALU_DEP_1) | instskip(NEXT) | instid1(VALU_DEP_1)
	v_lshrrev_b32_e32 v0, 23, v0
	v_add_nc_u32_e32 v0, v97, v0
	s_delay_alu instid0(VALU_DEP_1) | instskip(NEXT) | instid1(VALU_DEP_1)
	v_ashrrev_i32_e32 v9, 9, v0
	v_sub_nc_u32_e32 v8, v9, v4
	s_delay_alu instid0(VALU_DEP_1)
	v_cmpx_lt_i32_e32 0, v8
	s_cbranch_execz .LBB13_213
; %bb.208:                              ;   in Loop: Header=BB13_71 Depth=2
	v_ashrrev_i32_e32 v0, 31, v7
	v_lshlrev_b32_e32 v4, 9, v4
	v_cmp_lt_i32_e32 vcc_lo, 1, v96
	s_mov_b32 s29, 0
	s_delay_alu instid0(VALU_DEP_3) | instskip(NEXT) | instid1(VALU_DEP_1)
	v_lshrrev_b32_e32 v0, 27, v0
	v_add_nc_u32_e32 v0, v7, v0
	s_delay_alu instid0(VALU_DEP_1) | instskip(NEXT) | instid1(VALU_DEP_1)
	v_and_b32_e32 v5, 0xffffffe0, v0
	v_sub_nc_u32_e32 v5, v7, v5
	s_delay_alu instid0(VALU_DEP_1)
	v_add3_u32 v10, v5, v4, v6
	v_mov_b32_e32 v4, 0
	v_mov_b32_e32 v5, 0
	ds_load_b64 v[0:1], v0 offset:584
	ds_load_b64 v[2:3], v87 offset:584
	v_ashrrev_i32_e32 v11, 31, v10
	s_branch .LBB13_210
.LBB13_209:                             ;   in Loop: Header=BB13_210 Depth=3
	s_or_b32 exec_lo, exec_lo, s12
	v_add_co_u32 v4, s11, v4, v54
	v_sub_nc_u32_e32 v8, v8, v20
	v_add_co_ci_u32_e64 v5, s11, v5, v83, s11
	v_add_co_u32 v0, s11, v0, v70
	s_delay_alu instid0(VALU_DEP_1) | instskip(NEXT) | instid1(VALU_DEP_4)
	v_add_co_ci_u32_e64 v1, s11, v1, v71, s11
	v_cmp_gt_i32_e64 s11, 1, v8
	v_add_co_u32 v2, s12, v2, v70
	s_delay_alu instid0(VALU_DEP_1) | instskip(NEXT) | instid1(VALU_DEP_3)
	v_add_co_ci_u32_e64 v3, s12, v3, v71, s12
	s_or_b32 s29, s11, s29
	s_delay_alu instid0(SALU_CYCLE_1)
	s_and_not1_b32 exec_lo, exec_lo, s29
	s_cbranch_execz .LBB13_212
.LBB13_210:                             ;   Parent Loop BB13_4 Depth=1
                                        ;     Parent Loop BB13_71 Depth=2
                                        ; =>    This Inner Loop Header: Depth=3
	s_waitcnt lgkmcnt(1)
	v_add_co_u32 v112, s11, v10, v0
	s_delay_alu instid0(VALU_DEP_1)
	v_add_co_ci_u32_e64 v113, s11, v11, v1, s11
	s_clause 0xf
	flat_load_u8 v12, v[112:113] slc dlc
	flat_load_u8 v13, v[112:113] offset:32 slc dlc
	flat_load_u8 v14, v[112:113] offset:64 slc dlc
	;; [unrolled: 1-line block ×15, first 2 shown]
	s_waitcnt lgkmcnt(16)
	v_add_co_u32 v112, s11, v10, v2
	s_delay_alu instid0(VALU_DEP_1)
	v_add_co_ci_u32_e64 v113, s11, v11, v3, s11
	s_waitcnt vmcnt(15) lgkmcnt(15)
	flat_store_b8 v[112:113], v12 glc slc dlc
	s_waitcnt vmcnt(14) lgkmcnt(15)
	flat_store_b8 v[112:113], v13 offset:32 glc slc dlc
	s_waitcnt vmcnt(13) lgkmcnt(15)
	flat_store_b8 v[112:113], v14 offset:64 glc slc dlc
	;; [unrolled: 2-line block ×15, first 2 shown]
	s_and_saveexec_b32 s12, vcc_lo
	s_cbranch_execz .LBB13_209
; %bb.211:                              ;   in Loop: Header=BB13_210 Depth=3
	ds_load_b64 v[112:113], v87 offset:592
	v_add_co_u32 v114, s11, v10, v4
	s_delay_alu instid0(VALU_DEP_1) | instskip(SKIP_1) | instid1(VALU_DEP_2)
	v_add_co_ci_u32_e64 v115, s11, v11, v5, s11
	s_waitcnt lgkmcnt(0)
	v_add_co_u32 v112, s11, v114, v112
	s_delay_alu instid0(VALU_DEP_1)
	v_add_co_ci_u32_e64 v113, s11, v115, v113, s11
	s_clause 0xf
	flat_store_b8 v[112:113], v12 glc slc dlc
	flat_store_b8 v[112:113], v13 offset:32 glc slc dlc
	flat_store_b8 v[112:113], v14 offset:64 glc slc dlc
	;; [unrolled: 1-line block ×15, first 2 shown]
	s_branch .LBB13_209
.LBB13_212:                             ;   in Loop: Header=BB13_71 Depth=2
	s_or_b32 exec_lo, exec_lo, s29
.LBB13_213:                             ;   in Loop: Header=BB13_71 Depth=2
	s_delay_alu instid0(SALU_CYCLE_1) | instskip(SKIP_1) | instid1(VALU_DEP_1)
	s_or_b32 exec_lo, exec_lo, s28
	v_lshlrev_b32_e32 v0, 9, v9
	v_cmp_ne_u32_e32 vcc_lo, v97, v0
	s_and_b32 exec_lo, exec_lo, vcc_lo
	s_cbranch_execz .LBB13_219
; %bb.214:                              ;   in Loop: Header=BB13_71 Depth=2
	v_ashrrev_i32_e32 v1, 31, v7
	v_lshlrev_b32_e32 v2, 5, v8
	s_delay_alu instid0(VALU_DEP_2) | instskip(NEXT) | instid1(VALU_DEP_1)
	v_lshrrev_b32_e32 v1, 27, v1
	v_add_nc_u32_e32 v1, v7, v1
	s_delay_alu instid0(VALU_DEP_1) | instskip(NEXT) | instid1(VALU_DEP_1)
	v_and_b32_e32 v1, 0xffffffe0, v1
	v_sub_nc_u32_e32 v1, v7, v1
	s_delay_alu instid0(VALU_DEP_1) | instskip(NEXT) | instid1(VALU_DEP_1)
	v_sub_nc_u32_e32 v1, v1, v2
	v_add_nc_u32_e32 v4, v0, v1
	s_delay_alu instid0(VALU_DEP_1) | instskip(NEXT) | instid1(VALU_DEP_1)
	v_sub_nc_u32_e32 v8, v97, v4
	v_cmp_lt_i32_e32 vcc_lo, 0, v8
	s_and_b32 exec_lo, exec_lo, vcc_lo
	s_cbranch_execz .LBB13_219
; %bb.215:                              ;   in Loop: Header=BB13_71 Depth=2
	ds_load_b64 v[0:1], v87 offset:584
	v_add_nc_u32_e32 v4, v4, v6
	v_cmp_lt_i32_e32 vcc_lo, 1, v96
	s_mov_b32 s28, 0
	s_delay_alu instid0(VALU_DEP_2) | instskip(NEXT) | instid1(VALU_DEP_1)
	v_ashrrev_i32_e32 v5, 31, v4
	v_dual_mov_b32 v7, v5 :: v_dual_mov_b32 v6, v4
	s_waitcnt lgkmcnt(0)
	ds_load_b64 v[2:3], v0 offset:584
	s_set_inst_prefetch_distance 0x1
	s_branch .LBB13_217
.LBB13_216:                             ;   in Loop: Header=BB13_217 Depth=3
	s_or_b32 exec_lo, exec_lo, s12
	v_sub_nc_u32_e32 v8, v8, v51
	v_add_co_u32 v6, s11, v6, v51
	s_delay_alu instid0(VALU_DEP_1) | instskip(NEXT) | instid1(VALU_DEP_3)
	v_add_co_ci_u32_e64 v7, s11, v7, v84, s11
	v_cmp_gt_i32_e64 s11, 1, v8
	v_add_co_u32 v4, s12, v4, v80
	s_delay_alu instid0(VALU_DEP_1) | instskip(NEXT) | instid1(VALU_DEP_3)
	v_add_co_ci_u32_e64 v5, s12, v5, v81, s12
	s_or_b32 s28, s11, s28
	s_delay_alu instid0(SALU_CYCLE_1)
	s_and_not1_b32 exec_lo, exec_lo, s28
	s_cbranch_execz .LBB13_219
.LBB13_217:                             ;   Parent Loop BB13_4 Depth=1
                                        ;     Parent Loop BB13_71 Depth=2
                                        ; =>    This Inner Loop Header: Depth=3
	s_waitcnt lgkmcnt(0)
	v_add_co_u32 v9, s11, v2, v4
	s_delay_alu instid0(VALU_DEP_1) | instskip(SKIP_2) | instid1(VALU_DEP_1)
	v_add_co_ci_u32_e64 v10, s11, v3, v5, s11
	flat_load_u8 v9, v[9:10] slc dlc
	v_add_co_u32 v10, s11, v0, v4
	v_add_co_ci_u32_e64 v11, s11, v1, v5, s11
	s_waitcnt vmcnt(0) lgkmcnt(0)
	flat_store_b8 v[10:11], v9 glc slc dlc
	s_and_saveexec_b32 s12, vcc_lo
	s_cbranch_execz .LBB13_216
; %bb.218:                              ;   in Loop: Header=BB13_217 Depth=3
	ds_load_b64 v[10:11], v87 offset:592
	s_waitcnt lgkmcnt(0)
	v_add_co_u32 v10, s11, v6, v10
	s_delay_alu instid0(VALU_DEP_1)
	v_add_co_ci_u32_e64 v11, s11, v7, v11, s11
	flat_store_b8 v[10:11], v9 glc slc dlc
	s_branch .LBB13_216
.LBB13_219:                             ;   in Loop: Header=BB13_71 Depth=2
	s_set_inst_prefetch_distance 0x2
	s_or_b32 exec_lo, exec_lo, s13
	v_and_b32_e32 v0, 16, v17
	v_cmp_ne_u32_e32 vcc_lo, 0, v29
	s_delay_alu instid0(VALU_DEP_2)
	v_cmp_ne_u32_e64 s11, 0, v0
	s_and_b32 s12, vcc_lo, s27
	s_delay_alu instid0(VALU_DEP_1) | instid1(SALU_CYCLE_1)
	s_and_b32 s12, s12, s11
	s_delay_alu instid0(SALU_CYCLE_1)
	s_and_saveexec_b32 s11, s12
	s_cbranch_execz .LBB13_223
; %bb.220:                              ;   in Loop: Header=BB13_71 Depth=2
	flat_load_b64 v[0:1], v[26:27] offset:16
	s_mov_b32 s13, exec_lo
	s_waitcnt vmcnt(0) lgkmcnt(0)
	v_cmpx_ne_u64_e32 0, v[0:1]
	s_cbranch_execz .LBB13_222
; %bb.221:                              ;   in Loop: Header=BB13_71 Depth=2
	ds_load_b32 v2, v0 offset:12
	v_and_b32_e32 v3, 7, v24
	s_delay_alu instid0(VALU_DEP_1) | instskip(SKIP_2) | instid1(VALU_DEP_1)
	v_mad_u64_u32 v[4:5], null, v3, 24, v[0:1]
	s_waitcnt lgkmcnt(0)
	v_add_nc_u32_e32 v2, v2, v86
	v_ashrrev_i32_e32 v3, 31, v2
	flat_store_b64 v[4:5], v[2:3] offset:8
.LBB13_222:                             ;   in Loop: Header=BB13_71 Depth=2
	s_or_b32 exec_lo, exec_lo, s13
	flat_load_b64 v[0:1], v[26:27] offset:8
	v_add_co_u32 v24, vcc_lo, v24, 1
	v_add_co_ci_u32_e32 v25, vcc_lo, 0, v25, vcc_lo
	flat_store_b64 v[26:27], v[24:25]
	s_waitcnt vmcnt(0) lgkmcnt(1)
	flat_store_b64 v[0:1], v[24:25] offset:104 glc slc dlc
.LBB13_223:                             ;   in Loop: Header=BB13_71 Depth=2
	s_or_b32 exec_lo, exec_lo, s11
	v_and_b32_e32 v0, 32, v17
	v_cmp_ne_u32_e32 vcc_lo, 0, v28
	s_delay_alu instid0(VALU_DEP_2)
	v_cmp_ne_u32_e64 s11, 0, v0
	s_and_b32 s13, s26, vcc_lo
	s_delay_alu instid0(VALU_DEP_1) | instid1(SALU_CYCLE_1)
	s_and_b32 s13, s13, s11
	s_delay_alu instid0(SALU_CYCLE_1)
	s_and_saveexec_b32 s11, s13
	s_cbranch_execz .LBB13_225
; %bb.224:                              ;   in Loop: Header=BB13_71 Depth=2
	flat_load_b64 v[0:1], v[26:27] offset:8
	v_add_co_u32 v24, vcc_lo, v24, 1
	v_add_co_ci_u32_e32 v25, vcc_lo, 0, v25, vcc_lo
	flat_store_b64 v[26:27], v[24:25]
	s_waitcnt vmcnt(0) lgkmcnt(1)
	flat_store_b64 v[0:1], v[24:25] offset:104 glc slc dlc
.LBB13_225:                             ;   in Loop: Header=BB13_71 Depth=2
	s_or_b32 exec_lo, exec_lo, s11
	ds_load_b32 v0, v0
	s_mov_b32 s11, exec_lo
	s_waitcnt lgkmcnt(0)
	v_cmpx_lt_i32_e32 -1, v0
	s_xor_b32 s11, exec_lo, s11
	s_cbranch_execz .LBB13_229
; %bb.226:                              ;   in Loop: Header=BB13_71 Depth=2
	v_and_b32_e32 v0, 4, v17
	s_mov_b32 s26, exec_lo
	s_delay_alu instid0(VALU_DEP_1)
	v_cmpx_ne_u32_e32 0, v0
	s_cbranch_execz .LBB13_228
; %bb.227:                              ;   in Loop: Header=BB13_71 Depth=2
	flat_load_b32 v4, v[26:27] offset:64
	ds_load_2addr_b32 v[0:1], v0 offset0:2 offset1:4
	s_waitcnt lgkmcnt(0)
	v_add_nc_u32_e32 v2, v0, v86
	v_ashrrev_i32_e32 v0, 31, v1
	v_add_co_u32 v6, vcc_lo, v24, v1
	s_delay_alu instid0(VALU_DEP_3) | instskip(NEXT) | instid1(VALU_DEP_3)
	v_ashrrev_i32_e32 v3, 31, v2
	v_add_co_ci_u32_e32 v7, vcc_lo, v25, v0, vcc_lo
	s_waitcnt vmcnt(0)
	v_ashrrev_i32_e32 v5, 31, v4
	s_delay_alu instid0(VALU_DEP_3) | instskip(NEXT) | instid1(VALU_DEP_3)
	v_mad_u64_u32 v[0:1], null, v6, v4, v[2:3]
	v_mul_lo_u32 v3, v7, v4
	s_delay_alu instid0(VALU_DEP_3) | instskip(NEXT) | instid1(VALU_DEP_1)
	v_mul_lo_u32 v2, v6, v5
	v_add3_u32 v1, v3, v1, v2
	flat_atomic_max_i64 v[26:27], v[0:1] offset:56
.LBB13_228:                             ;   in Loop: Header=BB13_71 Depth=2
	s_or_b32 exec_lo, exec_lo, s26
                                        ; implicit-def: $vgpr30_vgpr31
.LBB13_229:                             ;   in Loop: Header=BB13_71 Depth=2
	s_and_not1_saveexec_b32 s26, s11
	s_cbranch_execz .LBB13_236
; %bb.230:                              ;   in Loop: Header=BB13_71 Depth=2
	s_and_saveexec_b32 s27, s10
	s_cbranch_execz .LBB13_235
; %bb.231:                              ;   in Loop: Header=BB13_71 Depth=2
	s_mov_b32 s28, exec_lo
	s_mov_b64 s[10:11], s[14:15]
.LBB13_232:                             ;   Parent Loop BB13_4 Depth=1
                                        ;     Parent Loop BB13_71 Depth=2
                                        ; =>    This Inner Loop Header: Depth=3
	s_ctz_i32_b32 s29, s28
	s_delay_alu instid0(SALU_CYCLE_1) | instskip(SKIP_1) | instid1(VALU_DEP_1)
	v_readlane_b32 vcc_hi, v31, s29
	v_readlane_b32 vcc_lo, v30, s29
	v_cmp_gt_i64_e64 s30, s[10:11], vcc
	s_delay_alu instid0(VALU_DEP_1) | instskip(SKIP_3) | instid1(SALU_CYCLE_1)
	s_and_b32 s30, s30, exec_lo
	s_cselect_b32 s11, s11, vcc_hi
	s_cselect_b32 s10, s10, vcc_lo
	s_lshl_b32 s29, 1, s29
	s_and_not1_b32 s28, s28, s29
	s_delay_alu instid0(SALU_CYCLE_1)
	s_cmp_lg_u32 s28, 0
	s_cbranch_scc1 .LBB13_232
; %bb.233:                              ;   in Loop: Header=BB13_71 Depth=2
	v_mbcnt_lo_u32_b32 v0, exec_lo, 0
	s_mov_b32 s28, exec_lo
	s_delay_alu instid0(VALU_DEP_1)
	v_cmpx_eq_u32_e32 0, v0
	s_xor_b32 s28, exec_lo, s28
	s_cbranch_execz .LBB13_235
; %bb.234:                              ;   in Loop: Header=BB13_71 Depth=2
	v_dual_mov_b32 v0, s10 :: v_dual_mov_b32 v1, s11
	ds_max_i64 v0, v[0:1]
	s_cbranch_execnz .LBB13_523
.LBB13_235:                             ;   in Loop: Header=BB13_71 Depth=2
	s_or_b32 exec_lo, exec_lo, s27
.LBB13_236:                             ;   in Loop: Header=BB13_71 Depth=2
	s_delay_alu instid0(SALU_CYCLE_1) | instskip(SKIP_1) | instid1(SALU_CYCLE_1)
	s_or_b32 exec_lo, exec_lo, s26
	s_and_saveexec_b32 s10, s6
	s_xor_b32 s10, exec_lo, s10
	s_cbranch_execz .LBB13_254
; %bb.237:                              ;   in Loop: Header=BB13_71 Depth=2
	s_and_saveexec_b32 s11, s7
	s_cbranch_execz .LBB13_253
; %bb.238:                              ;   in Loop: Header=BB13_71 Depth=2
	s_mov_b32 s27, exec_lo
	s_mov_b32 s26, exec_lo
	v_mbcnt_lo_u32_b32 v0, s27, 0
	s_waitcnt lgkmcnt(0)
	s_waitcnt_vscnt null, 0x0
	buffer_gl1_inv
	buffer_gl0_inv
	v_cmpx_eq_u32_e32 0, v0
	s_cbranch_execz .LBB13_240
; %bb.239:                              ;   in Loop: Header=BB13_71 Depth=2
	s_bcnt1_i32_b32 s27, s27
	s_delay_alu instid0(SALU_CYCLE_1)
	v_dual_mov_b32 v1, v16 :: v_dual_mov_b32 v0, s27
	ds_add_u64 v0, v[0:1]
	s_cbranch_execnz .LBB13_525
.LBB13_240:                             ;   in Loop: Header=BB13_71 Depth=2
	s_or_b32 exec_lo, exec_lo, s26
	s_cbranch_execnz .LBB13_519
; %bb.241:                              ;   in Loop: Header=BB13_71 Depth=2
	ds_load_b64 v[0:1], v0
	v_add_co_u32 v22, vcc_lo, v22, 4
	v_add_co_ci_u32_e32 v23, vcc_lo, 0, v23, vcc_lo
	s_mov_b32 s26, exec_lo
	s_waitcnt lgkmcnt(0)
	s_delay_alu instid0(VALU_DEP_1)
	v_cmpx_lt_u64_e64 v[0:1], v[22:23]
	s_cbranch_execz .LBB13_252
; %bb.242:                              ;   in Loop: Header=BB13_71 Depth=2
	s_mov_b32 s27, 0
	s_mov_b32 vcc_hi, 0
                                        ; implicit-def: $sgpr28
                                        ; implicit-def: $sgpr29
	s_branch .LBB13_244
.LBB13_243:                             ;   in Loop: Header=BB13_244 Depth=3
	s_or_b32 exec_lo, exec_lo, s31
	s_delay_alu instid0(SALU_CYCLE_1) | instskip(NEXT) | instid1(SALU_CYCLE_1)
	s_and_b32 vcc_lo, exec_lo, vcc_lo
	s_or_b32 s27, vcc_lo, s27
	s_and_not1_b32 s28, s28, exec_lo
	s_and_b32 vcc_lo, s29, exec_lo
	s_delay_alu instid0(SALU_CYCLE_1)
	s_or_b32 s28, s28, vcc_lo
	s_and_not1_b32 exec_lo, exec_lo, s27
	s_cbranch_execz .LBB13_250
.LBB13_244:                             ;   Parent Loop BB13_4 Depth=1
                                        ;     Parent Loop BB13_71 Depth=2
                                        ; =>    This Inner Loop Header: Depth=3
	s_add_i32 vcc_hi, vcc_hi, 1
                                        ; implicit-def: $sgpr31
	s_delay_alu instid0(SALU_CYCLE_1) | instskip(SKIP_1) | instid1(SALU_CYCLE_1)
	s_cmpk_lg_i32 vcc_hi, 0x2710
	s_cselect_b32 s30, -1, 0
	s_and_b32 vcc_lo, exec_lo, s30
	s_cbranch_vccz .LBB13_248
.LBB13_245:                             ;   in Loop: Header=BB13_244 Depth=3
	s_and_not1_b32 s29, s29, exec_lo
	s_and_b32 s31, s31, exec_lo
	s_mov_b32 vcc_lo, -1
	s_or_b32 s29, s29, s31
	s_and_saveexec_b32 s31, s30
	s_cbranch_execz .LBB13_243
; %bb.246:                              ;   in Loop: Header=BB13_244 Depth=3
	s_sleep 1
	s_cbranch_execnz .LBB13_529
; %bb.247:                              ;   in Loop: Header=BB13_244 Depth=3
	ds_load_b64 v[0:1], v0
	s_and_not1_b32 s29, s29, exec_lo
	s_waitcnt lgkmcnt(0)
	v_cmp_ge_u64_e32 vcc_lo, v[0:1], v[22:23]
	s_or_not1_b32 vcc_lo, vcc_lo, exec_lo
	s_branch .LBB13_243
.LBB13_248:                             ;   in Loop: Header=BB13_244 Depth=3
	s_cbranch_execnz .LBB13_539
; %bb.249:                              ;   in Loop: Header=BB13_244 Depth=3
	ds_load_b64 v[0:1], v0
	s_and_not1_b32 s30, s30, exec_lo
	s_mov_b32 s31, -1
	s_waitcnt lgkmcnt(0)
	flat_load_b32 v0, v[0:1] glc
	s_waitcnt vmcnt(0) lgkmcnt(0)
	buffer_gl1_inv
	buffer_gl0_inv
	v_cmp_eq_u32_e32 vcc_lo, 0, v0
	s_mov_b32 vcc_hi, 0
	s_and_b32 vcc_lo, vcc_lo, exec_lo
	s_delay_alu instid0(SALU_CYCLE_1)
	s_or_b32 s30, s30, vcc_lo
	s_branch .LBB13_245
.LBB13_250:                             ;   in Loop: Header=BB13_71 Depth=2
	s_or_b32 exec_lo, exec_lo, s27
	s_and_saveexec_b32 s27, s28
	s_delay_alu instid0(SALU_CYCLE_1)
	s_xor_b32 s27, exec_lo, s27
	s_cbranch_execz .LBB13_252
; %bb.251:                              ;   in Loop: Header=BB13_71 Depth=2
	ds_store_b32 v0, v19
	s_cbranch_execnz .LBB13_541
.LBB13_252:                             ;   in Loop: Header=BB13_71 Depth=2
	s_or_b32 exec_lo, exec_lo, s26
	;;#ASMSTART
	s_wakeup
	;;#ASMEND
.LBB13_253:                             ;   in Loop: Header=BB13_71 Depth=2
	s_or_b32 exec_lo, exec_lo, s11
.LBB13_254:                             ;   in Loop: Header=BB13_71 Depth=2
	s_and_not1_saveexec_b32 s10, s10
	s_cbranch_execz .LBB13_262
; %bb.255:                              ;   in Loop: Header=BB13_71 Depth=2
	s_waitcnt lgkmcnt(0)
	s_waitcnt_vscnt null, 0x0
	buffer_gl1_inv
	buffer_gl0_inv
	s_barrier
	s_or_b32 exec_lo, exec_lo, s10
	s_and_saveexec_b32 s10, s12
	s_cbranch_execnz .LBB13_263
.LBB13_256:                             ;   in Loop: Header=BB13_71 Depth=2
	s_or_b32 exec_lo, exec_lo, s10
	s_and_saveexec_b32 s10, s13
	s_cbranch_execz .LBB13_258
.LBB13_257:                             ;   in Loop: Header=BB13_71 Depth=2
	flat_load_b64 v[0:1], v[26:27] offset:32
	s_waitcnt vmcnt(0) lgkmcnt(0)
	flat_store_b64 v[0:1], v[24:25] glc slc dlc
.LBB13_258:                             ;   in Loop: Header=BB13_71 Depth=2
	s_or_b32 exec_lo, exec_lo, s10
.LBB13_259:                             ;   in Loop: Header=BB13_71 Depth=2
	s_delay_alu instid0(SALU_CYCLE_1)
	s_or_b32 exec_lo, exec_lo, s25
	s_and_saveexec_b32 s10, s9
	s_cbranch_execz .LBB13_261
; %bb.260:                              ;   in Loop: Header=BB13_71 Depth=2
	ds_store_b32 v0, v16 offset:36
.LBB13_261:                             ;   in Loop: Header=BB13_71 Depth=2
	s_or_b32 exec_lo, exec_lo, s10
	s_waitcnt lgkmcnt(0)
	v_cmp_ne_u32_e32 vcc_lo, 0, v85
	v_add_nc_u32_e32 v52, v52, v68
	s_or_b32 s24, vcc_lo, s24
	s_delay_alu instid0(SALU_CYCLE_1)
	s_and_not1_b32 exec_lo, exec_lo, s24
	s_cbranch_execnz .LBB13_71
	s_branch .LBB13_264
.LBB13_262:                             ;   in Loop: Header=BB13_71 Depth=2
	s_or_b32 exec_lo, exec_lo, s10
	s_and_saveexec_b32 s10, s12
	s_cbranch_execz .LBB13_256
.LBB13_263:                             ;   in Loop: Header=BB13_71 Depth=2
	flat_load_b64 v[0:1], v[26:27] offset:40
	s_waitcnt vmcnt(0) lgkmcnt(0)
	flat_store_b64 v[0:1], v[24:25] glc slc dlc
	s_or_b32 exec_lo, exec_lo, s10
	s_and_saveexec_b32 s10, s13
	s_cbranch_execnz .LBB13_257
	s_branch .LBB13_258
.LBB13_264:                             ;   in Loop: Header=BB13_4 Depth=1
	s_or_b32 exec_lo, exec_lo, s24
	v_and_b32_e32 v0, 0x800, v17
	s_delay_alu instid0(VALU_DEP_1)
	v_cmp_eq_u32_e32 vcc_lo, 0, v0
	s_and_b32 exec_lo, exec_lo, vcc_lo
	s_cbranch_execz .LBB13_297
; %bb.265:                              ;   in Loop: Header=BB13_4 Depth=1
	v_and_b32_e32 v0, 48, v17
	s_mov_b32 s8, exec_lo
	s_delay_alu instid0(VALU_DEP_1)
	v_cmpx_ne_u32_e32 0, v0
	s_cbranch_execz .LBB13_267
; %bb.266:                              ;   in Loop: Header=BB13_4 Depth=1
	v_mov_b32_e32 v0, 0x68
	v_mov_b32_e32 v1, 0
	flat_store_b64 v[0:1], v[24:25]
.LBB13_267:                             ;   in Loop: Header=BB13_4 Depth=1
	s_or_b32 exec_lo, exec_lo, s8
	v_and_b32_e32 v0, 0x88, v17
	s_mov_b32 s8, exec_lo
	s_delay_alu instid0(VALU_DEP_1)
	v_cmpx_eq_u32_e32 0x88, v0
	s_cbranch_execz .LBB13_280
; %bb.268:                              ;   in Loop: Header=BB13_4 Depth=1
	v_add_nc_u32_e32 v0, -1, v24
	s_mov_b32 s9, 0
                                        ; implicit-def: $sgpr10
	s_delay_alu instid0(VALU_DEP_1) | instskip(NEXT) | instid1(VALU_DEP_1)
	v_and_b32_e32 v2, 7, v0
	v_mad_u64_u32 v[0:1], null, v2, 24, 8
	v_mov_b32_e32 v2, 0
	s_branch .LBB13_273
.LBB13_269:                             ;   in Loop: Header=BB13_273 Depth=2
	s_or_b32 exec_lo, exec_lo, s25
	v_mov_b32_e32 v3, 0
	s_or_not1_b32 s24, s24, exec_lo
.LBB13_270:                             ;   in Loop: Header=BB13_273 Depth=2
	s_or_b32 exec_lo, exec_lo, s13
	s_delay_alu instid0(VALU_DEP_1)
	v_mov_b32_e32 v2, v3
	s_and_b32 s13, s24, exec_lo
.LBB13_271:                             ;   in Loop: Header=BB13_273 Depth=2
	s_or_b32 exec_lo, exec_lo, s12
	s_xor_b32 s12, s13, -1
	s_and_not1_b32 s10, s10, exec_lo
	s_and_b32 s12, s12, exec_lo
	s_delay_alu instid0(SALU_CYCLE_1)
	s_or_b32 s10, s10, s12
.LBB13_272:                             ;   in Loop: Header=BB13_273 Depth=2
	s_or_b32 exec_lo, exec_lo, s11
	s_delay_alu instid0(SALU_CYCLE_1) | instskip(NEXT) | instid1(SALU_CYCLE_1)
	s_and_b32 s11, exec_lo, s10
	s_or_b32 s9, s11, s9
	s_delay_alu instid0(SALU_CYCLE_1)
	s_and_not1_b32 exec_lo, exec_lo, s9
	s_cbranch_execz .LBB13_280
.LBB13_273:                             ;   Parent Loop BB13_4 Depth=1
                                        ; =>  This Inner Loop Header: Depth=2
	flat_load_b64 v[3:4], v[0:1] glc dlc
	s_waitcnt vmcnt(0)
	s_or_b32 s10, s10, exec_lo
	s_mov_b32 s11, exec_lo
	s_waitcnt lgkmcnt(0)
	v_cmpx_ne_u64_e32 -1, v[3:4]
	s_cbranch_execz .LBB13_272
; %bb.274:                              ;   in Loop: Header=BB13_273 Depth=2
	v_and_b32_e32 v3, 64, v17
	s_mov_b32 s13, 0
	s_mov_b32 s12, exec_lo
	s_delay_alu instid0(VALU_DEP_1)
	v_cmpx_eq_u32_e32 0, v3
	s_cbranch_execz .LBB13_271
; %bb.275:                              ;   in Loop: Header=BB13_273 Depth=2
	v_add_nc_u32_e32 v3, 1, v2
	s_mov_b32 s24, -1
	s_mov_b32 s13, exec_lo
	v_cmpx_lt_i32_e32 0x270e, v2
	s_cbranch_execz .LBB13_270
; %bb.276:                              ;   in Loop: Header=BB13_273 Depth=2
	s_cbranch_execnz .LBB13_517
; %bb.277:                              ;   in Loop: Header=BB13_273 Depth=2
	ds_load_b64 v[2:3], v0
	s_mov_b32 s25, exec_lo
	s_waitcnt lgkmcnt(0)
	s_waitcnt_vscnt null, 0x0
	flat_load_b32 v2, v[2:3] glc
	s_waitcnt vmcnt(0) lgkmcnt(0)
	buffer_gl1_inv
	buffer_gl0_inv
	v_cmpx_ne_u32_e32 0, v2
	s_cbranch_execz .LBB13_269
; %bb.278:                              ;   in Loop: Header=BB13_273 Depth=2
	ds_store_b32 v0, v2
	s_cbranch_execnz .LBB13_531
; %bb.279:                              ;   in Loop: Header=BB13_273 Depth=2
	v_or_b32_e32 v17, 64, v17
	s_xor_b32 s24, exec_lo, -1
	s_branch .LBB13_269
.LBB13_280:                             ;   in Loop: Header=BB13_4 Depth=1
	s_or_b32 exec_lo, exec_lo, s8
	v_cmp_ne_u32_e32 vcc_lo, 1, v20
	s_and_b32 exec_lo, exec_lo, vcc_lo
	s_cbranch_execz .LBB13_297
; %bb.281:                              ;   in Loop: Header=BB13_4 Depth=1
	s_and_saveexec_b32 s8, s6
	s_delay_alu instid0(SALU_CYCLE_1)
	s_xor_b32 s6, exec_lo, s8
	s_cbranch_execz .LBB13_295
; %bb.282:                              ;   in Loop: Header=BB13_4 Depth=1
	s_and_saveexec_b32 s8, s7
	s_cbranch_execz .LBB13_294
; %bb.283:                              ;   in Loop: Header=BB13_4 Depth=1
	v_mov_b32_e32 v0, 1
	v_mov_b32_e32 v1, 0
	s_waitcnt lgkmcnt(0)
	s_waitcnt_vscnt null, 0x0
	buffer_gl1_inv
	buffer_gl0_inv
	v_ashrrev_i32_e32 v21, 31, v20
	s_mov_b32 s7, exec_lo
	ds_add_u64 v0, v[0:1] offset:272
	ds_load_b64 v[0:1], v0 offset:272
	s_waitcnt lgkmcnt(0)
	v_cmpx_lt_u64_e64 v[0:1], v[20:21]
	s_cbranch_execz .LBB13_293
; %bb.284:                              ;   in Loop: Header=BB13_4 Depth=1
	s_mov_b32 s9, 0
	s_mov_b32 s12, 0
                                        ; implicit-def: $sgpr10
                                        ; implicit-def: $sgpr11
	s_branch .LBB13_286
.LBB13_285:                             ;   in Loop: Header=BB13_286 Depth=2
	s_or_b32 exec_lo, exec_lo, s25
	s_delay_alu instid0(SALU_CYCLE_1) | instskip(NEXT) | instid1(SALU_CYCLE_1)
	s_and_b32 s13, exec_lo, s24
	s_or_b32 s9, s13, s9
	s_and_not1_b32 s10, s10, exec_lo
	s_and_b32 s13, s11, exec_lo
	s_delay_alu instid0(SALU_CYCLE_1)
	s_or_b32 s10, s10, s13
	s_and_not1_b32 exec_lo, exec_lo, s9
	s_cbranch_execz .LBB13_291
.LBB13_286:                             ;   Parent Loop BB13_4 Depth=1
                                        ; =>  This Inner Loop Header: Depth=2
	s_add_i32 s12, s12, 1
                                        ; implicit-def: $sgpr24
	s_delay_alu instid0(SALU_CYCLE_1) | instskip(SKIP_1) | instid1(SALU_CYCLE_1)
	s_cmpk_lg_i32 s12, 0x2710
	s_cselect_b32 s13, -1, 0
	s_and_b32 vcc_lo, exec_lo, s13
	s_cbranch_vccnz .LBB13_289
; %bb.287:                              ;   in Loop: Header=BB13_286 Depth=2
	s_cbranch_execnz .LBB13_543
; %bb.288:                              ;   in Loop: Header=BB13_286 Depth=2
	ds_load_b64 v[0:1], v0
	s_and_not1_b32 s13, s13, exec_lo
	s_mov_b32 s12, 0
	s_mov_b32 s24, -1
	s_waitcnt lgkmcnt(0)
	flat_load_b32 v0, v[0:1] glc
	s_waitcnt vmcnt(0) lgkmcnt(0)
	buffer_gl1_inv
	buffer_gl0_inv
	v_cmp_eq_u32_e32 vcc_lo, 0, v0
	s_and_b32 s25, vcc_lo, exec_lo
	s_delay_alu instid0(SALU_CYCLE_1)
	s_or_b32 s13, s13, s25
.LBB13_289:                             ;   in Loop: Header=BB13_286 Depth=2
	s_and_not1_b32 s11, s11, exec_lo
	s_and_b32 s25, s24, exec_lo
	s_mov_b32 s24, -1
	s_or_b32 s11, s11, s25
	s_and_saveexec_b32 s25, s13
	s_cbranch_execz .LBB13_285
; %bb.290:                              ;   in Loop: Header=BB13_286 Depth=2
	s_sleep 1
	ds_load_b64 v[0:1], v0 offset:272
	s_and_not1_b32 s11, s11, exec_lo
	s_waitcnt lgkmcnt(0)
	v_cmp_ge_u64_e32 vcc_lo, v[0:1], v[20:21]
	s_or_not1_b32 s24, vcc_lo, exec_lo
	s_branch .LBB13_285
.LBB13_291:                             ;   in Loop: Header=BB13_4 Depth=1
	s_or_b32 exec_lo, exec_lo, s9
	s_and_saveexec_b32 s9, s10
	s_delay_alu instid0(SALU_CYCLE_1)
	s_xor_b32 s9, exec_lo, s9
	s_cbranch_execz .LBB13_293
; %bb.292:                              ;   in Loop: Header=BB13_4 Depth=1
	ds_store_b32 v0, v19
	s_cbranch_execnz .LBB13_545
.LBB13_293:                             ;   in Loop: Header=BB13_4 Depth=1
	s_or_b32 exec_lo, exec_lo, s7
	;;#ASMSTART
	s_wakeup
	;;#ASMEND
.LBB13_294:                             ;   in Loop: Header=BB13_4 Depth=1
	s_or_b32 exec_lo, exec_lo, s8
.LBB13_295:                             ;   in Loop: Header=BB13_4 Depth=1
	s_and_not1_saveexec_b32 s6, s6
	s_cbranch_execz .LBB13_297
; %bb.296:                              ;   in Loop: Header=BB13_4 Depth=1
	s_waitcnt lgkmcnt(0)
	s_waitcnt_vscnt null, 0x0
	buffer_gl1_inv
	buffer_gl0_inv
	s_barrier
.LBB13_297:                             ;   in Loop: Header=BB13_4 Depth=1
	s_or_b32 exec_lo, exec_lo, s23
                                        ; implicit-def: $vgpr2_vgpr3
                                        ; implicit-def: $vgpr10
                                        ; implicit-def: $vgpr8_vgpr9
                                        ; implicit-def: $vgpr12_vgpr13
                                        ; implicit-def: $vgpr4_vgpr5
.LBB13_298:                             ;   in Loop: Header=BB13_4 Depth=1
	s_and_not1_saveexec_b32 s6, s22
	s_cbranch_execz .LBB13_422
; %bb.299:                              ;   in Loop: Header=BB13_4 Depth=1
	v_sub_nc_u32_e64 v0, s20, 1 clamp
	v_add_co_u32 v6, vcc_lo, v4, v2
	v_add_co_ci_u32_e32 v7, vcc_lo, v5, v3, vcc_lo
	s_delay_alu instid0(VALU_DEP_3) | instskip(SKIP_2) | instid1(VALU_DEP_3)
	v_readfirstlane_b32 s6, v0
	v_add_co_u32 v8, vcc_lo, v10, v8
	v_add_co_ci_u32_e32 v9, vcc_lo, v11, v9, vcc_lo
	s_clz_i32_u32 s6, s6
	v_and_b32_e32 v0, 0x3ffffe00, v12
	s_sub_i32 s6, 32, s6
	s_clause 0x1
	scratch_store_b128 off, v[4:7], s32
	scratch_store_b64 off, v[8:9], s32 offset:16
	v_mov_b32_e32 v5, s20
	s_lshl_b32 s6, 1, s6
	s_cmp_gt_u32 s20, 1
	v_dual_mov_b32 v4, s21 :: v_dual_mov_b32 v1, v16
	s_cselect_b32 s8, s6, 1
	s_lshr_b32 s6, s20, 31
	v_mov_b32_e32 v6, s8
	s_add_i32 s20, s20, s6
	s_mov_b32 s11, 1
	s_ashr_i32 s6, s20, 1
	s_clause 0x3
	scratch_store_b32 off, v0, s32 offset:24
	scratch_store_b96 off, v[4:6], s32 offset:32
	scratch_store_b32 off, v6, s32 offset:68
	scratch_store_b64 off, v[18:19], s32 offset:52
	s_branch .LBB13_301
.LBB13_300:                             ;   in Loop: Header=BB13_301 Depth=2
	s_and_not1_b32 vcc_lo, exec_lo, s12
	s_cbranch_vccz .LBB13_305
.LBB13_301:                             ;   Parent Loop BB13_4 Depth=1
                                        ; =>  This Inner Loop Header: Depth=2
	s_mov_b32 s7, s11
	s_ashr_i32 s9, s11, 31
	v_mul_hi_u32 v4, v2, s7
	v_mul_lo_u32 v5, v2, s9
	v_mul_lo_u32 v6, v3, s7
	s_mov_b32 s9, s8
	s_delay_alu instid0(VALU_DEP_2) | instskip(SKIP_1) | instid1(VALU_DEP_2)
	v_add_nc_u32_e32 v5, v4, v5
	v_mul_lo_u32 v4, v2, s7
	v_add_nc_u32_e32 v5, v5, v6
	s_delay_alu instid0(VALU_DEP_1)
	v_cmp_lt_u64_e32 vcc_lo, v[0:1], v[4:5]
	v_mov_b32_e32 v5, 0
	v_mov_b32_e32 v6, 0
	s_cbranch_vccnz .LBB13_303
; %bb.302:                              ;   in Loop: Header=BB13_301 Depth=2
	v_cvt_f32_u32_e32 v5, v4
	v_sub_nc_u32_e32 v6, 0, v4
	s_delay_alu instid0(VALU_DEP_2) | instskip(SKIP_2) | instid1(VALU_DEP_1)
	v_rcp_iflag_f32_e32 v5, v5
	s_waitcnt_depctr 0xfff
	v_mul_f32_e32 v5, 0x4f7ffffe, v5
	v_cvt_u32_f32_e32 v5, v5
	s_delay_alu instid0(VALU_DEP_1) | instskip(NEXT) | instid1(VALU_DEP_1)
	v_mul_lo_u32 v6, v6, v5
	v_mul_hi_u32 v6, v5, v6
	s_delay_alu instid0(VALU_DEP_1) | instskip(NEXT) | instid1(VALU_DEP_1)
	v_add_nc_u32_e32 v5, v5, v6
	v_mul_hi_u32 v5, v0, v5
	s_delay_alu instid0(VALU_DEP_1) | instskip(SKIP_1) | instid1(VALU_DEP_2)
	v_mul_lo_u32 v6, v5, v4
	v_add_nc_u32_e32 v7, 1, v5
	v_sub_nc_u32_e32 v6, v0, v6
	s_delay_alu instid0(VALU_DEP_1) | instskip(SKIP_1) | instid1(VALU_DEP_2)
	v_sub_nc_u32_e32 v8, v6, v4
	v_cmp_ge_u32_e32 vcc_lo, v6, v4
	v_dual_cndmask_b32 v6, v6, v8 :: v_dual_cndmask_b32 v5, v5, v7
	s_delay_alu instid0(VALU_DEP_1) | instskip(NEXT) | instid1(VALU_DEP_2)
	v_cmp_ge_u32_e32 vcc_lo, v6, v4
	v_dual_mov_b32 v6, v16 :: v_dual_add_nc_u32 v7, 1, v5
	s_delay_alu instid0(VALU_DEP_1)
	v_cndmask_b32_e32 v5, v5, v7, vcc_lo
.LBB13_303:                             ;   in Loop: Header=BB13_301 Depth=2
	s_cmp_lt_i32 s7, s6
	s_delay_alu instid0(VALU_DEP_1) | instskip(SKIP_4) | instid1(SALU_CYCLE_1)
	v_cmp_gt_u64_e32 vcc_lo, 2, v[5:6]
	s_cselect_b32 s10, -1, 0
	s_cmp_ge_i32 s7, s6
	s_mov_b32 s12, -1
	s_cselect_b32 s8, -1, 0
                                        ; implicit-def: $sgpr11
	s_or_b32 s8, s8, vcc_lo
	s_delay_alu instid0(SALU_CYCLE_1)
	s_and_b32 vcc_lo, exec_lo, s8
                                        ; implicit-def: $sgpr8
	s_cbranch_vccnz .LBB13_300
; %bb.304:                              ;   in Loop: Header=BB13_301 Depth=2
	s_lshr_b32 s8, s9, 31
	s_lshl_b32 s11, s7, 1
	s_add_i32 s8, s9, s8
	s_mov_b32 s12, 0
	s_ashr_i32 s8, s8, 1
	s_delay_alu instid0(SALU_CYCLE_1)
	v_dual_mov_b32 v4, s11 :: v_dual_mov_b32 v5, s8
	s_clause 0x1
	scratch_store_b32 off, v4, s32 offset:56
	scratch_store_b32 off, v5, s32 offset:68
	s_branch .LBB13_300
.LBB13_305:                             ;   in Loop: Header=BB13_4 Depth=1
	v_mov_b32_e32 v4, s7
	s_cmp_gt_i32 s7, 3
	s_mov_b32 s8, 4
	scratch_store_b32 off, v4, s32 offset:44
	s_cbranch_scc1 .LBB13_307
; %bb.306:                              ;   in Loop: Header=BB13_4 Depth=1
	v_mov_b32_e32 v4, s7
	s_mov_b32 s8, s7
	scratch_store_b32 off, v4, s32 offset:52
.LBB13_307:                             ;   in Loop: Header=BB13_4 Depth=1
	s_and_not1_b32 vcc_lo, exec_lo, s10
	s_cbranch_vccnz .LBB13_312
; %bb.308:                              ;   in Loop: Header=BB13_4 Depth=1
	s_lshr_b32 s10, s9, 31
	s_delay_alu instid0(SALU_CYCLE_1) | instskip(SKIP_2) | instid1(SALU_CYCLE_1)
	s_add_i32 s11, s9, s10
	s_lshl_b32 s10, s7, 1
	s_ashr_i32 s11, s11, 1
	v_dual_mov_b32 v4, s10 :: v_dual_mov_b32 v5, s11
	s_cmp_ge_i32 s10, s6
	s_clause 0x1
	scratch_store_b32 off, v4, s32 offset:56
	scratch_store_b32 off, v5, s32 offset:68
	s_cbranch_scc1 .LBB13_311
; %bb.309:                              ;   in Loop: Header=BB13_4 Depth=1
	s_ashr_i32 s12, s9, 31
	s_delay_alu instid0(SALU_CYCLE_1) | instskip(NEXT) | instid1(SALU_CYCLE_1)
	s_lshr_b32 s10, s12, 30
	s_add_i32 s11, s9, s10
	s_lshl_b32 s10, s7, 2
	s_ashr_i32 s11, s11, 2
	s_delay_alu instid0(SALU_CYCLE_1)
	v_dual_mov_b32 v4, s10 :: v_dual_mov_b32 v5, s11
	s_cmp_ge_i32 s10, s6
	s_clause 0x1
	scratch_store_b32 off, v4, s32 offset:56
	scratch_store_b32 off, v5, s32 offset:68
	s_cbranch_scc1 .LBB13_311
; %bb.310:                              ;   in Loop: Header=BB13_4 Depth=1
	s_lshr_b32 s6, s12, 29
	s_lshl_b32 s10, s7, 3
	s_add_i32 s6, s9, s6
	s_delay_alu instid0(SALU_CYCLE_1) | instskip(NEXT) | instid1(SALU_CYCLE_1)
	s_ashr_i32 s11, s6, 3
	v_dual_mov_b32 v4, s10 :: v_dual_mov_b32 v5, s11
	s_clause 0x1
	scratch_store_b32 off, v4, s32 offset:56
	scratch_store_b32 off, v5, s32 offset:68
.LBB13_311:                             ;   in Loop: Header=BB13_4 Depth=1
	s_mov_b32 s7, s10
	s_mov_b32 s9, s11
.LBB13_312:                             ;   in Loop: Header=BB13_4 Depth=1
	s_delay_alu instid0(SALU_CYCLE_1) | instskip(NEXT) | instid1(VALU_DEP_1)
	v_sub_nc_u32_e64 v4, s9, 1 clamp
	v_readfirstlane_b32 s6, v4
	s_delay_alu instid0(VALU_DEP_1) | instskip(NEXT) | instid1(SALU_CYCLE_1)
	s_clz_i32_u32 s6, s6
	s_sub_i32 s6, 32, s6
	s_cmp_lt_u32 s9, 2
	s_cselect_b32 s9, -1, 0
	s_delay_alu instid0(SALU_CYCLE_1)
	s_and_b32 vcc_lo, s9, exec_lo
	s_cselect_b32 s9, 0, s6
	v_cmp_lt_i64_e64 s6, v[0:1], v[2:3]
	s_lshr_b32 s10, s7, 31
	v_mov_b32_e32 v3, 0
	s_mov_b32 s12, s9
	s_delay_alu instid0(VALU_DEP_2)
	v_cndmask_b32_e64 v4, v2, v0, s6
	v_mov_b32_e32 v2, s9
	s_add_i32 s6, s7, s10
	s_add_i32 s10, s7, -2
	s_ashr_i32 s6, s6, 1
	s_cmp_lt_u32 s10, -3
	s_cselect_b32 s10, -1, 0
	s_delay_alu instid0(SALU_CYCLE_1) | instskip(SKIP_1) | instid1(SALU_CYCLE_1)
	s_and_b32 s11, s10, exec_lo
	s_cselect_b32 s11, 2, 1
	v_dual_mov_b32 v0, s6 :: v_dual_mov_b32 v1, s11
	s_mov_b32 s11, s19
	s_clause 0x1
	scratch_store_b32 off, v4, s32 offset:28
	scratch_store_b128 off, v[0:3], s32 offset:72
	s_cbranch_vccnz .LBB13_322
.LBB13_313:                             ;   Parent Loop BB13_4 Depth=1
                                        ; =>  This Inner Loop Header: Depth=2
	v_mov_b32_e32 v0, s12
	s_add_i32 s12, s12, -1
	s_clause 0x1
	scratch_store_b32 off, v0, s11 offset:-128
	scratch_store_b32 off, v19, s11
	s_add_i32 s11, s11, 4
	s_cmp_lg_u32 s12, 0
	s_cbranch_scc1 .LBB13_313
; %bb.314:                              ;   in Loop: Header=BB13_4 Depth=1
	v_mov_b32_e32 v3, 0
	s_mov_b32 s11, 0
	s_mov_b32 s12, s19
	s_branch .LBB13_318
.LBB13_315:                             ;   in Loop: Header=BB13_318 Depth=2
	s_or_b32 exec_lo, exec_lo, s22
	v_add_nc_u32_e32 v1, 1, v1
	scratch_store_b32 off, v1, s12
.LBB13_316:                             ;   in Loop: Header=BB13_318 Depth=2
	s_or_b32 exec_lo, exec_lo, s20
	v_mov_b32_e32 v3, v0
.LBB13_317:                             ;   in Loop: Header=BB13_318 Depth=2
	s_or_b32 exec_lo, exec_lo, s13
	s_add_i32 s11, s11, 1
	s_add_i32 s12, s12, 4
	s_cmp_lg_u32 s9, s11
	s_cbranch_scc0 .LBB13_322
.LBB13_318:                             ;   Parent Loop BB13_4 Depth=1
                                        ; =>  This Inner Loop Header: Depth=2
	scratch_load_b32 v0, off, s12 offset:-128
	s_mov_b32 s13, exec_lo
	s_waitcnt vmcnt(0)
	v_add_nc_u32_e32 v0, -1, v0
	scratch_store_b32 off, v0, s12 offset:-128
	v_cmpx_eq_u32_e32 0, v0
	s_cbranch_execz .LBB13_317
; %bb.319:                              ;   in Loop: Header=BB13_318 Depth=2
	s_lshl_b32 s21, 1, s11
	s_mov_b32 s20, exec_lo
	v_dual_mov_b32 v2, s21 :: v_dual_and_b32 v1, s21, v3
	v_xor_b32_e32 v0, s21, v3
	scratch_store_b32 off, v0, s32 offset:84
	scratch_store_b32 off, v2, s12 offset:-128
	v_cmpx_ne_u32_e32 0, v1
	s_cbranch_execz .LBB13_316
; %bb.320:                              ;   in Loop: Header=BB13_318 Depth=2
	scratch_load_b32 v1, off, s12
	s_mov_b32 s22, exec_lo
	s_waitcnt vmcnt(0)
	v_ctz_i32_b32_e32 v2, v1
	v_cmp_eq_u32_e32 vcc_lo, 0, v1
	s_delay_alu instid0(VALU_DEP_2) | instskip(NEXT) | instid1(VALU_DEP_1)
	v_cndmask_b32_e64 v2, v2, s9, vcc_lo
	v_add3_u32 v2, s21, -1, v2
	scratch_store_b32 off, v2, s12 offset:-128
	v_cmpx_eq_u32_e32 0, v2
	s_cbranch_execz .LBB13_315
; %bb.321:                              ;   in Loop: Header=BB13_318 Depth=2
	v_mov_b32_e32 v0, v3
	v_mov_b32_e32 v2, s21
	scratch_store_b32 off, v3, s32 offset:84
	scratch_store_b32 off, v2, s12 offset:-128
	s_branch .LBB13_315
.LBB13_322:                             ;   in Loop: Header=BB13_4 Depth=1
	v_dual_mov_b32 v0, v3 :: v_dual_mov_b32 v1, v16
	s_and_not1_b32 vcc_lo, exec_lo, s10
	scratch_store_b64 off, v[0:1], s32 offset:60
	s_cbranch_vccnz .LBB13_324
; %bb.323:                              ;   in Loop: Header=BB13_4 Depth=1
	s_lshl_b32 s9, s6, 1
	s_ashr_i32 s6, s6, 31
	s_abs_i32 s12, s7
	s_add_i32 s9, s9, s6
	s_ashr_i32 s7, s7, 31
	s_xor_b32 s9, s9, s6
	s_xor_b32 s6, s7, s6
	v_cvt_f32_u32_e32 v0, s9
	s_sub_i32 s11, 0, s9
	s_delay_alu instid0(VALU_DEP_1) | instskip(SKIP_2) | instid1(VALU_DEP_1)
	v_rcp_iflag_f32_e32 v0, v0
	s_waitcnt_depctr 0xfff
	v_mul_f32_e32 v0, 0x4f7ffffe, v0
	v_cvt_u32_f32_e32 v0, v0
	s_delay_alu instid0(VALU_DEP_1) | instskip(NEXT) | instid1(VALU_DEP_1)
	v_readfirstlane_b32 s10, v0
	s_mul_i32 s11, s11, s10
	s_delay_alu instid0(SALU_CYCLE_1) | instskip(NEXT) | instid1(SALU_CYCLE_1)
	s_mul_hi_u32 s11, s10, s11
	s_add_i32 s10, s10, s11
	s_delay_alu instid0(SALU_CYCLE_1) | instskip(NEXT) | instid1(SALU_CYCLE_1)
	s_mul_hi_u32 s10, s12, s10
	s_mul_i32 s11, s10, s9
	s_delay_alu instid0(SALU_CYCLE_1)
	s_sub_i32 s7, s12, s11
	s_add_i32 s11, s10, 1
	s_sub_i32 s12, s7, s9
	s_cmp_ge_u32 s7, s9
	s_cselect_b32 s10, s11, s10
	s_cselect_b32 s7, s12, s7
	s_add_i32 s11, s10, 1
	s_cmp_ge_u32 s7, s9
	s_cselect_b32 s7, s11, s10
	s_delay_alu instid0(SALU_CYCLE_1) | instskip(NEXT) | instid1(SALU_CYCLE_1)
	s_xor_b32 s7, s7, s6
	s_sub_i32 s7, s7, s6
.LBB13_324:                             ;   in Loop: Header=BB13_4 Depth=1
	s_delay_alu instid0(SALU_CYCLE_1)
	v_dual_mov_b32 v0, s7 :: v_dual_mov_b32 v1, s8
	scratch_store_b32 off, v0, s32 offset:48
	ds_store_b32 v0, v1
	s_cbranch_execnz .LBB13_449
; %bb.325:                              ;   in Loop: Header=BB13_4 Depth=1
	s_mov_b32 s9, 0
	s_mov_b32 s10, 0
.LBB13_326:                             ;   Parent Loop BB13_4 Depth=1
                                        ; =>  This Loop Header: Depth=2
                                        ;       Child Loop BB13_327 Depth 3
                                        ;       Child Loop BB13_387 Depth 3
	;; [unrolled: 1-line block ×4, first 2 shown]
	s_cbranch_execnz .LBB13_451
.LBB13_327:                             ;   Parent Loop BB13_4 Depth=1
                                        ;     Parent Loop BB13_326 Depth=2
                                        ; =>    This Inner Loop Header: Depth=3
	ds_load_b32 v0, v0 offset:36
	s_waitcnt lgkmcnt(0)
	v_cmp_ne_u32_e32 vcc_lo, 0, v0
	s_cbranch_vccnz .LBB13_327
; %bb.328:                              ;   in Loop: Header=BB13_326 Depth=2
	s_clause 0x4
	scratch_load_b32 v8, off, s32 offset:76
	scratch_load_b32 v9, off, s32 offset:64
	;; [unrolled: 1-line block ×4, first 2 shown]
	scratch_load_b64 v[4:5], off, s32
	s_mov_b32 s7, -1
	s_mov_b32 s11, exec_lo
	s_waitcnt vmcnt(1)
	ds_store_2addr_b32 v0, v11, v16 offset0:7 offset1:8
	s_waitcnt vmcnt(0)
	ds_store_b64 v0, v[4:5] offset:40
	v_cmpx_lt_i32_e64 v9, v10
	s_cbranch_execz .LBB13_362
; %bb.329:                              ;   in Loop: Header=BB13_326 Depth=2
                                        ; implicit-def: $sgpr6
	s_mov_b32 s7, exec_lo
	v_cmpx_lt_i32_e32 0, v8
	s_xor_b32 s12, exec_lo, s7
	s_cbranch_execz .LBB13_355
; %bb.330:                              ;   in Loop: Header=BB13_326 Depth=2
                                        ; implicit-def: $sgpr13
	s_mov_b32 s6, exec_lo
	v_cmpx_lt_i32_e32 1, v8
	s_xor_b32 s7, exec_lo, s6
	s_cbranch_execz .LBB13_342
; %bb.331:                              ;   in Loop: Header=BB13_326 Depth=2
	s_mov_b32 s6, 0
	s_mov_b32 s8, exec_lo
	v_cmpx_eq_u32_e32 2, v8
	s_cbranch_execz .LBB13_341
; %bb.332:                              ;   in Loop: Header=BB13_326 Depth=2
	s_clause 0x1
	scratch_load_b32 v2, off, s32 offset:44
	scratch_load_b64 v[0:1], off, s32 offset:68
	v_sub_nc_u32_e32 v12, 0, v9
	v_ashrrev_i32_e32 v15, 31, v9
	s_mov_b32 s13, exec_lo
                                        ; implicit-def: $sgpr6
                                        ; implicit-def: $vgpr17
	s_delay_alu instid0(VALU_DEP_2) | instskip(SKIP_2) | instid1(VALU_DEP_1)
	v_max_i32_e32 v12, v9, v12
	s_waitcnt vmcnt(1)
	v_sub_nc_u32_e32 v3, 0, v2
	v_max_i32_e32 v3, v2, v3
	s_delay_alu instid0(VALU_DEP_1) | instskip(SKIP_1) | instid1(VALU_DEP_2)
	v_cvt_f32_u32_e32 v6, v3
	v_sub_nc_u32_e32 v7, 0, v3
	v_rcp_iflag_f32_e32 v6, v6
	s_waitcnt_depctr 0xfff
	v_mul_f32_e32 v6, 0x4f7ffffe, v6
	s_delay_alu instid0(VALU_DEP_1) | instskip(NEXT) | instid1(VALU_DEP_1)
	v_cvt_u32_f32_e32 v6, v6
	v_mul_lo_u32 v7, v7, v6
	s_delay_alu instid0(VALU_DEP_1) | instskip(NEXT) | instid1(VALU_DEP_1)
	v_mul_hi_u32 v7, v6, v7
	v_add_nc_u32_e32 v7, v6, v7
	s_delay_alu instid0(VALU_DEP_1) | instskip(NEXT) | instid1(VALU_DEP_1)
	v_mul_hi_u32 v6, v12, v7
	v_mul_lo_u32 v13, v6, v3
	s_delay_alu instid0(VALU_DEP_1) | instskip(SKIP_1) | instid1(VALU_DEP_2)
	v_sub_nc_u32_e32 v12, v12, v13
	v_add_nc_u32_e32 v13, 1, v6
	v_sub_nc_u32_e32 v14, v12, v3
	v_cmp_ge_u32_e32 vcc_lo, v12, v3
	s_delay_alu instid0(VALU_DEP_2) | instskip(SKIP_1) | instid1(VALU_DEP_2)
	v_dual_cndmask_b32 v12, v12, v14 :: v_dual_cndmask_b32 v13, v6, v13
	v_ashrrev_i32_e32 v6, 31, v2
	v_cmp_ge_u32_e32 vcc_lo, v12, v3
	s_delay_alu instid0(VALU_DEP_3) | instskip(NEXT) | instid1(VALU_DEP_3)
	v_add_nc_u32_e32 v14, 1, v13
	v_xor_b32_e32 v15, v15, v6
	s_delay_alu instid0(VALU_DEP_2) | instskip(SKIP_3) | instid1(VALU_DEP_3)
	v_cndmask_b32_e32 v12, v13, v14, vcc_lo
	s_waitcnt vmcnt(0)
	v_mul_lo_u32 v13, v0, v1
	v_add_nc_u32_e32 v1, -1, v2
	v_xor_b32_e32 v12, v12, v15
	s_delay_alu instid0(VALU_DEP_1) | instskip(SKIP_1) | instid1(VALU_DEP_2)
	v_sub_nc_u32_e32 v14, v12, v15
	v_lshlrev_b32_e32 v12, 1, v9
	v_mul_lo_u32 v15, v14, v2
	s_delay_alu instid0(VALU_DEP_2) | instskip(NEXT) | instid1(VALU_DEP_1)
	v_or_b32_e32 v0, 1, v12
	v_mul_lo_u32 v0, v13, v0
	s_delay_alu instid0(VALU_DEP_3) | instskip(NEXT) | instid1(VALU_DEP_1)
	v_sub_nc_u32_e32 v15, v9, v15
	v_cmpx_ne_u32_e64 v15, v1
	s_xor_b32 s13, exec_lo, s13
	s_cbranch_execz .LBB13_334
; %bb.333:                              ;   in Loop: Header=BB13_326 Depth=2
	scratch_load_b32 v17, off, s32 offset:36
	v_lshl_add_u32 v1, v13, 1, v0
	s_waitcnt vmcnt(0)
	s_delay_alu instid0(VALU_DEP_1)
	v_cmp_ge_i32_e32 vcc_lo, v1, v17
	s_and_b32 s6, vcc_lo, exec_lo
.LBB13_334:                             ;   in Loop: Header=BB13_326 Depth=2
	s_and_not1_saveexec_b32 s13, s13
	s_cbranch_execz .LBB13_336
; %bb.335:                              ;   in Loop: Header=BB13_326 Depth=2
	scratch_load_b32 v17, off, s32 offset:36
	s_or_b32 s6, s6, exec_lo
.LBB13_336:                             ;   in Loop: Header=BB13_326 Depth=2
	s_or_b32 exec_lo, exec_lo, s13
	s_clause 0x2
	scratch_load_b32 v1, off, s32 offset:40
	scratch_load_b32 v22, off, s32 offset:32
	scratch_load_b64 v[20:21], off, s32 offset:16
	s_waitcnt vmcnt(3)
	v_sub_nc_u32_e32 v23, 0, v17
	v_ctz_i32_b32_e32 v25, v0
	v_cmp_eq_u32_e32 vcc_lo, 0, v13
	v_mul_lo_u32 v15, v15, v11
	s_mov_b32 s13, exec_lo
	v_max_i32_e32 v23, v17, v23
                                        ; implicit-def: $sgpr20
	s_delay_alu instid0(VALU_DEP_1) | instskip(SKIP_1) | instid1(VALU_DEP_2)
	v_cvt_f32_u32_e32 v24, v23
	v_sub_nc_u32_e32 v26, 0, v23
	v_rcp_iflag_f32_e32 v24, v24
	s_waitcnt vmcnt(2)
	s_waitcnt_depctr 0xfff
	v_dual_mul_f32 v24, 0x4f7ffffe, v24 :: v_dual_cndmask_b32 v1, v25, v1
	s_delay_alu instid0(VALU_DEP_1) | instskip(NEXT) | instid1(VALU_DEP_1)
	v_cvt_u32_f32_e32 v24, v24
	v_mul_lo_u32 v25, v26, v24
	s_delay_alu instid0(VALU_DEP_3) | instskip(SKIP_1) | instid1(VALU_DEP_1)
	v_lshl_add_u32 v26, -1, v1, v0
	s_waitcnt vmcnt(1)
	v_add3_u32 v22, v26, v17, v22
	s_delay_alu instid0(VALU_DEP_3) | instskip(NEXT) | instid1(VALU_DEP_2)
	v_mul_hi_u32 v25, v24, v25
	v_sub_nc_u32_e32 v27, 0, v22
	s_delay_alu instid0(VALU_DEP_2) | instskip(NEXT) | instid1(VALU_DEP_2)
	v_add_nc_u32_e32 v24, v24, v25
	v_max_i32_e32 v25, v22, v27
	v_ashrrev_i32_e32 v22, 31, v22
	s_delay_alu instid0(VALU_DEP_2) | instskip(NEXT) | instid1(VALU_DEP_1)
	v_mul_hi_u32 v24, v25, v24
	v_mul_lo_u32 v24, v24, v23
	s_delay_alu instid0(VALU_DEP_1) | instskip(NEXT) | instid1(VALU_DEP_1)
	v_sub_nc_u32_e32 v24, v25, v24
	v_sub_nc_u32_e32 v25, v24, v23
	v_cmp_ge_u32_e32 vcc_lo, v24, v23
	s_delay_alu instid0(VALU_DEP_2) | instskip(NEXT) | instid1(VALU_DEP_1)
	v_cndmask_b32_e32 v24, v24, v25, vcc_lo
	v_sub_nc_u32_e32 v25, v24, v23
	v_cmp_ge_u32_e32 vcc_lo, v24, v23
	s_delay_alu instid0(VALU_DEP_2) | instskip(SKIP_2) | instid1(VALU_DEP_3)
	v_cndmask_b32_e32 v23, v24, v25, vcc_lo
	v_cmp_ge_i32_e32 vcc_lo, v0, v17
	v_ctz_i32_b32_e32 v0, v26
	v_xor_b32_e32 v23, v23, v22
	s_delay_alu instid0(VALU_DEP_1) | instskip(NEXT) | instid1(VALU_DEP_1)
	v_sub_nc_u32_e32 v23, v23, v22
	v_ashrrev_i32_e32 v24, 31, v23
	s_waitcnt vmcnt(0)
	v_mul_lo_u32 v25, v21, v23
	v_mad_u64_u32 v[21:22], null, v20, v23, v[4:5]
	v_cndmask_b32_e64 v23, 0, 1, s6
	v_mul_lo_u32 v20, v20, v24
	s_delay_alu instid0(VALU_DEP_1)
	v_add3_u32 v22, v25, v22, v20
	ds_store_2addr_b32 v0, v16, v23 offset0:5 offset1:6
	ds_store_2addr_b32 v0, v15, v14 offset0:3 offset1:4
	ds_store_2addr_b64 v0, v[0:1], v[21:22] offset1:6
	v_cmpx_ne_u32_e32 0, v26
	s_xor_b32 s13, exec_lo, s13
	s_cbranch_execz .LBB13_338
; %bb.337:                              ;   in Loop: Header=BB13_326 Depth=2
	v_mul_lo_u32 v1, v13, v12
	v_add_nc_u32_e32 v0, 1, v0
	s_and_b32 s20, vcc_lo, exec_lo
	s_delay_alu instid0(VALU_DEP_1) | instskip(NEXT) | instid1(VALU_DEP_1)
	v_ashrrev_i32_e32 v0, v0, v1
	v_sub_nc_u32_e32 v1, 0, v0
	s_delay_alu instid0(VALU_DEP_1) | instskip(NEXT) | instid1(VALU_DEP_1)
	v_max_i32_e32 v1, v0, v1
	v_mul_hi_u32 v7, v1, v7
	s_delay_alu instid0(VALU_DEP_1) | instskip(NEXT) | instid1(VALU_DEP_1)
	v_mul_lo_u32 v12, v7, v3
	v_sub_nc_u32_e32 v1, v1, v12
	v_add_nc_u32_e32 v12, 1, v7
	s_delay_alu instid0(VALU_DEP_2) | instskip(SKIP_1) | instid1(VALU_DEP_1)
	v_sub_nc_u32_e32 v13, v1, v3
	v_cmp_ge_u32_e64 s6, v1, v3
	v_cndmask_b32_e64 v7, v7, v12, s6
	s_delay_alu instid0(VALU_DEP_3) | instskip(SKIP_1) | instid1(VALU_DEP_3)
	v_cndmask_b32_e64 v1, v1, v13, s6
	v_ashrrev_i32_e32 v12, 31, v0
	v_add_nc_u32_e32 v13, 1, v7
	s_delay_alu instid0(VALU_DEP_3) | instskip(NEXT) | instid1(VALU_DEP_3)
	v_cmp_ge_u32_e64 s6, v1, v3
	v_xor_b32_e32 v6, v12, v6
	s_delay_alu instid0(VALU_DEP_2) | instskip(NEXT) | instid1(VALU_DEP_1)
	v_cndmask_b32_e64 v1, v7, v13, s6
	v_xor_b32_e32 v1, v1, v6
	s_delay_alu instid0(VALU_DEP_1) | instskip(NEXT) | instid1(VALU_DEP_1)
	v_sub_nc_u32_e32 v1, v1, v6
	v_mul_lo_u32 v2, v1, v2
	s_delay_alu instid0(VALU_DEP_1) | instskip(NEXT) | instid1(VALU_DEP_1)
	v_sub_nc_u32_e32 v0, v0, v2
	v_mul_lo_u32 v0, v0, v11
	ds_store_2addr_b32 v0, v0, v1 offset0:2 offset1:4
.LBB13_338:                             ;   in Loop: Header=BB13_326 Depth=2
	s_and_not1_saveexec_b32 s6, s13
	s_cbranch_execz .LBB13_340
; %bb.339:                              ;   in Loop: Header=BB13_326 Depth=2
	s_and_not1_b32 s13, s20, exec_lo
	s_and_b32 s20, vcc_lo, exec_lo
	ds_store_b32 v0, v49 offset:8
	s_or_b32 s20, s13, s20
.LBB13_340:                             ;   in Loop: Header=BB13_326 Depth=2
	s_or_b32 exec_lo, exec_lo, s6
	s_delay_alu instid0(SALU_CYCLE_1)
	s_and_b32 s6, s20, exec_lo
.LBB13_341:                             ;   in Loop: Header=BB13_326 Depth=2
	s_or_b32 exec_lo, exec_lo, s8
	s_delay_alu instid0(SALU_CYCLE_1)
	s_and_b32 s13, s6, exec_lo
                                        ; implicit-def: $vgpr11
.LBB13_342:                             ;   in Loop: Header=BB13_326 Depth=2
	s_and_not1_saveexec_b32 s20, s7
	s_cbranch_execz .LBB13_354
; %bb.343:                              ;   in Loop: Header=BB13_326 Depth=2
	s_clause 0x3
	scratch_load_b128 v[0:3], off, s32 offset:32
	scratch_load_b32 v6, off, s32 offset:68
	scratch_load_b32 v14, off, s32 offset:60
	scratch_load_b64 v[22:23], off, s32 offset:16
	s_waitcnt vmcnt(3)
	v_ashrrev_i32_e32 v15, 31, v3
	s_waitcnt vmcnt(2)
	v_mul_lo_u32 v20, v6, v9
	v_sub_nc_u32_e32 v12, 0, v1
	s_delay_alu instid0(VALU_DEP_3) | instskip(NEXT) | instid1(VALU_DEP_2)
	v_add_nc_u32_e32 v7, v3, v15
	v_max_i32_e32 v21, v1, v12
	s_delay_alu instid0(VALU_DEP_2) | instskip(NEXT) | instid1(VALU_DEP_2)
	v_xor_b32_e32 v17, v7, v15
	v_cvt_f32_u32_e32 v13, v21
	s_delay_alu instid0(VALU_DEP_2) | instskip(SKIP_1) | instid1(VALU_DEP_3)
	v_cvt_f32_u32_e32 v7, v17
	v_sub_nc_u32_e32 v26, 0, v17
	v_rcp_iflag_f32_e32 v13, v13
	s_delay_alu instid0(VALU_DEP_2) | instskip(SKIP_3) | instid1(VALU_DEP_1)
	v_rcp_iflag_f32_e32 v7, v7
	s_waitcnt vmcnt(1)
	s_waitcnt_depctr 0xfff
	v_dual_mul_f32 v25, 0x4f7ffffe, v7 :: v_dual_add_nc_u32 v12, v20, v14
	v_ctz_i32_b32_e32 v24, v12
	v_cmp_eq_u32_e32 vcc_lo, 0, v12
	v_add_nc_u32_e32 v6, v12, v6
	s_delay_alu instid0(VALU_DEP_3) | instskip(SKIP_2) | instid1(VALU_DEP_4)
	v_cndmask_b32_e32 v7, v24, v2, vcc_lo
	v_cvt_u32_f32_e32 v24, v25
	v_sub_nc_u32_e32 v25, 0, v21
	v_cmp_ge_i32_e64 s6, v6, v1
	v_cmp_gt_i32_e64 s7, v6, v1
	v_lshlrev_b32_e64 v2, v7, -1
	v_mul_lo_u32 v26, v26, v24
	s_delay_alu instid0(VALU_DEP_1) | instskip(SKIP_1) | instid1(VALU_DEP_1)
	v_mul_hi_u32 v26, v24, v26
	v_mul_f32_e32 v13, 0x4f7ffffe, v13
	v_cvt_u32_f32_e32 v27, v13
	v_add_nc_u32_e32 v13, v2, v12
	s_delay_alu instid0(VALU_DEP_2) | instskip(NEXT) | instid1(VALU_DEP_2)
	v_mul_lo_u32 v25, v25, v27
	v_add3_u32 v28, v0, v1, v13
	v_sub_nc_u32_e32 v0, 0, v9
	s_delay_alu instid0(VALU_DEP_2) | instskip(NEXT) | instid1(VALU_DEP_2)
	v_sub_nc_u32_e32 v29, 0, v28
	v_max_i32_e32 v30, v9, v0
	v_mul_hi_u32 v25, v27, v25
	v_add_nc_u32_e32 v0, v24, v26
	s_delay_alu instid0(VALU_DEP_4) | instskip(NEXT) | instid1(VALU_DEP_2)
	v_max_i32_e32 v24, v28, v29
	v_mul_hi_u32 v26, v30, v0
	s_delay_alu instid0(VALU_DEP_4) | instskip(NEXT) | instid1(VALU_DEP_1)
	v_add_nc_u32_e32 v25, v27, v25
	v_mul_hi_u32 v25, v24, v25
	s_delay_alu instid0(VALU_DEP_3) | instskip(SKIP_1) | instid1(VALU_DEP_3)
	v_mul_lo_u32 v27, v26, v17
	v_add_nc_u32_e32 v29, 1, v26
	v_mul_lo_u32 v25, v25, v21
	s_delay_alu instid0(VALU_DEP_3) | instskip(SKIP_1) | instid1(VALU_DEP_2)
	v_sub_nc_u32_e32 v27, v30, v27
	v_ashrrev_i32_e32 v30, 31, v9
	v_cmp_ge_u32_e32 vcc_lo, v27, v17
	s_delay_alu instid0(VALU_DEP_4) | instskip(SKIP_2) | instid1(VALU_DEP_3)
	v_sub_nc_u32_e32 v24, v24, v25
	v_sub_nc_u32_e32 v25, v27, v17
	v_cndmask_b32_e32 v26, v26, v29, vcc_lo
	v_sub_nc_u32_e32 v29, v24, v21
	s_delay_alu instid0(VALU_DEP_3) | instskip(SKIP_1) | instid1(VALU_DEP_3)
	v_cndmask_b32_e32 v25, v27, v25, vcc_lo
	v_cmp_ge_u32_e32 vcc_lo, v24, v21
	v_dual_cndmask_b32 v24, v24, v29 :: v_dual_add_nc_u32 v27, 1, v26
	s_delay_alu instid0(VALU_DEP_3) | instskip(SKIP_2) | instid1(VALU_DEP_4)
	v_cmp_ge_u32_e32 vcc_lo, v25, v17
	v_xor_b32_e32 v29, v30, v15
	v_ctz_i32_b32_e32 v6, v13
	v_cndmask_b32_e32 v25, v26, v27, vcc_lo
	v_sub_nc_u32_e32 v26, v24, v21
	v_cmp_ge_u32_e32 vcc_lo, v24, v21
	v_ashrrev_i32_e32 v27, 31, v28
	s_delay_alu instid0(VALU_DEP_4) | instskip(NEXT) | instid1(VALU_DEP_4)
	v_xor_b32_e32 v25, v25, v29
	v_cndmask_b32_e32 v21, v24, v26, vcc_lo
	v_cmp_eq_u32_e32 vcc_lo, 0, v7
	s_delay_alu instid0(VALU_DEP_3) | instskip(NEXT) | instid1(VALU_DEP_3)
	v_sub_nc_u32_e32 v26, v25, v29
	v_xor_b32_e32 v21, v21, v27
	s_delay_alu instid0(VALU_DEP_2) | instskip(NEXT) | instid1(VALU_DEP_2)
	v_mul_lo_u32 v24, v26, v3
	v_sub_nc_u32_e32 v25, v21, v27
	v_add_nc_u32_e32 v21, -1, v3
	s_delay_alu instid0(VALU_DEP_2) | instskip(NEXT) | instid1(VALU_DEP_4)
	v_ashrrev_i32_e32 v27, 31, v25
	v_sub_nc_u32_e32 v29, v9, v24
	s_waitcnt vmcnt(0)
	v_mul_lo_u32 v28, v23, v25
	v_mad_u64_u32 v[23:24], null, v22, v25, v[4:5]
	v_mul_lo_u32 v22, v22, v27
	v_cmp_eq_u32_e64 s8, v29, v21
	v_mul_lo_u32 v25, v29, v11
	v_cndmask_b32_e64 v27, v26, 0, vcc_lo
	s_delay_alu instid0(VALU_DEP_3) | instskip(NEXT) | instid1(VALU_DEP_4)
	s_or_b32 s6, s8, s6
	v_add3_u32 v24, v28, v24, v22
	v_cndmask_b32_e64 v22, 0, 1, s6
	s_or_b32 s6, s8, s7
	s_delay_alu instid0(VALU_DEP_4)
	v_mov_b32_e32 v26, v25
	s_and_b32 s6, vcc_lo, s6
	s_mov_b32 s7, exec_lo
	v_cndmask_b32_e64 v28, 0, 1, s6
	ds_store_b64 v0, v[23:24] offset:48
	ds_store_b32 v0, v22 offset:24
	ds_store_2addr_b64 v0, v[6:7], v[25:26] offset1:1
	ds_store_b64 v0, v[27:28] offset:16
	v_cmpx_ne_u32_e32 0, v13
	s_xor_b32 s8, exec_lo, s7
	s_cbranch_execz .LBB13_349
; %bb.344:                              ;   in Loop: Header=BB13_326 Depth=2
	v_sub_nc_u32_e32 v7, 0, v14
	s_mov_b32 s21, exec_lo
	s_delay_alu instid0(VALU_DEP_1)
	v_cmpx_eq_u32_e64 v2, v7
	s_cbranch_execz .LBB13_348
; %bb.345:                              ;   in Loop: Header=BB13_326 Depth=2
	v_add_nc_u32_e32 v2, 1, v6
	s_delay_alu instid0(VALU_DEP_1) | instskip(NEXT) | instid1(VALU_DEP_1)
	v_ashrrev_i32_e32 v7, v2, v20
	v_sub_nc_u32_e32 v2, 0, v7
	s_delay_alu instid0(VALU_DEP_1) | instskip(NEXT) | instid1(VALU_DEP_1)
	v_max_i32_e32 v2, v7, v2
	v_mul_hi_u32 v0, v2, v0
	s_delay_alu instid0(VALU_DEP_1) | instskip(NEXT) | instid1(VALU_DEP_1)
	v_mul_lo_u32 v14, v0, v17
	v_sub_nc_u32_e32 v2, v2, v14
	v_add_nc_u32_e32 v14, 1, v0
	s_delay_alu instid0(VALU_DEP_2) | instskip(SKIP_1) | instid1(VALU_DEP_1)
	v_sub_nc_u32_e32 v20, v2, v17
	v_cmp_ge_u32_e64 s6, v2, v17
	v_cndmask_b32_e64 v0, v0, v14, s6
	s_delay_alu instid0(VALU_DEP_3) | instskip(SKIP_1) | instid1(VALU_DEP_3)
	v_cndmask_b32_e64 v2, v2, v20, s6
	v_ashrrev_i32_e32 v14, 31, v7
	v_add_nc_u32_e32 v20, 1, v0
	s_delay_alu instid0(VALU_DEP_3) | instskip(NEXT) | instid1(VALU_DEP_3)
	v_cmp_ge_u32_e64 s6, v2, v17
	v_xor_b32_e32 v14, v14, v15
	s_delay_alu instid0(VALU_DEP_2) | instskip(NEXT) | instid1(VALU_DEP_1)
	v_cndmask_b32_e64 v0, v0, v20, s6
	v_xor_b32_e32 v0, v0, v14
	s_delay_alu instid0(VALU_DEP_1) | instskip(NEXT) | instid1(VALU_DEP_1)
	v_sub_nc_u32_e32 v2, v0, v14
	v_mul_lo_u32 v0, v2, v3
	v_mov_b32_e32 v3, 0
	s_delay_alu instid0(VALU_DEP_2) | instskip(NEXT) | instid1(VALU_DEP_1)
	v_sub_nc_u32_e32 v0, v7, v0
	v_mul_lo_u32 v11, v0, v11
	ds_store_b32 v0, v11 offset:8
	s_and_saveexec_b32 s22, vcc_lo
; %bb.346:                              ;   in Loop: Header=BB13_326 Depth=2
	v_lshlrev_b32_e32 v2, 1, v7
	v_cmp_eq_u32_e64 s6, v0, v21
	s_delay_alu instid0(VALU_DEP_2) | instskip(NEXT) | instid1(VALU_DEP_1)
	v_add_lshl_u32 v2, v2, 3, v6
	v_cmp_ge_i32_e64 s7, v2, v1
	v_mov_b32_e32 v2, 0
	s_delay_alu instid0(VALU_DEP_2) | instskip(NEXT) | instid1(SALU_CYCLE_1)
	s_or_b32 s6, s6, s7
	v_cndmask_b32_e64 v3, 0, 1, s6
; %bb.347:                              ;   in Loop: Header=BB13_326 Depth=2
	s_or_b32 exec_lo, exec_lo, s22
	ds_store_b64 v0, v[2:3] offset:16
.LBB13_348:                             ;   in Loop: Header=BB13_326 Depth=2
	s_or_b32 exec_lo, exec_lo, s21
.LBB13_349:                             ;   in Loop: Header=BB13_326 Depth=2
	s_and_not1_saveexec_b32 s6, s8
	s_cbranch_execz .LBB13_351
; %bb.350:                              ;   in Loop: Header=BB13_326 Depth=2
	ds_store_2addr_b32 v0, v49, v16 offset0:2 offset1:5
.LBB13_351:                             ;   in Loop: Header=BB13_326 Depth=2
	s_or_b32 exec_lo, exec_lo, s6
	v_cmp_ge_i32_e64 s7, v12, v1
	v_cmp_lt_i32_e64 s6, v13, v1
	s_delay_alu instid0(VALU_DEP_1) | instskip(NEXT) | instid1(SALU_CYCLE_1)
	s_and_b32 s6, s7, s6
	s_and_b32 s8, vcc_lo, s6
	s_delay_alu instid0(SALU_CYCLE_1)
	s_and_saveexec_b32 s6, s8
	s_cbranch_execz .LBB13_353
; %bb.352:                              ;   in Loop: Header=BB13_326 Depth=2
	s_and_not1_b32 s7, s7, exec_lo
	ds_store_2addr_b32 v0, v49, v49 offset0:1 offset1:3
	ds_store_b32 v0, v16 offset:24
.LBB13_353:                             ;   in Loop: Header=BB13_326 Depth=2
	s_or_b32 exec_lo, exec_lo, s6
	s_delay_alu instid0(SALU_CYCLE_1) | instskip(SKIP_1) | instid1(SALU_CYCLE_1)
	s_and_not1_b32 s6, s13, exec_lo
	s_and_b32 s7, s7, exec_lo
	s_or_b32 s13, s6, s7
.LBB13_354:                             ;   in Loop: Header=BB13_326 Depth=2
	s_or_b32 exec_lo, exec_lo, s20
	s_delay_alu instid0(SALU_CYCLE_1)
	s_and_b32 s6, s13, exec_lo
                                        ; implicit-def: $vgpr11
.LBB13_355:                             ;   in Loop: Header=BB13_326 Depth=2
	s_and_not1_saveexec_b32 s7, s12
	s_cbranch_execz .LBB13_361
; %bb.356:                              ;   in Loop: Header=BB13_326 Depth=2
	s_mov_b32 s12, 0
	s_mov_b32 s8, exec_lo
	v_cmpx_eq_u32_e32 0, v8
	s_cbranch_execz .LBB13_360
; %bb.357:                              ;   in Loop: Header=BB13_326 Depth=2
	s_clause 0x4
	scratch_load_b64 v[0:1], off, s32 offset:32
	scratch_load_b32 v15, off, s32 offset:44
	scratch_load_b32 v7, off, s32 offset:60
	;; [unrolled: 1-line block ×3, first 2 shown]
	scratch_load_b64 v[12:13], off, s32 offset:16
	s_mov_b32 s12, exec_lo
	s_waitcnt vmcnt(4)
	v_sub_nc_u32_e32 v2, 0, v1
	s_waitcnt vmcnt(3)
	v_sub_nc_u32_e32 v3, 0, v15
	s_delay_alu instid0(VALU_DEP_2) | instskip(NEXT) | instid1(VALU_DEP_2)
	v_max_i32_e32 v14, v1, v2
	v_max_i32_e32 v17, v15, v3
	s_delay_alu instid0(VALU_DEP_2) | instskip(NEXT) | instid1(VALU_DEP_2)
	v_cvt_f32_u32_e32 v2, v14
	v_cvt_f32_u32_e32 v3, v17
	v_sub_nc_u32_e32 v20, 0, v14
	s_delay_alu instid0(VALU_DEP_3) | instskip(NEXT) | instid1(VALU_DEP_2)
	v_rcp_iflag_f32_e32 v2, v2
	v_rcp_iflag_f32_e32 v21, v3
	s_waitcnt_depctr 0xfff
	v_mul_f32_e32 v2, 0x4f7ffffe, v2
	s_delay_alu instid0(VALU_DEP_1) | instskip(SKIP_3) | instid1(VALU_DEP_3)
	v_cvt_u32_f32_e32 v22, v2
	s_waitcnt vmcnt(1)
	v_mad_u64_u32 v[2:3], null, v6, v9, v[7:8]
	v_mul_f32_e32 v7, 0x4f7ffffe, v21
	v_mul_lo_u32 v3, v20, v22
	v_sub_nc_u32_e32 v20, 0, v17
	s_delay_alu instid0(VALU_DEP_3) | instskip(SKIP_1) | instid1(VALU_DEP_2)
	v_cvt_u32_f32_e32 v7, v7
	v_add_nc_u32_e32 v0, v0, v2
	v_mul_lo_u32 v20, v20, v7
	v_mul_hi_u32 v3, v22, v3
	s_delay_alu instid0(VALU_DEP_3) | instskip(NEXT) | instid1(VALU_DEP_1)
	v_sub_nc_u32_e32 v21, 0, v0
	v_max_i32_e32 v21, v0, v21
	s_delay_alu instid0(VALU_DEP_4) | instskip(NEXT) | instid1(VALU_DEP_4)
	v_mul_hi_u32 v20, v7, v20
	v_add_nc_u32_e32 v3, v22, v3
	v_sub_nc_u32_e32 v22, 0, v9
	s_delay_alu instid0(VALU_DEP_2) | instskip(NEXT) | instid1(VALU_DEP_2)
	v_mul_hi_u32 v3, v21, v3
	v_max_i32_e32 v22, v9, v22
	v_add_nc_u32_e32 v7, v7, v20
	s_delay_alu instid0(VALU_DEP_1) | instskip(NEXT) | instid1(VALU_DEP_4)
	v_mul_hi_u32 v7, v22, v7
	v_mul_lo_u32 v3, v3, v14
	s_delay_alu instid0(VALU_DEP_2) | instskip(NEXT) | instid1(VALU_DEP_2)
	v_mul_lo_u32 v7, v7, v17
	v_sub_nc_u32_e32 v3, v21, v3
	s_delay_alu instid0(VALU_DEP_1) | instskip(SKIP_1) | instid1(VALU_DEP_4)
	v_sub_nc_u32_e32 v20, v3, v14
	v_cmp_ge_u32_e32 vcc_lo, v3, v14
	v_sub_nc_u32_e32 v7, v22, v7
	s_delay_alu instid0(VALU_DEP_3) | instskip(SKIP_1) | instid1(VALU_DEP_2)
	v_cndmask_b32_e32 v3, v3, v20, vcc_lo
	v_ashrrev_i32_e32 v0, 31, v0
	v_sub_nc_u32_e32 v20, v3, v14
	v_cmp_ge_u32_e32 vcc_lo, v3, v14
	v_sub_nc_u32_e32 v14, v7, v17
	s_delay_alu instid0(VALU_DEP_3) | instskip(SKIP_2) | instid1(VALU_DEP_3)
	v_cndmask_b32_e32 v3, v3, v20, vcc_lo
	v_cmp_ge_u32_e32 vcc_lo, v7, v17
	v_ashrrev_i32_e32 v20, 31, v9
	v_xor_b32_e32 v3, v3, v0
	v_cndmask_b32_e32 v7, v7, v14, vcc_lo
	s_delay_alu instid0(VALU_DEP_2) | instskip(NEXT) | instid1(VALU_DEP_2)
	v_sub_nc_u32_e32 v0, v3, v0
	v_sub_nc_u32_e32 v3, v7, v17
	v_cmp_ge_u32_e32 vcc_lo, v7, v17
	v_mov_b32_e32 v17, v16
	s_delay_alu instid0(VALU_DEP_4) | instskip(NEXT) | instid1(VALU_DEP_4)
	v_ashrrev_i32_e32 v21, 31, v0
	v_cndmask_b32_e32 v3, v7, v3, vcc_lo
	s_waitcnt vmcnt(0)
	v_mul_lo_u32 v7, v13, v0
	v_mad_u64_u32 v[13:14], null, v12, v0, v[4:5]
	v_mul_lo_u32 v0, v12, v21
	v_xor_b32_e32 v3, v3, v20
	v_mov_b32_e32 v12, v49
	s_delay_alu instid0(VALU_DEP_2) | instskip(NEXT) | instid1(VALU_DEP_4)
	v_sub_nc_u32_e32 v3, v3, v20
	v_add3_u32 v14, v7, v14, v0
	v_add_nc_u32_e32 v7, -1, v15
	s_delay_alu instid0(VALU_DEP_3)
	v_mul_lo_u32 v11, v3, v11
	ds_store_2addr_b64 v0, v[16:17], v[13:14] offset0:5 offset1:6
	v_dual_mov_b32 v0, 1 :: v_dual_mov_b32 v17, v49
	ds_store_2addr_b64 v0, v[16:17], v[11:12] offset1:1
	ds_store_b32 v0, v16 offset:16
	v_cmpx_ne_u32_e64 v3, v7
; %bb.358:                              ;   in Loop: Header=BB13_326 Depth=2
	v_add_nc_u32_e32 v0, v2, v6
	s_delay_alu instid0(VALU_DEP_1)
	v_cmp_ge_i32_e32 vcc_lo, v0, v1
	v_cndmask_b32_e64 v0, 0, 1, vcc_lo
; %bb.359:                              ;   in Loop: Header=BB13_326 Depth=2
	s_or_b32 exec_lo, exec_lo, s12
	v_cmp_ge_i32_e32 vcc_lo, v2, v1
	ds_store_2addr_b32 v0, v0, v16 offset0:5 offset1:6
	s_and_b32 s12, vcc_lo, exec_lo
.LBB13_360:                             ;   in Loop: Header=BB13_326 Depth=2
	s_or_b32 exec_lo, exec_lo, s8
	s_delay_alu instid0(SALU_CYCLE_1) | instskip(SKIP_1) | instid1(SALU_CYCLE_1)
	s_and_not1_b32 s6, s6, exec_lo
	s_and_b32 s8, s12, exec_lo
	s_or_b32 s6, s6, s8
.LBB13_361:                             ;   in Loop: Header=BB13_326 Depth=2
	s_or_b32 exec_lo, exec_lo, s7
	s_delay_alu instid0(SALU_CYCLE_1)
	s_or_not1_b32 s7, s6, exec_lo
.LBB13_362:                             ;   in Loop: Header=BB13_326 Depth=2
	s_or_b32 exec_lo, exec_lo, s11
	scratch_load_b32 v0, off, s32 offset:52
	v_add_nc_u32_e32 v1, 1, v9
                                        ; implicit-def: $sgpr11
	s_mov_b32 s6, exec_lo
	scratch_store_b32 off, v1, s32 offset:64
	s_waitcnt vmcnt(0)
	v_max_i32_e32 v2, v10, v0
	s_delay_alu instid0(VALU_DEP_1)
	v_cmpx_le_i32_e64 v2, v1
	s_xor_b32 s8, exec_lo, s6
	s_cbranch_execz .LBB13_414
; %bb.363:                              ;   in Loop: Header=BB13_326 Depth=2
	s_mov_b32 s6, exec_lo
                                        ; implicit-def: $vgpr2
	v_cmpx_lt_i32_e32 1, v8
	s_xor_b32 s6, exec_lo, s6
	s_cbranch_execz .LBB13_367
; %bb.364:                              ;   in Loop: Header=BB13_326 Depth=2
	v_mov_b32_e32 v2, 1
	s_mov_b32 s11, exec_lo
	v_cmpx_eq_u32_e32 2, v8
	s_cbranch_execz .LBB13_366
; %bb.365:                              ;   in Loop: Header=BB13_326 Depth=2
	scratch_load_b32 v0, off, s32 offset:72
	s_waitcnt vmcnt(0)
	v_lshrrev_b32_e32 v1, 31, v0
	s_delay_alu instid0(VALU_DEP_1) | instskip(SKIP_1) | instid1(VALU_DEP_2)
	v_add_nc_u32_e32 v1, v0, v1
	v_add_nc_u32_e32 v0, 1, v0
	v_ashrrev_i32_e32 v1, 1, v1
	s_delay_alu instid0(VALU_DEP_2)
	v_cmp_gt_u32_e32 vcc_lo, 3, v0
	scratch_store_b32 off, v1, s32 offset:72
	v_cndmask_b32_e64 v2, 2, 1, vcc_lo
.LBB13_366:                             ;   in Loop: Header=BB13_326 Depth=2
	s_or_b32 exec_lo, exec_lo, s11
.LBB13_367:                             ;   in Loop: Header=BB13_326 Depth=2
	s_and_not1_saveexec_b32 s6, s6
	s_cbranch_execz .LBB13_371
; %bb.368:                              ;   in Loop: Header=BB13_326 Depth=2
	v_mov_b32_e32 v2, 1
	s_mov_b32 s11, exec_lo
	v_cmpx_eq_u32_e32 1, v8
	s_cbranch_execz .LBB13_370
; %bb.369:                              ;   in Loop: Header=BB13_326 Depth=2
	scratch_load_b32 v0, off, s32 offset:60
	s_waitcnt vmcnt(0)
	v_and_b32_e32 v0, 0x80000001, v0
	s_delay_alu instid0(VALU_DEP_1)
	v_cmp_ne_u32_e32 vcc_lo, 1, v0
	v_cndmask_b32_e64 v2, 0, 1, vcc_lo
.LBB13_370:                             ;   in Loop: Header=BB13_326 Depth=2
	s_or_b32 exec_lo, exec_lo, s11
.LBB13_371:                             ;   in Loop: Header=BB13_326 Depth=2
	s_delay_alu instid0(SALU_CYCLE_1)
	s_or_b32 exec_lo, exec_lo, s6
	v_cmp_eq_u32_e32 vcc_lo, 0, v8
	v_cmp_ne_u32_e64 s12, 0, v8
	s_mov_b32 s6, -1
	scratch_store_b32 off, v2, s32 offset:76
	s_and_saveexec_b32 s11, s12
	s_cbranch_execz .LBB13_381
; %bb.372:                              ;   in Loop: Header=BB13_326 Depth=2
	s_mov_b32 s20, 0
	s_mov_b32 s13, exec_lo
	v_cmpx_eq_u32_e32 1, v8
	s_cbranch_execz .LBB13_374
; %bb.373:                              ;   in Loop: Header=BB13_326 Depth=2
	scratch_load_b32 v0, off, s32 offset:60
	s_waitcnt vmcnt(0)
	v_and_b32_e32 v0, 1, v0
	s_delay_alu instid0(VALU_DEP_1) | instskip(NEXT) | instid1(VALU_DEP_1)
	v_cmp_eq_u32_e64 s6, 0, v0
	s_and_b32 s20, s6, exec_lo
.LBB13_374:                             ;   in Loop: Header=BB13_326 Depth=2
	s_or_b32 exec_lo, exec_lo, s13
	s_delay_alu instid0(SALU_CYCLE_1)
	s_or_not1_b32 s6, s20, exec_lo
	s_or_b32 exec_lo, exec_lo, s11
	s_and_saveexec_b32 s11, s6
	s_cbranch_execnz .LBB13_382
.LBB13_375:                             ;   in Loop: Header=BB13_326 Depth=2
	s_or_b32 exec_lo, exec_lo, s11
	s_mov_b32 s6, 0
	s_and_saveexec_b32 s11, vcc_lo
	s_cbranch_execz .LBB13_377
.LBB13_376:                             ;   in Loop: Header=BB13_326 Depth=2
	s_clause 0x1
	scratch_load_b32 v0, off, s32 offset:68
	scratch_load_b32 v1, off, s32 offset:60
	s_and_not1_b32 s12, s12, exec_lo
	s_mov_b32 s6, exec_lo
	s_waitcnt vmcnt(1)
	v_lshrrev_b32_e32 v3, 31, v0
	s_delay_alu instid0(VALU_DEP_1) | instskip(NEXT) | instid1(VALU_DEP_1)
	v_add_nc_u32_e32 v0, v0, v3
	v_ashrrev_i32_e32 v0, 1, v0
	s_waitcnt vmcnt(0)
	s_delay_alu instid0(VALU_DEP_1) | instskip(SKIP_1) | instid1(SALU_CYCLE_1)
	v_cmp_ne_u32_e32 vcc_lo, v1, v0
	s_and_b32 s13, vcc_lo, exec_lo
	s_or_b32 s12, s12, s13
.LBB13_377:                             ;   in Loop: Header=BB13_326 Depth=2
	s_or_b32 exec_lo, exec_lo, s11
                                        ; implicit-def: $sgpr11
	s_and_saveexec_b32 s13, s12
	s_delay_alu instid0(SALU_CYCLE_1)
	s_xor_b32 s12, exec_lo, s13
	s_cbranch_execz .LBB13_391
; %bb.378:                              ;   in Loop: Header=BB13_326 Depth=2
	scratch_load_b32 v0, off, s32 offset:56
	s_mov_b32 s11, exec_lo
	scratch_store_b32 off, v16, s32 offset:64
	s_waitcnt vmcnt(0)
	scratch_store_b32 off, v0, s32 offset:48
	v_cmpx_lt_u32_e32 1, v2
	s_cbranch_execz .LBB13_380
; %bb.379:                              ;   in Loop: Header=BB13_326 Depth=2
	scratch_load_b32 v1, off, s32 offset:72
	v_sub_nc_u32_e32 v7, 0, v0
	s_delay_alu instid0(VALU_DEP_1) | instskip(SKIP_2) | instid1(VALU_DEP_1)
	v_max_i32_e32 v7, v0, v7
	s_waitcnt vmcnt(0)
	v_lshlrev_b32_e32 v1, 1, v1
	v_sub_nc_u32_e32 v2, 0, v1
	v_xor_b32_e32 v0, v0, v1
	s_delay_alu instid0(VALU_DEP_2) | instskip(NEXT) | instid1(VALU_DEP_2)
	v_max_i32_e32 v2, v1, v2
	v_ashrrev_i32_e32 v0, 31, v0
	s_delay_alu instid0(VALU_DEP_2) | instskip(SKIP_1) | instid1(VALU_DEP_2)
	v_cvt_f32_u32_e32 v3, v2
	v_sub_nc_u32_e32 v6, 0, v2
	v_rcp_iflag_f32_e32 v3, v3
	s_waitcnt_depctr 0xfff
	v_mul_f32_e32 v3, 0x4f7ffffe, v3
	s_delay_alu instid0(VALU_DEP_1) | instskip(NEXT) | instid1(VALU_DEP_1)
	v_cvt_u32_f32_e32 v3, v3
	v_mul_lo_u32 v6, v6, v3
	s_delay_alu instid0(VALU_DEP_1) | instskip(NEXT) | instid1(VALU_DEP_1)
	v_mul_hi_u32 v6, v3, v6
	v_add_nc_u32_e32 v3, v3, v6
	s_delay_alu instid0(VALU_DEP_1) | instskip(NEXT) | instid1(VALU_DEP_1)
	v_mul_hi_u32 v3, v7, v3
	v_mul_lo_u32 v6, v3, v2
	s_delay_alu instid0(VALU_DEP_1) | instskip(SKIP_1) | instid1(VALU_DEP_2)
	v_sub_nc_u32_e32 v6, v7, v6
	v_add_nc_u32_e32 v7, 1, v3
	v_sub_nc_u32_e32 v8, v6, v2
	v_cmp_ge_u32_e32 vcc_lo, v6, v2
	s_delay_alu instid0(VALU_DEP_3) | instskip(NEXT) | instid1(VALU_DEP_1)
	v_cndmask_b32_e32 v3, v3, v7, vcc_lo
	v_dual_cndmask_b32 v1, v6, v8 :: v_dual_add_nc_u32 v6, 1, v3
	s_delay_alu instid0(VALU_DEP_1) | instskip(NEXT) | instid1(VALU_DEP_2)
	v_cmp_ge_u32_e32 vcc_lo, v1, v2
	v_cndmask_b32_e32 v1, v3, v6, vcc_lo
	s_delay_alu instid0(VALU_DEP_1) | instskip(NEXT) | instid1(VALU_DEP_1)
	v_xor_b32_e32 v1, v1, v0
	v_sub_nc_u32_e32 v0, v1, v0
	scratch_store_b32 off, v0, s32 offset:48
.LBB13_380:                             ;   in Loop: Header=BB13_326 Depth=2
	s_or_b32 exec_lo, exec_lo, s11
	s_mov_b32 s11, 0
	s_and_not1_b32 s6, s6, exec_lo
	s_or_b32 exec_lo, exec_lo, s12
	s_and_saveexec_b32 s12, s6
	s_cbranch_execz .LBB13_413
	s_branch .LBB13_392
.LBB13_381:                             ;   in Loop: Header=BB13_326 Depth=2
	s_or_b32 exec_lo, exec_lo, s11
	s_and_saveexec_b32 s11, s6
	s_cbranch_execz .LBB13_375
.LBB13_382:                             ;   in Loop: Header=BB13_326 Depth=2
	scratch_load_b64 v[0:1], off, s32 offset:80
	s_mov_b32 s13, exec_lo
	s_waitcnt vmcnt(0)
	v_cmpx_lt_i32_e32 0, v0
	s_cbranch_execz .LBB13_407
; %bb.383:                              ;   in Loop: Header=BB13_326 Depth=2
	s_mov_b32 s20, 0
	s_mov_b32 s21, s19
	;; [unrolled: 1-line block ×3, first 2 shown]
	s_branch .LBB13_387
.LBB13_384:                             ;   in Loop: Header=BB13_387 Depth=3
	s_or_b32 exec_lo, exec_lo, s26
	v_add_nc_u32_e32 v1, 1, v6
	scratch_store_b32 off, v1, s21
.LBB13_385:                             ;   in Loop: Header=BB13_387 Depth=3
	s_or_b32 exec_lo, exec_lo, s24
	v_mov_b32_e32 v1, v3
.LBB13_386:                             ;   in Loop: Header=BB13_387 Depth=3
	s_or_b32 exec_lo, exec_lo, s23
	s_add_i32 s22, s22, 1
	s_add_i32 s21, s21, 4
	v_cmp_eq_u32_e64 s6, s22, v0
	s_delay_alu instid0(VALU_DEP_1) | instskip(NEXT) | instid1(SALU_CYCLE_1)
	s_or_b32 s20, s6, s20
	s_and_not1_b32 exec_lo, exec_lo, s20
	s_cbranch_execz .LBB13_406
.LBB13_387:                             ;   Parent Loop BB13_4 Depth=1
                                        ;     Parent Loop BB13_326 Depth=2
                                        ; =>    This Inner Loop Header: Depth=3
	scratch_load_b32 v3, off, s21 offset:-128
	s_mov_b32 s23, exec_lo
	s_waitcnt vmcnt(0)
	v_add_nc_u32_e32 v3, -1, v3
	scratch_store_b32 off, v3, s21 offset:-128
	v_cmpx_eq_u32_e32 0, v3
	s_cbranch_execz .LBB13_386
; %bb.388:                              ;   in Loop: Header=BB13_387 Depth=3
	s_lshl_b32 s25, 1, s22
	s_mov_b32 s24, exec_lo
	v_dual_mov_b32 v7, s25 :: v_dual_and_b32 v6, s25, v1
	v_xor_b32_e32 v3, s25, v1
	scratch_store_b32 off, v3, s32 offset:84
	scratch_store_b32 off, v7, s21 offset:-128
	v_cmpx_ne_u32_e32 0, v6
	s_cbranch_execz .LBB13_385
; %bb.389:                              ;   in Loop: Header=BB13_387 Depth=3
	scratch_load_b32 v6, off, s21
	s_mov_b32 s26, exec_lo
	s_waitcnt vmcnt(0)
	v_ctz_i32_b32_e32 v7, v6
	v_cmp_eq_u32_e64 s6, 0, v6
	s_delay_alu instid0(VALU_DEP_1) | instskip(NEXT) | instid1(VALU_DEP_1)
	v_cndmask_b32_e64 v7, v7, v0, s6
	v_add3_u32 v7, s25, -1, v7
	scratch_store_b32 off, v7, s21 offset:-128
	v_cmpx_eq_u32_e32 0, v7
	s_cbranch_execz .LBB13_384
; %bb.390:                              ;   in Loop: Header=BB13_387 Depth=3
	v_mov_b32_e32 v3, v1
	v_mov_b32_e32 v7, s25
	scratch_store_b32 off, v1, s32 offset:84
	scratch_store_b32 off, v7, s21 offset:-128
	s_branch .LBB13_384
.LBB13_391:                             ;   in Loop: Header=BB13_326 Depth=2
	s_or_b32 exec_lo, exec_lo, s12
	s_and_saveexec_b32 s12, s6
	s_cbranch_execz .LBB13_413
.LBB13_392:                             ;   in Loop: Header=BB13_326 Depth=2
	s_clause 0x1
	scratch_load_b32 v0, off, s32 offset:24
	scratch_load_b64 v[2:3], off, s32 offset:8
	s_mov_b32 s6, exec_lo
                                        ; implicit-def: $sgpr13
	s_waitcnt vmcnt(1)
	v_ashrrev_i32_e32 v1, 31, v0
	v_add_co_u32 v4, vcc_lo, v4, v0
	s_delay_alu instid0(VALU_DEP_2)
	v_add_co_ci_u32_e32 v5, vcc_lo, v5, v1, vcc_lo
	scratch_store_b64 off, v[4:5], s32
	s_waitcnt vmcnt(0)
	v_cmpx_le_u64_e64 v[2:3], v[4:5]
	s_xor_b32 s6, exec_lo, s6
	s_cbranch_execz .LBB13_394
; %bb.393:                              ;   in Loop: Header=BB13_326 Depth=2
	s_mov_b32 s13, -1
	ds_store_b32 v0, v50 offset:32
                                        ; implicit-def: $vgpr2_vgpr3
                                        ; implicit-def: $vgpr4
                                        ; implicit-def: $vgpr0_vgpr1
.LBB13_394:                             ;   in Loop: Header=BB13_326 Depth=2
	s_and_not1_saveexec_b32 s20, s6
	s_cbranch_execz .LBB13_412
; %bb.395:                              ;   in Loop: Header=BB13_326 Depth=2
	s_clause 0x1
	scratch_load_b32 v6, off, s32 offset:56
	scratch_load_b32 v7, off, s32 offset:80
	v_sub_co_u32 v2, vcc_lo, v2, v4
	v_sub_co_ci_u32_e32 v3, vcc_lo, v3, v5, vcc_lo
	s_mov_b32 s21, exec_lo
	s_delay_alu instid0(VALU_DEP_1) | instskip(SKIP_4) | instid1(VALU_DEP_2)
	v_cmp_lt_i64_e32 vcc_lo, v[0:1], v[2:3]
	v_dual_cndmask_b32 v3, v2, v0 :: v_dual_mov_b32 v2, 0
	s_waitcnt vmcnt(1)
	v_lshrrev_b32_e32 v8, 31, v6
	v_add_nc_u32_e32 v4, -2, v6
	v_add_nc_u32_e32 v5, v6, v8
	s_delay_alu instid0(VALU_DEP_2) | instskip(NEXT) | instid1(VALU_DEP_2)
	v_cmp_gt_u32_e32 vcc_lo, -3, v4
	v_ashrrev_i32_e32 v0, 1, v5
	v_cndmask_b32_e64 v1, 1, 2, vcc_lo
	s_clause 0x2
	scratch_store_b32 off, v3, s32 offset:28
	scratch_store_b64 off, v[0:1], s32 offset:72
	scratch_store_b32 off, v16, s32 offset:84
	s_waitcnt vmcnt(0)
	v_cmpx_lt_i32_e32 0, v7
	s_cbranch_execz .LBB13_409
; %bb.396:                              ;   in Loop: Header=BB13_326 Depth=2
	v_mov_b32_e32 v1, v7
	s_mov_b32 s22, 0
	s_mov_b32 s23, s19
.LBB13_397:                             ;   Parent Loop BB13_4 Depth=1
                                        ;     Parent Loop BB13_326 Depth=2
                                        ; =>    This Inner Loop Header: Depth=3
	s_clause 0x1
	scratch_store_b32 off, v1, s23 offset:-128
	scratch_store_b32 off, v19, s23
	v_add_nc_u32_e32 v1, -1, v1
	s_add_i32 s23, s23, 4
	s_delay_alu instid0(VALU_DEP_1) | instskip(NEXT) | instid1(VALU_DEP_1)
	v_cmp_eq_u32_e64 s6, 0, v1
	s_or_b32 s22, s6, s22
	s_delay_alu instid0(SALU_CYCLE_1)
	s_and_not1_b32 exec_lo, exec_lo, s22
	s_cbranch_execnz .LBB13_397
; %bb.398:                              ;   in Loop: Header=BB13_326 Depth=2
	s_or_b32 exec_lo, exec_lo, s22
	v_mov_b32_e32 v2, 0
	s_mov_b32 s22, 0
	s_mov_b32 s23, s19
	;; [unrolled: 1-line block ×3, first 2 shown]
	s_branch .LBB13_402
.LBB13_399:                             ;   in Loop: Header=BB13_402 Depth=3
	s_or_b32 exec_lo, exec_lo, s28
	v_add_nc_u32_e32 v2, 1, v3
	scratch_store_b32 off, v2, s23
.LBB13_400:                             ;   in Loop: Header=BB13_402 Depth=3
	s_or_b32 exec_lo, exec_lo, s26
	v_mov_b32_e32 v2, v1
.LBB13_401:                             ;   in Loop: Header=BB13_402 Depth=3
	s_or_b32 exec_lo, exec_lo, s25
	s_add_i32 s24, s24, 1
	s_add_i32 s23, s23, 4
	v_cmp_eq_u32_e64 s6, s24, v7
	s_delay_alu instid0(VALU_DEP_1) | instskip(NEXT) | instid1(SALU_CYCLE_1)
	s_or_b32 s22, s6, s22
	s_and_not1_b32 exec_lo, exec_lo, s22
	s_cbranch_execz .LBB13_408
.LBB13_402:                             ;   Parent Loop BB13_4 Depth=1
                                        ;     Parent Loop BB13_326 Depth=2
                                        ; =>    This Inner Loop Header: Depth=3
	scratch_load_b32 v1, off, s23 offset:-128
	s_mov_b32 s25, exec_lo
	s_waitcnt vmcnt(0)
	v_add_nc_u32_e32 v1, -1, v1
	scratch_store_b32 off, v1, s23 offset:-128
	v_cmpx_eq_u32_e32 0, v1
	s_cbranch_execz .LBB13_401
; %bb.403:                              ;   in Loop: Header=BB13_402 Depth=3
	s_lshl_b32 s27, 1, s24
	s_mov_b32 s26, exec_lo
	v_dual_mov_b32 v4, s27 :: v_dual_and_b32 v3, s27, v2
	v_xor_b32_e32 v1, s27, v2
	scratch_store_b32 off, v1, s32 offset:84
	scratch_store_b32 off, v4, s23 offset:-128
	v_cmpx_ne_u32_e32 0, v3
	s_cbranch_execz .LBB13_400
; %bb.404:                              ;   in Loop: Header=BB13_402 Depth=3
	scratch_load_b32 v3, off, s23
	s_mov_b32 s28, exec_lo
	s_waitcnt vmcnt(0)
	v_ctz_i32_b32_e32 v4, v3
	v_cmp_eq_u32_e64 s6, 0, v3
	s_delay_alu instid0(VALU_DEP_1) | instskip(NEXT) | instid1(VALU_DEP_1)
	v_cndmask_b32_e64 v4, v4, v7, s6
	v_add3_u32 v4, s27, -1, v4
	scratch_store_b32 off, v4, s23 offset:-128
	v_cmpx_eq_u32_e32 0, v4
	s_cbranch_execz .LBB13_399
; %bb.405:                              ;   in Loop: Header=BB13_402 Depth=3
	v_dual_mov_b32 v4, s27 :: v_dual_mov_b32 v1, v2
	scratch_store_b32 off, v2, s32 offset:84
	scratch_store_b32 off, v4, s23 offset:-128
	s_branch .LBB13_399
.LBB13_406:                             ;   in Loop: Header=BB13_326 Depth=2
	s_or_b32 exec_lo, exec_lo, s20
.LBB13_407:                             ;   in Loop: Header=BB13_326 Depth=2
	s_delay_alu instid0(SALU_CYCLE_1)
	s_or_b32 exec_lo, exec_lo, s13
	scratch_store_b32 off, v1, s32 offset:60
	s_or_b32 exec_lo, exec_lo, s11
	s_mov_b32 s6, 0
	s_and_saveexec_b32 s11, vcc_lo
	s_cbranch_execz .LBB13_377
	s_branch .LBB13_376
.LBB13_408:                             ;   in Loop: Header=BB13_326 Depth=2
	s_or_b32 exec_lo, exec_lo, s22
.LBB13_409:                             ;   in Loop: Header=BB13_326 Depth=2
	s_delay_alu instid0(SALU_CYCLE_1)
	s_or_b32 exec_lo, exec_lo, s21
	v_mov_b32_e32 v3, v16
	scratch_store_b64 off, v[2:3], s32 offset:60
	s_and_saveexec_b32 s6, vcc_lo
	s_cbranch_execz .LBB13_411
; %bb.410:                              ;   in Loop: Header=BB13_326 Depth=2
	v_ashrrev_i32_e32 v1, 31, v0
	v_sub_nc_u32_e32 v4, 0, v6
	s_delay_alu instid0(VALU_DEP_2) | instskip(NEXT) | instid1(VALU_DEP_2)
	v_lshl_add_u32 v0, v0, 1, v1
	v_max_i32_e32 v4, v6, v4
	s_delay_alu instid0(VALU_DEP_2) | instskip(NEXT) | instid1(VALU_DEP_1)
	v_xor_b32_e32 v0, v0, v1
	v_cvt_f32_u32_e32 v2, v0
	v_sub_nc_u32_e32 v3, 0, v0
	s_delay_alu instid0(VALU_DEP_2) | instskip(SKIP_2) | instid1(VALU_DEP_1)
	v_rcp_iflag_f32_e32 v2, v2
	s_waitcnt_depctr 0xfff
	v_mul_f32_e32 v2, 0x4f7ffffe, v2
	v_cvt_u32_f32_e32 v2, v2
	s_delay_alu instid0(VALU_DEP_1) | instskip(NEXT) | instid1(VALU_DEP_1)
	v_mul_lo_u32 v3, v3, v2
	v_mul_hi_u32 v3, v2, v3
	s_delay_alu instid0(VALU_DEP_1) | instskip(NEXT) | instid1(VALU_DEP_1)
	v_add_nc_u32_e32 v2, v2, v3
	v_mul_hi_u32 v2, v4, v2
	s_delay_alu instid0(VALU_DEP_1) | instskip(NEXT) | instid1(VALU_DEP_1)
	v_mul_lo_u32 v3, v2, v0
	v_sub_nc_u32_e32 v3, v4, v3
	v_add_nc_u32_e32 v4, 1, v2
	s_delay_alu instid0(VALU_DEP_2) | instskip(SKIP_1) | instid1(VALU_DEP_2)
	v_sub_nc_u32_e32 v5, v3, v0
	v_cmp_ge_u32_e32 vcc_lo, v3, v0
	v_dual_cndmask_b32 v3, v3, v5 :: v_dual_cndmask_b32 v2, v2, v4
	v_ashrrev_i32_e32 v4, 31, v6
	s_delay_alu instid0(VALU_DEP_2) | instskip(NEXT) | instid1(VALU_DEP_3)
	v_cmp_ge_u32_e32 vcc_lo, v3, v0
	v_add_nc_u32_e32 v5, 1, v2
	s_delay_alu instid0(VALU_DEP_3) | instskip(NEXT) | instid1(VALU_DEP_2)
	v_xor_b32_e32 v1, v4, v1
	v_cndmask_b32_e32 v0, v2, v5, vcc_lo
	s_delay_alu instid0(VALU_DEP_1) | instskip(NEXT) | instid1(VALU_DEP_1)
	v_xor_b32_e32 v0, v0, v1
	v_sub_nc_u32_e32 v6, v0, v1
.LBB13_411:                             ;   in Loop: Header=BB13_326 Depth=2
	s_or_b32 exec_lo, exec_lo, s6
	s_delay_alu instid0(SALU_CYCLE_1)
	s_and_not1_b32 s13, s13, exec_lo
	scratch_store_b32 off, v6, s32 offset:48
.LBB13_412:                             ;   in Loop: Header=BB13_326 Depth=2
	s_or_b32 exec_lo, exec_lo, s20
	s_delay_alu instid0(SALU_CYCLE_1) | instskip(SKIP_1) | instid1(SALU_CYCLE_1)
	s_and_not1_b32 s6, s11, exec_lo
	s_and_b32 s11, s13, exec_lo
	s_or_b32 s11, s6, s11
.LBB13_413:                             ;   in Loop: Header=BB13_326 Depth=2
	s_or_b32 exec_lo, exec_lo, s12
	s_delay_alu instid0(SALU_CYCLE_1)
	s_and_b32 s11, s11, exec_lo
                                        ; implicit-def: $vgpr8
                                        ; implicit-def: $vgpr4_vgpr5
                                        ; implicit-def: $vgpr10
                                        ; implicit-def: $vgpr0
                                        ; implicit-def: $vgpr9
.LBB13_414:                             ;   in Loop: Header=BB13_326 Depth=2
	s_and_not1_saveexec_b32 s8, s8
	s_cbranch_execz .LBB13_420
; %bb.415:                              ;   in Loop: Header=BB13_326 Depth=2
	scratch_load_b32 v1, off, s32 offset:60
	v_cmp_eq_u32_e32 vcc_lo, 0, v8
	s_waitcnt vmcnt(0)
	v_cmp_eq_u32_e64 s6, 1, v1
	s_delay_alu instid0(VALU_DEP_1) | instskip(NEXT) | instid1(SALU_CYCLE_1)
	s_and_b32 s12, vcc_lo, s6
	s_and_saveexec_b32 s6, s12
	s_cbranch_execz .LBB13_419
; %bb.416:                              ;   in Loop: Header=BB13_326 Depth=2
	s_clause 0x1
	scratch_load_b32 v3, off, s32 offset:24
	scratch_load_b64 v[1:2], off, s32 offset:8
	s_waitcnt vmcnt(1)
	v_ashrrev_i32_e32 v6, 31, v3
	v_add_co_u32 v3, vcc_lo, v4, v3
	s_delay_alu instid0(VALU_DEP_2) | instskip(SKIP_1) | instid1(VALU_DEP_1)
	v_add_co_ci_u32_e32 v4, vcc_lo, v5, v6, vcc_lo
	s_waitcnt vmcnt(0)
	v_cmp_ge_u64_e32 vcc_lo, v[3:4], v[1:2]
	s_and_b32 exec_lo, exec_lo, vcc_lo
	s_cbranch_execz .LBB13_419
; %bb.417:                              ;   in Loop: Header=BB13_326 Depth=2
	v_sub_nc_u32_e32 v1, 0, v0
	v_add_nc_u32_e32 v3, -1, v10
	v_sub_nc_u32_e32 v4, 1, v10
	s_delay_alu instid0(VALU_DEP_3) | instskip(NEXT) | instid1(VALU_DEP_2)
	v_max_i32_e32 v0, v0, v1
	v_max_i32_e32 v4, v3, v4
	s_delay_alu instid0(VALU_DEP_2) | instskip(SKIP_1) | instid1(VALU_DEP_2)
	v_cvt_f32_u32_e32 v1, v0
	v_sub_nc_u32_e32 v2, 0, v0
	v_rcp_iflag_f32_e32 v1, v1
	s_waitcnt_depctr 0xfff
	v_mul_f32_e32 v1, 0x4f7ffffe, v1
	s_delay_alu instid0(VALU_DEP_1) | instskip(NEXT) | instid1(VALU_DEP_1)
	v_cvt_u32_f32_e32 v1, v1
	v_mul_lo_u32 v2, v2, v1
	s_delay_alu instid0(VALU_DEP_1) | instskip(NEXT) | instid1(VALU_DEP_1)
	v_mul_hi_u32 v2, v1, v2
	v_add_nc_u32_e32 v1, v1, v2
	s_delay_alu instid0(VALU_DEP_1) | instskip(NEXT) | instid1(VALU_DEP_1)
	v_mul_hi_u32 v1, v4, v1
	v_mul_lo_u32 v1, v1, v0
	s_delay_alu instid0(VALU_DEP_1) | instskip(SKIP_1) | instid1(VALU_DEP_2)
	v_sub_nc_u32_e32 v1, v4, v1
	v_ashrrev_i32_e32 v4, 31, v3
	v_sub_nc_u32_e32 v2, v1, v0
	v_cmp_ge_u32_e32 vcc_lo, v1, v0
	s_delay_alu instid0(VALU_DEP_2) | instskip(NEXT) | instid1(VALU_DEP_1)
	v_cndmask_b32_e32 v1, v1, v2, vcc_lo
	v_sub_nc_u32_e32 v2, v1, v0
	v_cmp_ge_u32_e32 vcc_lo, v1, v0
	s_delay_alu instid0(VALU_DEP_2) | instskip(NEXT) | instid1(VALU_DEP_1)
	v_cndmask_b32_e32 v0, v1, v2, vcc_lo
	v_xor_b32_e32 v0, v0, v4
	s_delay_alu instid0(VALU_DEP_1) | instskip(NEXT) | instid1(VALU_DEP_1)
	v_sub_nc_u32_e32 v0, v4, v0
	v_add_nc_u32_e32 v0, v3, v0
	s_delay_alu instid0(VALU_DEP_1)
	v_cmp_ge_i32_e32 vcc_lo, v9, v0
	s_and_b32 exec_lo, exec_lo, vcc_lo
	s_cbranch_execz .LBB13_419
; %bb.418:                              ;   in Loop: Header=BB13_326 Depth=2
	ds_store_b32 v0, v19 offset:32
.LBB13_419:                             ;   in Loop: Header=BB13_326 Depth=2
	s_or_b32 exec_lo, exec_lo, s6
	s_delay_alu instid0(SALU_CYCLE_1)
	s_and_not1_b32 s11, s11, exec_lo
.LBB13_420:                             ;   in Loop: Header=BB13_326 Depth=2
	s_or_b32 exec_lo, exec_lo, s8
	v_cndmask_b32_e64 v0, 1, 3, s7
	s_add_i32 s10, s10, 1
	s_and_b32 s6, exec_lo, s11
	s_delay_alu instid0(SALU_CYCLE_1)
	s_or_b32 s9, s6, s9
	ds_store_b32 v0, v0 offset:36
	s_and_not1_b32 exec_lo, exec_lo, s9
	s_cbranch_execnz .LBB13_326
; %bb.421:                              ;   in Loop: Header=BB13_4 Depth=1
	s_or_b32 exec_lo, exec_lo, s9
.LBB13_422:                             ;   in Loop: Header=BB13_4 Depth=1
	s_delay_alu instid0(SALU_CYCLE_1)
	s_or_b32 exec_lo, exec_lo, s16
	s_cbranch_execnz .LBB13_433
; %bb.423:                              ;   in Loop: Header=BB13_4 Depth=1
	ds_load_b32 v0, v0
	s_add_i32 s18, s18, 1
	s_waitcnt lgkmcnt(0)
	v_cmp_lt_i32_e32 vcc_lo, s18, v0
	s_cbranch_vccnz .LBB13_4
.LBB13_424:
	v_readlane_b32 s30, v40, 1
	v_readlane_b32 s31, v40, 2
	;; [unrolled: 1-line block ×3, first 2 shown]
	s_or_saveexec_b32 s0, -1
	scratch_load_b32 v40, off, s32 offset:344 ; 4-byte Folded Reload
	s_mov_b32 exec_lo, s0
	s_waitcnt vmcnt(0)
	s_setpc_b64 s[30:31]
.LBB13_425:
	s_trap 2
	s_sendmsg_rtn_b32 s0, sendmsg(MSG_RTN_GET_DOORBELL)
	s_mov_b32 ttmp2, m0
	s_waitcnt lgkmcnt(0)
	s_and_b32 s0, s0, 0x3ff
	s_delay_alu instid0(SALU_CYCLE_1) | instskip(NEXT) | instid1(SALU_CYCLE_1)
	s_bitset1_b32 s0, 10
	s_mov_b32 m0, s0
	s_sendmsg sendmsg(MSG_INTERRUPT)
	s_mov_b32 m0, ttmp2
.LBB13_426:                             ; =>This Inner Loop Header: Depth=1
	s_sethalt 5
	s_branch .LBB13_426
.LBB13_427:
	s_trap 2
	s_sendmsg_rtn_b32 s0, sendmsg(MSG_RTN_GET_DOORBELL)
	s_mov_b32 ttmp2, m0
	s_waitcnt lgkmcnt(0)
	s_and_b32 s0, s0, 0x3ff
	s_delay_alu instid0(SALU_CYCLE_1) | instskip(NEXT) | instid1(SALU_CYCLE_1)
	s_bitset1_b32 s0, 10
	s_mov_b32 m0, s0
	s_sendmsg sendmsg(MSG_INTERRUPT)
	s_mov_b32 m0, ttmp2
.LBB13_428:                             ; =>This Inner Loop Header: Depth=1
	s_sethalt 5
	s_branch .LBB13_428
.LBB13_429:
	s_trap 2
	s_sendmsg_rtn_b32 s0, sendmsg(MSG_RTN_GET_DOORBELL)
	s_mov_b32 ttmp2, m0
	s_waitcnt lgkmcnt(0)
	s_and_b32 s0, s0, 0x3ff
	s_delay_alu instid0(SALU_CYCLE_1) | instskip(NEXT) | instid1(SALU_CYCLE_1)
	s_bitset1_b32 s0, 10
	s_mov_b32 m0, s0
	s_sendmsg sendmsg(MSG_INTERRUPT)
	s_mov_b32 m0, ttmp2
.LBB13_430:                             ; =>This Inner Loop Header: Depth=1
	s_sethalt 5
	s_branch .LBB13_430
.LBB13_431:
	s_trap 2
	s_sendmsg_rtn_b32 s0, sendmsg(MSG_RTN_GET_DOORBELL)
	s_mov_b32 ttmp2, m0
	s_waitcnt lgkmcnt(0)
	s_and_b32 s0, s0, 0x3ff
	s_delay_alu instid0(SALU_CYCLE_1) | instskip(NEXT) | instid1(SALU_CYCLE_1)
	s_bitset1_b32 s0, 10
	s_mov_b32 m0, s0
	s_sendmsg sendmsg(MSG_INTERRUPT)
	s_mov_b32 m0, ttmp2
.LBB13_432:                             ; =>This Inner Loop Header: Depth=1
	s_sethalt 5
	s_branch .LBB13_432
.LBB13_433:
	s_trap 2
	s_sendmsg_rtn_b32 s0, sendmsg(MSG_RTN_GET_DOORBELL)
	s_mov_b32 ttmp2, m0
	s_waitcnt lgkmcnt(0)
	s_and_b32 s0, s0, 0x3ff
	s_delay_alu instid0(SALU_CYCLE_1) | instskip(NEXT) | instid1(SALU_CYCLE_1)
	s_bitset1_b32 s0, 10
	s_mov_b32 m0, s0
	s_sendmsg sendmsg(MSG_INTERRUPT)
	s_mov_b32 m0, ttmp2
.LBB13_434:                             ; =>This Inner Loop Header: Depth=1
	s_sethalt 5
	s_branch .LBB13_434
.LBB13_435:
	s_trap 2
	s_sendmsg_rtn_b32 s0, sendmsg(MSG_RTN_GET_DOORBELL)
	s_mov_b32 ttmp2, m0
	s_waitcnt lgkmcnt(0)
	s_and_b32 s0, s0, 0x3ff
	s_delay_alu instid0(SALU_CYCLE_1) | instskip(NEXT) | instid1(SALU_CYCLE_1)
	s_bitset1_b32 s0, 10
	s_mov_b32 m0, s0
	s_sendmsg sendmsg(MSG_INTERRUPT)
	s_mov_b32 m0, ttmp2
.LBB13_436:                             ; =>This Inner Loop Header: Depth=1
	s_sethalt 5
	s_branch .LBB13_436
.LBB13_437:
	s_trap 2
	s_sendmsg_rtn_b32 s0, sendmsg(MSG_RTN_GET_DOORBELL)
	s_mov_b32 ttmp2, m0
	s_waitcnt lgkmcnt(0)
	s_and_b32 s0, s0, 0x3ff
	s_delay_alu instid0(SALU_CYCLE_1) | instskip(NEXT) | instid1(SALU_CYCLE_1)
	s_bitset1_b32 s0, 10
	s_mov_b32 m0, s0
	s_sendmsg sendmsg(MSG_INTERRUPT)
	s_mov_b32 m0, ttmp2
.LBB13_438:                             ; =>This Inner Loop Header: Depth=1
	s_sethalt 5
	s_branch .LBB13_438
.LBB13_439:
	s_trap 2
	s_sendmsg_rtn_b32 s0, sendmsg(MSG_RTN_GET_DOORBELL)
	s_mov_b32 ttmp2, m0
	s_waitcnt lgkmcnt(0)
	s_and_b32 s0, s0, 0x3ff
	s_delay_alu instid0(SALU_CYCLE_1) | instskip(NEXT) | instid1(SALU_CYCLE_1)
	s_bitset1_b32 s0, 10
	s_mov_b32 m0, s0
	s_sendmsg sendmsg(MSG_INTERRUPT)
	s_mov_b32 m0, ttmp2
.LBB13_440:                             ; =>This Inner Loop Header: Depth=1
	s_sethalt 5
	s_branch .LBB13_440
.LBB13_441:
	s_trap 2
	s_sendmsg_rtn_b32 s0, sendmsg(MSG_RTN_GET_DOORBELL)
	s_mov_b32 ttmp2, m0
	s_waitcnt lgkmcnt(0)
	s_and_b32 s0, s0, 0x3ff
	s_delay_alu instid0(SALU_CYCLE_1) | instskip(NEXT) | instid1(SALU_CYCLE_1)
	s_bitset1_b32 s0, 10
	s_mov_b32 m0, s0
	s_sendmsg sendmsg(MSG_INTERRUPT)
	s_mov_b32 m0, ttmp2
.LBB13_442:                             ; =>This Inner Loop Header: Depth=1
	s_sethalt 5
	s_branch .LBB13_442
.LBB13_443:
	s_trap 2
	s_sendmsg_rtn_b32 s0, sendmsg(MSG_RTN_GET_DOORBELL)
	s_mov_b32 ttmp2, m0
	s_waitcnt lgkmcnt(0)
	s_and_b32 s0, s0, 0x3ff
	s_delay_alu instid0(SALU_CYCLE_1) | instskip(NEXT) | instid1(SALU_CYCLE_1)
	s_bitset1_b32 s0, 10
	s_mov_b32 m0, s0
	s_sendmsg sendmsg(MSG_INTERRUPT)
	s_mov_b32 m0, ttmp2
.LBB13_444:                             ; =>This Inner Loop Header: Depth=1
	s_sethalt 5
	s_branch .LBB13_444
.LBB13_445:
	s_trap 2
	s_sendmsg_rtn_b32 s0, sendmsg(MSG_RTN_GET_DOORBELL)
	s_mov_b32 ttmp2, m0
	s_waitcnt lgkmcnt(0)
	s_and_b32 s0, s0, 0x3ff
	s_delay_alu instid0(SALU_CYCLE_1) | instskip(NEXT) | instid1(SALU_CYCLE_1)
	s_bitset1_b32 s0, 10
	s_mov_b32 m0, s0
	s_sendmsg sendmsg(MSG_INTERRUPT)
	s_mov_b32 m0, ttmp2
.LBB13_446:                             ; =>This Inner Loop Header: Depth=1
	s_sethalt 5
	s_branch .LBB13_446
.LBB13_447:
	s_trap 2
	s_sendmsg_rtn_b32 s0, sendmsg(MSG_RTN_GET_DOORBELL)
	s_mov_b32 ttmp2, m0
	s_waitcnt lgkmcnt(0)
	s_and_b32 s0, s0, 0x3ff
	s_delay_alu instid0(SALU_CYCLE_1) | instskip(NEXT) | instid1(SALU_CYCLE_1)
	s_bitset1_b32 s0, 10
	s_mov_b32 m0, s0
	s_sendmsg sendmsg(MSG_INTERRUPT)
	s_mov_b32 m0, ttmp2
.LBB13_448:                             ; =>This Inner Loop Header: Depth=1
	s_sethalt 5
	s_branch .LBB13_448
.LBB13_449:
	s_trap 2
	s_sendmsg_rtn_b32 s0, sendmsg(MSG_RTN_GET_DOORBELL)
	s_mov_b32 ttmp2, m0
	s_waitcnt lgkmcnt(0)
	s_and_b32 s0, s0, 0x3ff
	s_delay_alu instid0(SALU_CYCLE_1) | instskip(NEXT) | instid1(SALU_CYCLE_1)
	s_bitset1_b32 s0, 10
	s_mov_b32 m0, s0
	s_sendmsg sendmsg(MSG_INTERRUPT)
	s_mov_b32 m0, ttmp2
.LBB13_450:                             ; =>This Inner Loop Header: Depth=1
	s_sethalt 5
	s_branch .LBB13_450
.LBB13_451:
	s_trap 2
	s_sendmsg_rtn_b32 s0, sendmsg(MSG_RTN_GET_DOORBELL)
	s_mov_b32 ttmp2, m0
	s_waitcnt lgkmcnt(0)
	s_and_b32 s0, s0, 0x3ff
	s_delay_alu instid0(SALU_CYCLE_1) | instskip(NEXT) | instid1(SALU_CYCLE_1)
	s_bitset1_b32 s0, 10
	s_mov_b32 m0, s0
	s_sendmsg sendmsg(MSG_INTERRUPT)
	s_mov_b32 m0, ttmp2
.LBB13_452:                             ; =>This Inner Loop Header: Depth=1
	s_sethalt 5
	s_branch .LBB13_452
.LBB13_453:
	s_trap 2
	s_sendmsg_rtn_b32 s0, sendmsg(MSG_RTN_GET_DOORBELL)
	s_mov_b32 ttmp2, m0
	s_waitcnt lgkmcnt(0)
	s_and_b32 s0, s0, 0x3ff
	s_delay_alu instid0(SALU_CYCLE_1) | instskip(NEXT) | instid1(SALU_CYCLE_1)
	s_bitset1_b32 s0, 10
	s_mov_b32 m0, s0
	s_sendmsg sendmsg(MSG_INTERRUPT)
	s_mov_b32 m0, ttmp2
.LBB13_454:                             ; =>This Inner Loop Header: Depth=1
	s_sethalt 5
	s_branch .LBB13_454
.LBB13_455:
	s_trap 2
	s_sendmsg_rtn_b32 s0, sendmsg(MSG_RTN_GET_DOORBELL)
	s_mov_b32 ttmp2, m0
	s_waitcnt lgkmcnt(0)
	s_and_b32 s0, s0, 0x3ff
	s_delay_alu instid0(SALU_CYCLE_1) | instskip(NEXT) | instid1(SALU_CYCLE_1)
	s_bitset1_b32 s0, 10
	s_mov_b32 m0, s0
	s_sendmsg sendmsg(MSG_INTERRUPT)
	s_mov_b32 m0, ttmp2
.LBB13_456:                             ; =>This Inner Loop Header: Depth=1
	s_sethalt 5
	s_branch .LBB13_456
.LBB13_457:
	s_trap 2
	s_sendmsg_rtn_b32 s0, sendmsg(MSG_RTN_GET_DOORBELL)
	s_mov_b32 ttmp2, m0
	s_waitcnt lgkmcnt(0)
	s_and_b32 s0, s0, 0x3ff
	s_delay_alu instid0(SALU_CYCLE_1) | instskip(NEXT) | instid1(SALU_CYCLE_1)
	s_bitset1_b32 s0, 10
	s_mov_b32 m0, s0
	s_sendmsg sendmsg(MSG_INTERRUPT)
	s_mov_b32 m0, ttmp2
.LBB13_458:                             ; =>This Inner Loop Header: Depth=1
	s_sethalt 5
	s_branch .LBB13_458
.LBB13_459:
	s_trap 2
	s_sendmsg_rtn_b32 s0, sendmsg(MSG_RTN_GET_DOORBELL)
	s_mov_b32 ttmp2, m0
	s_waitcnt lgkmcnt(0)
	s_and_b32 s0, s0, 0x3ff
	s_delay_alu instid0(SALU_CYCLE_1) | instskip(NEXT) | instid1(SALU_CYCLE_1)
	s_bitset1_b32 s0, 10
	s_mov_b32 m0, s0
	s_sendmsg sendmsg(MSG_INTERRUPT)
	s_mov_b32 m0, ttmp2
.LBB13_460:                             ; =>This Inner Loop Header: Depth=1
	s_sethalt 5
	s_branch .LBB13_460
.LBB13_461:
	s_trap 2
	s_sendmsg_rtn_b32 s0, sendmsg(MSG_RTN_GET_DOORBELL)
	s_mov_b32 ttmp2, m0
	s_waitcnt lgkmcnt(0)
	s_and_b32 s0, s0, 0x3ff
	s_delay_alu instid0(SALU_CYCLE_1) | instskip(NEXT) | instid1(SALU_CYCLE_1)
	s_bitset1_b32 s0, 10
	s_mov_b32 m0, s0
	s_sendmsg sendmsg(MSG_INTERRUPT)
	s_mov_b32 m0, ttmp2
.LBB13_462:                             ; =>This Inner Loop Header: Depth=1
	s_sethalt 5
	s_branch .LBB13_462
.LBB13_463:
	s_trap 2
	s_sendmsg_rtn_b32 s0, sendmsg(MSG_RTN_GET_DOORBELL)
	s_mov_b32 ttmp2, m0
	s_waitcnt lgkmcnt(0)
	s_and_b32 s0, s0, 0x3ff
	s_delay_alu instid0(SALU_CYCLE_1) | instskip(NEXT) | instid1(SALU_CYCLE_1)
	s_bitset1_b32 s0, 10
	s_mov_b32 m0, s0
	s_sendmsg sendmsg(MSG_INTERRUPT)
	s_mov_b32 m0, ttmp2
.LBB13_464:                             ; =>This Inner Loop Header: Depth=1
	s_sethalt 5
	s_branch .LBB13_464
.LBB13_465:
	s_trap 2
	s_sendmsg_rtn_b32 s0, sendmsg(MSG_RTN_GET_DOORBELL)
	s_mov_b32 ttmp2, m0
	s_waitcnt lgkmcnt(0)
	s_and_b32 s0, s0, 0x3ff
	s_delay_alu instid0(SALU_CYCLE_1) | instskip(NEXT) | instid1(SALU_CYCLE_1)
	s_bitset1_b32 s0, 10
	s_mov_b32 m0, s0
	s_sendmsg sendmsg(MSG_INTERRUPT)
	s_mov_b32 m0, ttmp2
.LBB13_466:                             ; =>This Inner Loop Header: Depth=1
	s_sethalt 5
	s_branch .LBB13_466
.LBB13_467:
	s_trap 2
	s_sendmsg_rtn_b32 s0, sendmsg(MSG_RTN_GET_DOORBELL)
	s_mov_b32 ttmp2, m0
	s_waitcnt lgkmcnt(0)
	s_and_b32 s0, s0, 0x3ff
	s_delay_alu instid0(SALU_CYCLE_1) | instskip(NEXT) | instid1(SALU_CYCLE_1)
	s_bitset1_b32 s0, 10
	s_mov_b32 m0, s0
	s_sendmsg sendmsg(MSG_INTERRUPT)
	s_mov_b32 m0, ttmp2
.LBB13_468:                             ; =>This Inner Loop Header: Depth=1
	s_sethalt 5
	s_branch .LBB13_468
.LBB13_469:
	s_trap 2
	s_sendmsg_rtn_b32 s0, sendmsg(MSG_RTN_GET_DOORBELL)
	s_mov_b32 ttmp2, m0
	s_waitcnt lgkmcnt(0)
	s_and_b32 s0, s0, 0x3ff
	s_delay_alu instid0(SALU_CYCLE_1) | instskip(NEXT) | instid1(SALU_CYCLE_1)
	s_bitset1_b32 s0, 10
	s_mov_b32 m0, s0
	s_sendmsg sendmsg(MSG_INTERRUPT)
	s_mov_b32 m0, ttmp2
.LBB13_470:                             ; =>This Inner Loop Header: Depth=1
	s_sethalt 5
	s_branch .LBB13_470
.LBB13_471:
	s_trap 2
	s_sendmsg_rtn_b32 s0, sendmsg(MSG_RTN_GET_DOORBELL)
	s_mov_b32 ttmp2, m0
	s_waitcnt lgkmcnt(0)
	s_and_b32 s0, s0, 0x3ff
	s_delay_alu instid0(SALU_CYCLE_1) | instskip(NEXT) | instid1(SALU_CYCLE_1)
	s_bitset1_b32 s0, 10
	s_mov_b32 m0, s0
	s_sendmsg sendmsg(MSG_INTERRUPT)
	s_mov_b32 m0, ttmp2
.LBB13_472:                             ; =>This Inner Loop Header: Depth=1
	s_sethalt 5
	s_branch .LBB13_472
.LBB13_473:
	s_trap 2
	s_sendmsg_rtn_b32 s0, sendmsg(MSG_RTN_GET_DOORBELL)
	s_mov_b32 ttmp2, m0
	s_waitcnt lgkmcnt(0)
	s_and_b32 s0, s0, 0x3ff
	s_delay_alu instid0(SALU_CYCLE_1) | instskip(NEXT) | instid1(SALU_CYCLE_1)
	s_bitset1_b32 s0, 10
	s_mov_b32 m0, s0
	s_sendmsg sendmsg(MSG_INTERRUPT)
	s_mov_b32 m0, ttmp2
.LBB13_474:                             ; =>This Inner Loop Header: Depth=1
	s_sethalt 5
	s_branch .LBB13_474
.LBB13_475:
	s_trap 2
	s_sendmsg_rtn_b32 s0, sendmsg(MSG_RTN_GET_DOORBELL)
	s_mov_b32 ttmp2, m0
	s_waitcnt lgkmcnt(0)
	s_and_b32 s0, s0, 0x3ff
	s_delay_alu instid0(SALU_CYCLE_1) | instskip(NEXT) | instid1(SALU_CYCLE_1)
	s_bitset1_b32 s0, 10
	s_mov_b32 m0, s0
	s_sendmsg sendmsg(MSG_INTERRUPT)
	s_mov_b32 m0, ttmp2
.LBB13_476:                             ; =>This Inner Loop Header: Depth=1
	s_sethalt 5
	s_branch .LBB13_476
.LBB13_477:
	s_trap 2
	s_sendmsg_rtn_b32 s0, sendmsg(MSG_RTN_GET_DOORBELL)
	s_mov_b32 ttmp2, m0
	s_waitcnt lgkmcnt(0)
	s_and_b32 s0, s0, 0x3ff
	s_delay_alu instid0(SALU_CYCLE_1) | instskip(NEXT) | instid1(SALU_CYCLE_1)
	s_bitset1_b32 s0, 10
	s_mov_b32 m0, s0
	s_sendmsg sendmsg(MSG_INTERRUPT)
	s_mov_b32 m0, ttmp2
.LBB13_478:                             ; =>This Inner Loop Header: Depth=1
	s_sethalt 5
	s_branch .LBB13_478
.LBB13_479:
	s_trap 2
	s_sendmsg_rtn_b32 s0, sendmsg(MSG_RTN_GET_DOORBELL)
	s_mov_b32 ttmp2, m0
	s_waitcnt lgkmcnt(0)
	s_and_b32 s0, s0, 0x3ff
	s_delay_alu instid0(SALU_CYCLE_1) | instskip(NEXT) | instid1(SALU_CYCLE_1)
	s_bitset1_b32 s0, 10
	s_mov_b32 m0, s0
	s_sendmsg sendmsg(MSG_INTERRUPT)
	s_mov_b32 m0, ttmp2
.LBB13_480:                             ; =>This Inner Loop Header: Depth=1
	s_sethalt 5
	s_branch .LBB13_480
.LBB13_481:
	s_trap 2
	s_sendmsg_rtn_b32 s0, sendmsg(MSG_RTN_GET_DOORBELL)
	s_mov_b32 ttmp2, m0
	s_waitcnt lgkmcnt(0)
	s_and_b32 s0, s0, 0x3ff
	s_delay_alu instid0(SALU_CYCLE_1) | instskip(NEXT) | instid1(SALU_CYCLE_1)
	s_bitset1_b32 s0, 10
	s_mov_b32 m0, s0
	s_sendmsg sendmsg(MSG_INTERRUPT)
	s_mov_b32 m0, ttmp2
.LBB13_482:                             ; =>This Inner Loop Header: Depth=1
	s_sethalt 5
	s_branch .LBB13_482
.LBB13_483:
	s_trap 2
	s_sendmsg_rtn_b32 s0, sendmsg(MSG_RTN_GET_DOORBELL)
	s_mov_b32 ttmp2, m0
	s_waitcnt lgkmcnt(0)
	s_and_b32 s0, s0, 0x3ff
	s_delay_alu instid0(SALU_CYCLE_1) | instskip(NEXT) | instid1(SALU_CYCLE_1)
	s_bitset1_b32 s0, 10
	s_mov_b32 m0, s0
	s_sendmsg sendmsg(MSG_INTERRUPT)
	s_mov_b32 m0, ttmp2
.LBB13_484:                             ; =>This Inner Loop Header: Depth=1
	s_sethalt 5
	s_branch .LBB13_484
.LBB13_485:
	s_trap 2
	s_sendmsg_rtn_b32 s0, sendmsg(MSG_RTN_GET_DOORBELL)
	s_mov_b32 ttmp2, m0
	s_waitcnt lgkmcnt(0)
	s_and_b32 s0, s0, 0x3ff
	s_delay_alu instid0(SALU_CYCLE_1) | instskip(NEXT) | instid1(SALU_CYCLE_1)
	s_bitset1_b32 s0, 10
	s_mov_b32 m0, s0
	s_sendmsg sendmsg(MSG_INTERRUPT)
	s_mov_b32 m0, ttmp2
.LBB13_486:                             ; =>This Inner Loop Header: Depth=1
	s_sethalt 5
	s_branch .LBB13_486
.LBB13_487:
	s_trap 2
	s_sendmsg_rtn_b32 s0, sendmsg(MSG_RTN_GET_DOORBELL)
	s_mov_b32 ttmp2, m0
	s_waitcnt lgkmcnt(0)
	s_and_b32 s0, s0, 0x3ff
	s_delay_alu instid0(SALU_CYCLE_1) | instskip(NEXT) | instid1(SALU_CYCLE_1)
	s_bitset1_b32 s0, 10
	s_mov_b32 m0, s0
	s_sendmsg sendmsg(MSG_INTERRUPT)
	s_mov_b32 m0, ttmp2
.LBB13_488:                             ; =>This Inner Loop Header: Depth=1
	s_sethalt 5
	s_branch .LBB13_488
.LBB13_489:
	s_trap 2
	s_sendmsg_rtn_b32 s0, sendmsg(MSG_RTN_GET_DOORBELL)
	s_mov_b32 ttmp2, m0
	s_waitcnt lgkmcnt(0)
	s_and_b32 s0, s0, 0x3ff
	s_delay_alu instid0(SALU_CYCLE_1) | instskip(NEXT) | instid1(SALU_CYCLE_1)
	s_bitset1_b32 s0, 10
	s_mov_b32 m0, s0
	s_sendmsg sendmsg(MSG_INTERRUPT)
	s_mov_b32 m0, ttmp2
.LBB13_490:                             ; =>This Inner Loop Header: Depth=1
	s_sethalt 5
	s_branch .LBB13_490
.LBB13_491:
	s_trap 2
	s_sendmsg_rtn_b32 s0, sendmsg(MSG_RTN_GET_DOORBELL)
	s_mov_b32 ttmp2, m0
	s_waitcnt lgkmcnt(0)
	s_and_b32 s0, s0, 0x3ff
	s_delay_alu instid0(SALU_CYCLE_1) | instskip(NEXT) | instid1(SALU_CYCLE_1)
	s_bitset1_b32 s0, 10
	s_mov_b32 m0, s0
	s_sendmsg sendmsg(MSG_INTERRUPT)
	s_mov_b32 m0, ttmp2
.LBB13_492:                             ; =>This Inner Loop Header: Depth=1
	s_sethalt 5
	s_branch .LBB13_492
.LBB13_493:
	s_trap 2
	s_sendmsg_rtn_b32 s0, sendmsg(MSG_RTN_GET_DOORBELL)
	s_mov_b32 ttmp2, m0
	s_waitcnt lgkmcnt(0)
	s_and_b32 s0, s0, 0x3ff
	s_delay_alu instid0(SALU_CYCLE_1) | instskip(NEXT) | instid1(SALU_CYCLE_1)
	s_bitset1_b32 s0, 10
	s_mov_b32 m0, s0
	s_sendmsg sendmsg(MSG_INTERRUPT)
	s_mov_b32 m0, ttmp2
.LBB13_494:                             ; =>This Inner Loop Header: Depth=1
	s_sethalt 5
	s_branch .LBB13_494
.LBB13_495:
	s_trap 2
	s_sendmsg_rtn_b32 s0, sendmsg(MSG_RTN_GET_DOORBELL)
	s_mov_b32 ttmp2, m0
	s_waitcnt lgkmcnt(0)
	s_and_b32 s0, s0, 0x3ff
	s_delay_alu instid0(SALU_CYCLE_1) | instskip(NEXT) | instid1(SALU_CYCLE_1)
	s_bitset1_b32 s0, 10
	s_mov_b32 m0, s0
	s_sendmsg sendmsg(MSG_INTERRUPT)
	s_mov_b32 m0, ttmp2
.LBB13_496:                             ; =>This Inner Loop Header: Depth=1
	s_sethalt 5
	s_branch .LBB13_496
.LBB13_497:
	s_trap 2
	s_sendmsg_rtn_b32 s0, sendmsg(MSG_RTN_GET_DOORBELL)
	s_mov_b32 ttmp2, m0
	s_waitcnt lgkmcnt(0)
	s_and_b32 s0, s0, 0x3ff
	s_delay_alu instid0(SALU_CYCLE_1) | instskip(NEXT) | instid1(SALU_CYCLE_1)
	s_bitset1_b32 s0, 10
	s_mov_b32 m0, s0
	s_sendmsg sendmsg(MSG_INTERRUPT)
	s_mov_b32 m0, ttmp2
.LBB13_498:                             ; =>This Inner Loop Header: Depth=1
	s_sethalt 5
	s_branch .LBB13_498
.LBB13_499:
	s_trap 2
	s_sendmsg_rtn_b32 s0, sendmsg(MSG_RTN_GET_DOORBELL)
	s_mov_b32 ttmp2, m0
	s_waitcnt lgkmcnt(0)
	s_and_b32 s0, s0, 0x3ff
	s_delay_alu instid0(SALU_CYCLE_1) | instskip(NEXT) | instid1(SALU_CYCLE_1)
	s_bitset1_b32 s0, 10
	s_mov_b32 m0, s0
	s_sendmsg sendmsg(MSG_INTERRUPT)
	s_mov_b32 m0, ttmp2
.LBB13_500:                             ; =>This Inner Loop Header: Depth=1
	s_sethalt 5
	s_branch .LBB13_500
.LBB13_501:
	s_trap 2
	s_sendmsg_rtn_b32 s0, sendmsg(MSG_RTN_GET_DOORBELL)
	s_mov_b32 ttmp2, m0
	s_waitcnt lgkmcnt(0)
	s_and_b32 s0, s0, 0x3ff
	s_delay_alu instid0(SALU_CYCLE_1) | instskip(NEXT) | instid1(SALU_CYCLE_1)
	s_bitset1_b32 s0, 10
	s_mov_b32 m0, s0
	s_sendmsg sendmsg(MSG_INTERRUPT)
	s_mov_b32 m0, ttmp2
.LBB13_502:                             ; =>This Inner Loop Header: Depth=1
	s_sethalt 5
	s_branch .LBB13_502
.LBB13_503:
	s_trap 2
	s_sendmsg_rtn_b32 s0, sendmsg(MSG_RTN_GET_DOORBELL)
	s_mov_b32 ttmp2, m0
	s_waitcnt lgkmcnt(0)
	s_and_b32 s0, s0, 0x3ff
	s_delay_alu instid0(SALU_CYCLE_1) | instskip(NEXT) | instid1(SALU_CYCLE_1)
	s_bitset1_b32 s0, 10
	s_mov_b32 m0, s0
	s_sendmsg sendmsg(MSG_INTERRUPT)
	s_mov_b32 m0, ttmp2
.LBB13_504:                             ; =>This Inner Loop Header: Depth=1
	s_sethalt 5
	s_branch .LBB13_504
.LBB13_505:
	s_trap 2
	s_sendmsg_rtn_b32 s0, sendmsg(MSG_RTN_GET_DOORBELL)
	s_mov_b32 ttmp2, m0
	s_waitcnt lgkmcnt(0)
	s_and_b32 s0, s0, 0x3ff
	s_delay_alu instid0(SALU_CYCLE_1) | instskip(NEXT) | instid1(SALU_CYCLE_1)
	s_bitset1_b32 s0, 10
	s_mov_b32 m0, s0
	s_sendmsg sendmsg(MSG_INTERRUPT)
	s_mov_b32 m0, ttmp2
.LBB13_506:                             ; =>This Inner Loop Header: Depth=1
	s_sethalt 5
	s_branch .LBB13_506
.LBB13_507:
	s_trap 2
	s_sendmsg_rtn_b32 s0, sendmsg(MSG_RTN_GET_DOORBELL)
	s_mov_b32 ttmp2, m0
	s_waitcnt lgkmcnt(0)
	s_and_b32 s0, s0, 0x3ff
	s_delay_alu instid0(SALU_CYCLE_1) | instskip(NEXT) | instid1(SALU_CYCLE_1)
	s_bitset1_b32 s0, 10
	s_mov_b32 m0, s0
	s_sendmsg sendmsg(MSG_INTERRUPT)
	s_mov_b32 m0, ttmp2
.LBB13_508:                             ; =>This Inner Loop Header: Depth=1
	s_sethalt 5
	s_branch .LBB13_508
.LBB13_509:
	s_trap 2
	s_sendmsg_rtn_b32 s0, sendmsg(MSG_RTN_GET_DOORBELL)
	s_mov_b32 ttmp2, m0
	s_waitcnt lgkmcnt(0)
	s_and_b32 s0, s0, 0x3ff
	s_delay_alu instid0(SALU_CYCLE_1) | instskip(NEXT) | instid1(SALU_CYCLE_1)
	s_bitset1_b32 s0, 10
	s_mov_b32 m0, s0
	s_sendmsg sendmsg(MSG_INTERRUPT)
	s_mov_b32 m0, ttmp2
.LBB13_510:                             ; =>This Inner Loop Header: Depth=1
	s_sethalt 5
	s_branch .LBB13_510
.LBB13_511:
	s_trap 2
	s_sendmsg_rtn_b32 s0, sendmsg(MSG_RTN_GET_DOORBELL)
	s_mov_b32 ttmp2, m0
	s_waitcnt lgkmcnt(0)
	s_and_b32 s0, s0, 0x3ff
	s_delay_alu instid0(SALU_CYCLE_1) | instskip(NEXT) | instid1(SALU_CYCLE_1)
	s_bitset1_b32 s0, 10
	s_mov_b32 m0, s0
	s_sendmsg sendmsg(MSG_INTERRUPT)
	s_mov_b32 m0, ttmp2
.LBB13_512:                             ; =>This Inner Loop Header: Depth=1
	s_sethalt 5
	s_branch .LBB13_512
.LBB13_513:
	s_trap 2
	s_sendmsg_rtn_b32 s0, sendmsg(MSG_RTN_GET_DOORBELL)
	s_mov_b32 ttmp2, m0
	s_waitcnt lgkmcnt(0)
	s_and_b32 s0, s0, 0x3ff
	s_delay_alu instid0(SALU_CYCLE_1) | instskip(NEXT) | instid1(SALU_CYCLE_1)
	s_bitset1_b32 s0, 10
	s_mov_b32 m0, s0
	s_sendmsg sendmsg(MSG_INTERRUPT)
	s_mov_b32 m0, ttmp2
.LBB13_514:                             ; =>This Inner Loop Header: Depth=1
	s_sethalt 5
	s_branch .LBB13_514
.LBB13_515:
	s_trap 2
	s_sendmsg_rtn_b32 s0, sendmsg(MSG_RTN_GET_DOORBELL)
	s_mov_b32 ttmp2, m0
	s_waitcnt lgkmcnt(0)
	s_and_b32 s0, s0, 0x3ff
	s_delay_alu instid0(SALU_CYCLE_1) | instskip(NEXT) | instid1(SALU_CYCLE_1)
	s_bitset1_b32 s0, 10
	s_mov_b32 m0, s0
	s_sendmsg sendmsg(MSG_INTERRUPT)
	s_mov_b32 m0, ttmp2
.LBB13_516:                             ; =>This Inner Loop Header: Depth=1
	s_sethalt 5
	s_branch .LBB13_516
.LBB13_517:
	s_trap 2
	s_sendmsg_rtn_b32 s0, sendmsg(MSG_RTN_GET_DOORBELL)
	s_mov_b32 ttmp2, m0
	s_waitcnt lgkmcnt(0)
	s_and_b32 s0, s0, 0x3ff
	s_delay_alu instid0(SALU_CYCLE_1) | instskip(NEXT) | instid1(SALU_CYCLE_1)
	s_bitset1_b32 s0, 10
	s_mov_b32 m0, s0
	s_sendmsg sendmsg(MSG_INTERRUPT)
	s_mov_b32 m0, ttmp2
.LBB13_518:                             ; =>This Inner Loop Header: Depth=1
	s_sethalt 5
	s_branch .LBB13_518
.LBB13_519:
	s_trap 2
	s_sendmsg_rtn_b32 s0, sendmsg(MSG_RTN_GET_DOORBELL)
	s_mov_b32 ttmp2, m0
	s_waitcnt lgkmcnt(0)
	s_and_b32 s0, s0, 0x3ff
	s_delay_alu instid0(SALU_CYCLE_1) | instskip(NEXT) | instid1(SALU_CYCLE_1)
	s_bitset1_b32 s0, 10
	s_mov_b32 m0, s0
	s_sendmsg sendmsg(MSG_INTERRUPT)
	s_mov_b32 m0, ttmp2
.LBB13_520:                             ; =>This Inner Loop Header: Depth=1
	s_sethalt 5
	s_branch .LBB13_520
.LBB13_521:
	s_trap 2
	s_sendmsg_rtn_b32 s0, sendmsg(MSG_RTN_GET_DOORBELL)
	s_mov_b32 ttmp2, m0
	s_waitcnt lgkmcnt(0)
	s_and_b32 s0, s0, 0x3ff
	s_delay_alu instid0(SALU_CYCLE_1) | instskip(NEXT) | instid1(SALU_CYCLE_1)
	s_bitset1_b32 s0, 10
	s_mov_b32 m0, s0
	s_sendmsg sendmsg(MSG_INTERRUPT)
	s_mov_b32 m0, ttmp2
.LBB13_522:                             ; =>This Inner Loop Header: Depth=1
	s_sethalt 5
	s_branch .LBB13_522
.LBB13_523:
	s_trap 2
	s_sendmsg_rtn_b32 s0, sendmsg(MSG_RTN_GET_DOORBELL)
	s_mov_b32 ttmp2, m0
	s_waitcnt lgkmcnt(0)
	s_and_b32 s0, s0, 0x3ff
	s_delay_alu instid0(SALU_CYCLE_1) | instskip(NEXT) | instid1(SALU_CYCLE_1)
	s_bitset1_b32 s0, 10
	s_mov_b32 m0, s0
	s_sendmsg sendmsg(MSG_INTERRUPT)
	s_mov_b32 m0, ttmp2
.LBB13_524:                             ; =>This Inner Loop Header: Depth=1
	s_sethalt 5
	s_branch .LBB13_524
.LBB13_525:
	s_trap 2
	s_sendmsg_rtn_b32 s0, sendmsg(MSG_RTN_GET_DOORBELL)
	s_mov_b32 ttmp2, m0
	s_waitcnt lgkmcnt(0)
	s_and_b32 s0, s0, 0x3ff
	s_delay_alu instid0(SALU_CYCLE_1) | instskip(NEXT) | instid1(SALU_CYCLE_1)
	s_bitset1_b32 s0, 10
	s_mov_b32 m0, s0
	s_sendmsg sendmsg(MSG_INTERRUPT)
	s_mov_b32 m0, ttmp2
.LBB13_526:                             ; =>This Inner Loop Header: Depth=1
	s_sethalt 5
	s_branch .LBB13_526
.LBB13_527:
	s_trap 2
	s_sendmsg_rtn_b32 s0, sendmsg(MSG_RTN_GET_DOORBELL)
	s_mov_b32 ttmp2, m0
	s_waitcnt lgkmcnt(0)
	s_and_b32 s0, s0, 0x3ff
	s_delay_alu instid0(SALU_CYCLE_1) | instskip(NEXT) | instid1(SALU_CYCLE_1)
	s_bitset1_b32 s0, 10
	s_mov_b32 m0, s0
	s_sendmsg sendmsg(MSG_INTERRUPT)
	s_mov_b32 m0, ttmp2
.LBB13_528:                             ; =>This Inner Loop Header: Depth=1
	s_sethalt 5
	s_branch .LBB13_528
.LBB13_529:
	s_trap 2
	s_sendmsg_rtn_b32 s0, sendmsg(MSG_RTN_GET_DOORBELL)
	s_mov_b32 ttmp2, m0
	s_waitcnt lgkmcnt(0)
	s_and_b32 s0, s0, 0x3ff
	s_delay_alu instid0(SALU_CYCLE_1) | instskip(NEXT) | instid1(SALU_CYCLE_1)
	s_bitset1_b32 s0, 10
	s_mov_b32 m0, s0
	s_sendmsg sendmsg(MSG_INTERRUPT)
	s_mov_b32 m0, ttmp2
.LBB13_530:                             ; =>This Inner Loop Header: Depth=1
	s_sethalt 5
	s_branch .LBB13_530
.LBB13_531:
	s_trap 2
	s_sendmsg_rtn_b32 s0, sendmsg(MSG_RTN_GET_DOORBELL)
	s_mov_b32 ttmp2, m0
	s_waitcnt lgkmcnt(0)
	s_and_b32 s0, s0, 0x3ff
	s_delay_alu instid0(SALU_CYCLE_1) | instskip(NEXT) | instid1(SALU_CYCLE_1)
	s_bitset1_b32 s0, 10
	s_mov_b32 m0, s0
	s_sendmsg sendmsg(MSG_INTERRUPT)
	s_mov_b32 m0, ttmp2
.LBB13_532:                             ; =>This Inner Loop Header: Depth=1
	s_sethalt 5
	s_branch .LBB13_532
.LBB13_533:
	s_trap 2
	s_sendmsg_rtn_b32 s0, sendmsg(MSG_RTN_GET_DOORBELL)
	s_mov_b32 ttmp2, m0
	s_waitcnt lgkmcnt(0)
	s_and_b32 s0, s0, 0x3ff
	s_delay_alu instid0(SALU_CYCLE_1) | instskip(NEXT) | instid1(SALU_CYCLE_1)
	s_bitset1_b32 s0, 10
	s_mov_b32 m0, s0
	s_sendmsg sendmsg(MSG_INTERRUPT)
	s_mov_b32 m0, ttmp2
.LBB13_534:                             ; =>This Inner Loop Header: Depth=1
	s_sethalt 5
	s_branch .LBB13_534
.LBB13_535:
	s_trap 2
	s_sendmsg_rtn_b32 s0, sendmsg(MSG_RTN_GET_DOORBELL)
	s_mov_b32 ttmp2, m0
	s_waitcnt lgkmcnt(0)
	s_and_b32 s0, s0, 0x3ff
	s_delay_alu instid0(SALU_CYCLE_1) | instskip(NEXT) | instid1(SALU_CYCLE_1)
	s_bitset1_b32 s0, 10
	s_mov_b32 m0, s0
	s_sendmsg sendmsg(MSG_INTERRUPT)
	s_mov_b32 m0, ttmp2
.LBB13_536:                             ; =>This Inner Loop Header: Depth=1
	s_sethalt 5
	s_branch .LBB13_536
.LBB13_537:
	s_trap 2
	s_sendmsg_rtn_b32 s0, sendmsg(MSG_RTN_GET_DOORBELL)
	s_mov_b32 ttmp2, m0
	s_waitcnt lgkmcnt(0)
	s_and_b32 s0, s0, 0x3ff
	s_delay_alu instid0(SALU_CYCLE_1) | instskip(NEXT) | instid1(SALU_CYCLE_1)
	s_bitset1_b32 s0, 10
	s_mov_b32 m0, s0
	s_sendmsg sendmsg(MSG_INTERRUPT)
	s_mov_b32 m0, ttmp2
.LBB13_538:                             ; =>This Inner Loop Header: Depth=1
	s_sethalt 5
	s_branch .LBB13_538
.LBB13_539:
	s_trap 2
	s_sendmsg_rtn_b32 s0, sendmsg(MSG_RTN_GET_DOORBELL)
	s_mov_b32 ttmp2, m0
	s_waitcnt lgkmcnt(0)
	s_and_b32 s0, s0, 0x3ff
	s_delay_alu instid0(SALU_CYCLE_1) | instskip(NEXT) | instid1(SALU_CYCLE_1)
	s_bitset1_b32 s0, 10
	s_mov_b32 m0, s0
	s_sendmsg sendmsg(MSG_INTERRUPT)
	s_mov_b32 m0, ttmp2
.LBB13_540:                             ; =>This Inner Loop Header: Depth=1
	s_sethalt 5
	s_branch .LBB13_540
.LBB13_541:
	s_trap 2
	s_sendmsg_rtn_b32 s0, sendmsg(MSG_RTN_GET_DOORBELL)
	s_mov_b32 ttmp2, m0
	s_waitcnt lgkmcnt(0)
	s_and_b32 s0, s0, 0x3ff
	s_delay_alu instid0(SALU_CYCLE_1) | instskip(NEXT) | instid1(SALU_CYCLE_1)
	s_bitset1_b32 s0, 10
	s_mov_b32 m0, s0
	s_sendmsg sendmsg(MSG_INTERRUPT)
	s_mov_b32 m0, ttmp2
.LBB13_542:                             ; =>This Inner Loop Header: Depth=1
	s_sethalt 5
	s_branch .LBB13_542
.LBB13_543:
	s_trap 2
	s_sendmsg_rtn_b32 s0, sendmsg(MSG_RTN_GET_DOORBELL)
	s_mov_b32 ttmp2, m0
	s_waitcnt lgkmcnt(0)
	s_and_b32 s0, s0, 0x3ff
	s_delay_alu instid0(SALU_CYCLE_1) | instskip(NEXT) | instid1(SALU_CYCLE_1)
	s_bitset1_b32 s0, 10
	s_mov_b32 m0, s0
	s_sendmsg sendmsg(MSG_INTERRUPT)
	s_mov_b32 m0, ttmp2
.LBB13_544:                             ; =>This Inner Loop Header: Depth=1
	s_sethalt 5
	s_branch .LBB13_544
.LBB13_545:
	s_trap 2
	s_sendmsg_rtn_b32 s0, sendmsg(MSG_RTN_GET_DOORBELL)
	s_mov_b32 ttmp2, m0
	s_waitcnt lgkmcnt(0)
	s_and_b32 s0, s0, 0x3ff
	s_delay_alu instid0(SALU_CYCLE_1) | instskip(NEXT) | instid1(SALU_CYCLE_1)
	s_bitset1_b32 s0, 10
	s_mov_b32 m0, s0
	s_sendmsg sendmsg(MSG_INTERRUPT)
	s_mov_b32 m0, ttmp2
.LBB13_546:                             ; =>This Inner Loop Header: Depth=1
	s_sethalt 5
	s_branch .LBB13_546
.Lfunc_end13:
	.size	_Z45ncclDevFunc_AllGather_PAT_SIMPLE_Sum_i8_0_0_2v, .Lfunc_end13-_Z45ncclDevFunc_AllGather_PAT_SIMPLE_Sum_i8_0_0_2v
                                        ; -- End function
	.section	.AMDGPU.csdata,"",@progbits
; Function info:
; codeLenInByte = 19520
; NumSgprs: 37
; NumVgprs: 116
; ScratchSize: 352
; MemoryBound: 0
	.text
	.p2align	2                               ; -- Begin function _ZN12_GLOBAL__N_17runRingIa7FuncSumIaE7ProtoLLLi0ELi4ELi0ELb0EEEviiP15ncclDevWorkColl
	.type	_ZN12_GLOBAL__N_17runRingIa7FuncSumIaE7ProtoLLLi0ELi4ELi0ELb0EEEviiP15ncclDevWorkColl,@function
_ZN12_GLOBAL__N_17runRingIa7FuncSumIaE7ProtoLLLi0ELi4ELi0ELb0EEEviiP15ncclDevWorkColl: ; @_ZN12_GLOBAL__N_17runRingIa7FuncSumIaE7ProtoLLLi0ELi4ELi0ELb0EEEviiP15ncclDevWorkColl
; %bb.0:
	s_waitcnt vmcnt(0) expcnt(0) lgkmcnt(0)
	s_cbranch_execnz .LBB14_15
; %bb.1:
	v_mov_b32_e32 v4, v0
	s_clause 0x2
	flat_load_b32 v0, v[2:3]
	flat_load_b128 v[5:8], v[2:3] offset:72
	flat_load_b64 v[13:14], v[2:3] offset:88
	s_mov_b32 s0, exec_lo
                                        ; implicit-def: $vgpr27_vgpr28
	s_waitcnt vmcnt(2) lgkmcnt(2)
	v_and_b32_e32 v11, 0xff, v0
	v_bfe_u32 v10, v0, 8, 8
	s_delay_alu instid0(VALU_DEP_2) | instskip(SKIP_3) | instid1(VALU_DEP_1)
	v_not_b32_e32 v0, v11
	ds_load_b32 v9, v0
	ds_load_b64 v[25:26], v0
	v_add_nc_u32_e32 v12, v10, v0
	v_ashrrev_i32_e32 v17, 31, v12
	s_waitcnt vmcnt(1) lgkmcnt(3)
	v_mul_lo_u32 v18, v8, v12
	v_mad_u64_u32 v[15:16], null, v7, v12, 0
	s_delay_alu instid0(VALU_DEP_3) | instskip(NEXT) | instid1(VALU_DEP_1)
	v_mul_lo_u32 v12, v7, v17
	v_add3_u32 v16, v16, v12, v18
	s_waitcnt lgkmcnt(1)
	v_readfirstlane_b32 s10, v9
                                        ; implicit-def: $vgpr17_vgpr18
	v_cmpx_ne_u32_e64 v11, v9
	s_xor_b32 s0, exec_lo, s0
	s_cbranch_execz .LBB14_7
; %bb.2:
	s_mov_b32 s1, exec_lo
                                        ; implicit-def: $vgpr17_vgpr18
                                        ; implicit-def: $vgpr27_vgpr28
	v_cmpx_ne_u32_e64 v10, v9
	s_xor_b32 s1, exec_lo, s1
	s_cbranch_execz .LBB14_4
; %bb.3:
	flat_load_b64 v[10:11], v[2:3] offset:96
	v_add_nc_u32_e32 v0, v9, v0
	s_delay_alu instid0(VALU_DEP_1) | instskip(SKIP_2) | instid1(VALU_DEP_3)
	v_ashrrev_i32_e32 v9, 31, v0
	v_mul_lo_u32 v12, v8, v0
	v_mad_u64_u32 v[27:28], null, v7, v0, v[5:6]
	v_mul_lo_u32 v9, v7, v9
	s_delay_alu instid0(VALU_DEP_1)
	v_add3_u32 v28, v12, v28, v9
	s_waitcnt vmcnt(0) lgkmcnt(0)
	v_lshrrev_b64 v[17:18], 21, v[10:11]
.LBB14_4:
	s_and_not1_saveexec_b32 s1, s1
	s_cbranch_execz .LBB14_6
; %bb.5:
	flat_load_b32 v0, v[2:3] offset:100
	v_add_co_u32 v27, vcc_lo, v15, v5
	v_add_co_ci_u32_e32 v28, vcc_lo, v16, v6, vcc_lo
	s_waitcnt vmcnt(1)
	v_dual_mov_b32 v7, v13 :: v_dual_mov_b32 v8, v14
	s_waitcnt vmcnt(0) lgkmcnt(0)
	v_lshrrev_b32_e32 v17, 10, v0
.LBB14_6:
	s_or_b32 exec_lo, exec_lo, s1
.LBB14_7:
	s_and_not1_saveexec_b32 s0, s0
	s_cbranch_execz .LBB14_9
; %bb.8:
	flat_load_b64 v[17:18], v[2:3] offset:96
	v_dual_mov_b32 v27, 0 :: v_dual_mov_b32 v8, v6
	v_dual_mov_b32 v28, 0 :: v_dual_mov_b32 v7, v5
.LBB14_9:
	s_or_b32 exec_lo, exec_lo, s0
	flat_load_b128 v[9:12], v[2:3] offset:16
	s_waitcnt vmcnt(1)
	v_add_co_u32 v0, vcc_lo, v13, v5
	v_add_co_ci_u32_e32 v5, vcc_lo, v14, v6, vcc_lo
	s_mov_b32 s0, exec_lo
	s_delay_alu instid0(VALU_DEP_2) | instskip(NEXT) | instid1(VALU_DEP_2)
	v_add_co_u32 v0, vcc_lo, v0, v15
	v_add_co_ci_u32_e32 v102, vcc_lo, v5, v16, vcc_lo
	v_cmpx_ge_i32_e64 v4, v1
	s_xor_b32 s1, exec_lo, s0
	s_cbranch_execz .LBB14_44
; %bb.10:
	s_waitcnt lgkmcnt(1)
	flat_load_b32 v5, v[25:26]
	s_mov_b32 s2, exec_lo
	s_waitcnt vmcnt(0) lgkmcnt(0)
	v_ashrrev_i32_e32 v2, 31, v5
	v_mul_lo_u32 v6, v102, v5
	s_delay_alu instid0(VALU_DEP_2) | instskip(SKIP_1) | instid1(VALU_DEP_1)
	v_mul_lo_u32 v13, v0, v2
	v_mad_u64_u32 v[2:3], null, v0, v5, 0
	v_add3_u32 v3, v3, v13, v6
	s_delay_alu instid0(VALU_DEP_2) | instskip(NEXT) | instid1(VALU_DEP_2)
	v_add_co_u32 v5, vcc_lo, v9, v2
	v_add_co_ci_u32_e32 v6, vcc_lo, v10, v3, vcc_lo
	s_delay_alu instid0(VALU_DEP_1)
	v_cmpx_ne_u64_e64 v[11:12], v[5:6]
	s_cbranch_execz .LBB14_43
; %bb.11:
	v_sub_nc_u32_e32 v1, v4, v1
	v_add_co_u32 v16, vcc_lo, v11, v27
	v_add_co_ci_u32_e32 v17, vcc_lo, v12, v28, vcc_lo
	s_delay_alu instid0(VALU_DEP_3) | instskip(SKIP_2) | instid1(VALU_DEP_3)
	v_ashrrev_i32_e32 v0, 31, v1
	v_add_co_u32 v5, vcc_lo, v9, v27
	v_add_co_ci_u32_e32 v6, vcc_lo, v10, v28, vcc_lo
	v_lshrrev_b32_e32 v0, 27, v0
	s_delay_alu instid0(VALU_DEP_3) | instskip(NEXT) | instid1(VALU_DEP_3)
	v_add_co_u32 v18, vcc_lo, v5, v2
	v_add_co_ci_u32_e32 v19, vcc_lo, v6, v3, vcc_lo
	s_delay_alu instid0(VALU_DEP_3) | instskip(SKIP_1) | instid1(VALU_DEP_1)
	v_add_nc_u32_e32 v0, v1, v0
	s_mov_b32 s0, exec_lo
	v_and_b32_e32 v4, 0xffffffe0, v0
	s_delay_alu instid0(VALU_DEP_1) | instskip(SKIP_1) | instid1(VALU_DEP_2)
	v_sub_nc_u32_e32 v20, v1, v4
	v_mov_b32_e32 v1, 0
	v_cmpx_gt_i32_e32 1, v20
; %bb.12:
	v_or_b32_e32 v1, v16, v18
	s_delay_alu instid0(VALU_DEP_1) | instskip(NEXT) | instid1(VALU_DEP_1)
	v_and_b32_e32 v1, 15, v1
	v_cmp_ne_u32_e32 vcc_lo, 0, v1
	v_cndmask_b32_e64 v1, 0, 1, vcc_lo
; %bb.13:
	s_or_b32 exec_lo, exec_lo, s0
	;;#ASMSTART
	;;#ASMEND
	s_delay_alu instid0(VALU_DEP_1)
	v_cmp_ne_u32_e32 vcc_lo, 0, v1
	v_ashrrev_i32_e32 v21, 5, v0
	s_mov_b32 s3, 0
	s_cbranch_vccz .LBB14_17
; %bb.14:
	s_delay_alu instid0(VALU_DEP_1)
	v_dual_mov_b32 v4, 0 :: v_dual_mov_b32 v15, v21
	v_dual_mov_b32 v5, 0 :: v_dual_mov_b32 v6, v20
	s_mov_b32 s5, -1
	s_mov_b32 s0, 0
                                        ; implicit-def: $vgpr2_vgpr3
                                        ; implicit-def: $vgpr0_vgpr1
	s_and_saveexec_b32 s4, s5
	s_cbranch_execnz .LBB14_28
	s_branch .LBB14_37
.LBB14_15:
	s_trap 2
	s_sendmsg_rtn_b32 s0, sendmsg(MSG_RTN_GET_DOORBELL)
	s_mov_b32 ttmp2, m0
	s_waitcnt lgkmcnt(0)
	s_and_b32 s0, s0, 0x3ff
	s_delay_alu instid0(SALU_CYCLE_1) | instskip(NEXT) | instid1(SALU_CYCLE_1)
	s_bitset1_b32 s0, 10
	s_mov_b32 m0, s0
	s_sendmsg sendmsg(MSG_INTERRUPT)
	s_mov_b32 m0, ttmp2
.LBB14_16:                              ; =>This Inner Loop Header: Depth=1
	s_sethalt 5
	s_branch .LBB14_16
.LBB14_17:
	v_ashrrev_i32_e32 v0, 31, v8
	v_mov_b32_e32 v4, 0
	v_mov_b32_e32 v5, 0
	s_mov_b32 s5, 0
	s_mov_b32 s0, -1
	v_lshrrev_b32_e32 v0, 20, v0
	s_mov_b32 s4, exec_lo
                                        ; implicit-def: $vgpr2_vgpr3
                                        ; implicit-def: $vgpr6
                                        ; implicit-def: $vgpr15
	s_delay_alu instid0(VALU_DEP_1) | instskip(SKIP_1) | instid1(VALU_DEP_1)
	v_add_co_u32 v0, vcc_lo, v7, v0
	v_add_co_ci_u32_e32 v1, vcc_lo, 0, v8, vcc_lo
	v_ashrrev_i64 v[9:10], 12, v[0:1]
	v_ashrrev_i32_e32 v0, 31, v21
	s_delay_alu instid0(VALU_DEP_2) | instskip(NEXT) | instid1(VALU_DEP_2)
	v_sub_co_u32 v11, vcc_lo, v9, v21
	v_sub_co_ci_u32_e32 v12, vcc_lo, v10, v0, vcc_lo
                                        ; implicit-def: $vgpr0_vgpr1
	s_delay_alu instid0(VALU_DEP_1)
	v_cmpx_gt_i64_e32 1, v[11:12]
	s_cbranch_execz .LBB14_27
; %bb.18:
	v_lshlrev_b64 v[0:1], 12, v[9:10]
	v_mov_b32_e32 v4, 0
	v_mov_b32_e32 v5, 0
	s_mov_b32 s6, 0
	s_mov_b32 s3, exec_lo
                                        ; implicit-def: $vgpr2_vgpr3
                                        ; implicit-def: $vgpr6
                                        ; implicit-def: $vgpr15
	s_delay_alu instid0(VALU_DEP_3)
	v_cmpx_ne_u64_e64 v[7:8], v[0:1]
	s_cbranch_execz .LBB14_26
; %bb.19:
	v_sub_co_u32 v4, vcc_lo, v7, v0
	v_sub_co_ci_u32_e32 v5, vcc_lo, v8, v1, vcc_lo
	v_mov_b32_e32 v3, 0
	s_delay_alu instid0(VALU_DEP_2) | instskip(NEXT) | instid1(VALU_DEP_1)
	v_ashrrev_i32_e32 v2, 31, v5
	v_lshrrev_b32_e32 v2, 23, v2
	s_delay_alu instid0(VALU_DEP_1) | instskip(SKIP_1) | instid1(VALU_DEP_2)
	v_add_co_u32 v12, vcc_lo, v4, v2
	v_add_co_ci_u32_e32 v13, vcc_lo, 0, v5, vcc_lo
	v_and_b32_e32 v2, 0xfffffe00, v12
	s_delay_alu instid0(VALU_DEP_2) | instskip(NEXT) | instid1(VALU_DEP_2)
	v_ashrrev_i64 v[14:15], 9, v[12:13]
	v_sub_co_u32 v9, vcc_lo, v4, v2
	v_add_co_u32 v12, s0, v2, v0
	v_sub_co_ci_u32_e32 v10, vcc_lo, v5, v13, vcc_lo
	v_add_co_ci_u32_e64 v13, s0, v13, v1, s0
	s_mov_b32 s0, exec_lo
	s_delay_alu instid0(VALU_DEP_2)
	v_cmpx_lt_i64_e32 15, v[9:10]
; %bb.20:
	v_and_b32_e32 v2, 15, v7
	s_delay_alu instid0(VALU_DEP_1) | instskip(SKIP_2) | instid1(VALU_DEP_3)
	v_sub_co_u32 v6, vcc_lo, v9, v2
	v_subrev_co_ci_u32_e32 v7, vcc_lo, 0, v10, vcc_lo
	v_add_co_u32 v14, vcc_lo, v14, 1
	v_add_co_u32 v12, vcc_lo, v6, v12
	s_delay_alu instid0(VALU_DEP_3)
	v_add_co_ci_u32_e32 v13, vcc_lo, v7, v13, vcc_lo
	v_dual_mov_b32 v10, v3 :: v_dual_mov_b32 v9, v2
; %bb.21:
	s_or_b32 exec_lo, exec_lo, s0
	v_lshlrev_b32_e32 v2, 5, v11
	s_mov_b32 s6, -1
                                        ; implicit-def: $vgpr7_vgpr8
                                        ; implicit-def: $vgpr15
	s_delay_alu instid0(VALU_DEP_1) | instskip(NEXT) | instid1(VALU_DEP_1)
	v_sub_nc_u32_e32 v2, v20, v2
	v_ashrrev_i32_e32 v3, 31, v2
	s_delay_alu instid0(VALU_DEP_1) | instskip(NEXT) | instid1(VALU_DEP_1)
	v_lshrrev_b32_e32 v3, 27, v3
	v_add_nc_u32_e32 v3, v2, v3
	s_delay_alu instid0(VALU_DEP_1) | instskip(SKIP_1) | instid1(VALU_DEP_2)
	v_and_b32_e32 v6, 0xffffffe0, v3
	v_ashrrev_i32_e32 v22, 5, v3
	v_sub_nc_u32_e32 v11, v2, v6
                                        ; implicit-def: $vgpr6
	s_delay_alu instid0(VALU_DEP_1) | instskip(NEXT) | instid1(VALU_DEP_1)
	v_lshlrev_b32_e32 v2, 4, v11
	v_lshl_add_u32 v2, v22, 9, v2
	s_delay_alu instid0(VALU_DEP_1) | instskip(SKIP_1) | instid1(VALU_DEP_2)
	v_ashrrev_i32_e32 v3, 31, v2
	v_sub_co_u32 v4, vcc_lo, v4, v2
	v_sub_co_ci_u32_e32 v5, vcc_lo, v5, v3, vcc_lo
	s_delay_alu instid0(VALU_DEP_1)
	v_cmp_gt_i64_e32 vcc_lo, 16, v[4:5]
	v_mov_b32_e32 v4, 0
	v_mov_b32_e32 v5, 0
	s_and_saveexec_b32 s0, vcc_lo
	s_cbranch_execz .LBB14_25
; %bb.22:
	v_mov_b32_e32 v4, 0
	v_mov_b32_e32 v5, 0
	s_mov_b32 s6, exec_lo
                                        ; implicit-def: $vgpr6
                                        ; implicit-def: $vgpr15
	v_cmpx_ne_u64_e32 0, v[9:10]
; %bb.23:
	v_sub_nc_u32_e32 v4, v22, v14
	s_mov_b32 s5, exec_lo
	s_delay_alu instid0(VALU_DEP_1) | instskip(NEXT) | instid1(VALU_DEP_1)
	v_lshl_add_u32 v4, v4, 5, v11
	v_ashrrev_i32_e32 v5, 31, v4
	s_delay_alu instid0(VALU_DEP_1) | instskip(NEXT) | instid1(VALU_DEP_1)
	v_lshrrev_b32_e32 v5, 27, v5
	v_add_nc_u32_e32 v5, v4, v5
	s_delay_alu instid0(VALU_DEP_1) | instskip(SKIP_1) | instid1(VALU_DEP_2)
	v_and_b32_e32 v6, 0xffffffe0, v5
	v_ashrrev_i32_e32 v15, 5, v5
	v_sub_nc_u32_e32 v6, v4, v6
	v_dual_mov_b32 v4, v12 :: v_dual_mov_b32 v5, v13
; %bb.24:
	s_or_b32 exec_lo, exec_lo, s6
	v_dual_mov_b32 v7, v9 :: v_dual_mov_b32 v8, v10
	s_xor_b32 s6, exec_lo, -1
	s_and_b32 s5, s5, exec_lo
.LBB14_25:
	s_or_b32 exec_lo, exec_lo, s0
	s_delay_alu instid0(SALU_CYCLE_1)
	s_and_b32 s6, s6, exec_lo
	s_and_b32 s5, s5, exec_lo
.LBB14_26:
	s_or_b32 exec_lo, exec_lo, s3
	s_delay_alu instid0(SALU_CYCLE_1)
	s_xor_b32 s0, exec_lo, -1
	s_and_b32 s3, s6, exec_lo
	s_and_b32 s5, s5, exec_lo
.LBB14_27:
	s_or_b32 exec_lo, exec_lo, s4
	s_and_saveexec_b32 s4, s5
	s_cbranch_execz .LBB14_37
.LBB14_28:
	v_ashrrev_i32_e32 v9, 31, v8
	s_mov_b32 s5, exec_lo
	s_delay_alu instid0(VALU_DEP_1) | instskip(NEXT) | instid1(VALU_DEP_1)
	v_lshrrev_b32_e32 v9, 22, v9
	v_add_co_u32 v9, vcc_lo, v7, v9
	v_add_co_ci_u32_e32 v10, vcc_lo, 0, v8, vcc_lo
	s_delay_alu instid0(VALU_DEP_1) | instskip(SKIP_1) | instid1(VALU_DEP_2)
	v_ashrrev_i64 v[11:12], 10, v[9:10]
	v_ashrrev_i32_e32 v10, 31, v15
	v_sub_co_u32 v9, vcc_lo, v11, v15
	s_delay_alu instid0(VALU_DEP_2) | instskip(NEXT) | instid1(VALU_DEP_1)
	v_sub_co_ci_u32_e32 v10, vcc_lo, v12, v10, vcc_lo
	v_cmpx_gt_i64_e32 1, v[9:10]
	s_xor_b32 s5, exec_lo, s5
	s_cbranch_execz .LBB14_34
; %bb.29:
	v_lshlrev_b64 v[10:11], 10, v[11:12]
	s_mov_b32 s6, exec_lo
	s_delay_alu instid0(VALU_DEP_1)
	v_cmpx_ne_u64_e64 v[7:8], v[10:11]
	s_cbranch_execz .LBB14_33
; %bb.30:
	v_lshlrev_b32_e32 v9, 5, v9
	v_sub_co_u32 v12, vcc_lo, v7, v10
	v_sub_co_ci_u32_e32 v13, vcc_lo, v8, v11, vcc_lo
	s_delay_alu instid0(VALU_DEP_3) | instskip(NEXT) | instid1(VALU_DEP_1)
	v_sub_nc_u32_e32 v6, v6, v9
	v_ashrrev_i32_e32 v7, 31, v6
	s_delay_alu instid0(VALU_DEP_1)
	v_cmp_gt_i64_e32 vcc_lo, v[12:13], v[6:7]
	s_and_b32 exec_lo, exec_lo, vcc_lo
	s_cbranch_execz .LBB14_33
; %bb.31:
	v_add_co_u32 v4, vcc_lo, v10, v4
	v_add_co_ci_u32_e32 v5, vcc_lo, v11, v5, vcc_lo
	s_delay_alu instid0(VALU_DEP_2) | instskip(NEXT) | instid1(VALU_DEP_2)
	v_add_co_u32 v6, vcc_lo, v4, v6
	v_add_co_ci_u32_e32 v7, vcc_lo, v5, v7, vcc_lo
	s_delay_alu instid0(VALU_DEP_2) | instskip(NEXT) | instid1(VALU_DEP_2)
	v_add_co_u32 v4, vcc_lo, v6, v16
	v_add_co_ci_u32_e32 v5, vcc_lo, v7, v17, vcc_lo
	flat_load_u8 v8, v[4:5]
	v_add_co_u32 v4, vcc_lo, v6, v18
	v_add_co_ci_u32_e32 v5, vcc_lo, v7, v19, vcc_lo
	s_mov_b32 vcc_lo, exec_lo
	s_waitcnt vmcnt(0) lgkmcnt(0)
	flat_store_b8 v[4:5], v8 glc slc dlc
.LBB14_32:                              ; =>This Inner Loop Header: Depth=1
	s_cbranch_vccnz .LBB14_32
.LBB14_33:
	s_or_b32 exec_lo, exec_lo, s6
                                        ; implicit-def: $vgpr15
                                        ; implicit-def: $vgpr6
                                        ; implicit-def: $vgpr4_vgpr5
.LBB14_34:
	s_and_not1_saveexec_b32 s5, s5
	s_cbranch_execz .LBB14_37
; %bb.35:
	v_lshl_add_u32 v6, v15, 10, v6
	s_delay_alu instid0(VALU_DEP_1) | instskip(SKIP_1) | instid1(VALU_DEP_2)
	v_ashrrev_i32_e32 v7, 31, v6
	v_add_co_u32 v6, vcc_lo, v4, v6
	v_add_co_ci_u32_e32 v7, vcc_lo, v5, v7, vcc_lo
	s_delay_alu instid0(VALU_DEP_2) | instskip(NEXT) | instid1(VALU_DEP_2)
	v_add_co_u32 v4, vcc_lo, v6, v18
	v_add_co_ci_u32_e32 v5, vcc_lo, v7, v19, vcc_lo
	v_add_co_u32 v6, vcc_lo, v6, v16
	v_add_co_ci_u32_e32 v7, vcc_lo, v7, v17, vcc_lo
	s_mov_b32 vcc_lo, 0
.LBB14_36:                              ; =>This Inner Loop Header: Depth=1
	s_clause 0x1f
	flat_load_u8 v8, v[6:7] slc dlc
	flat_load_u8 v9, v[6:7] offset:32 slc dlc
	flat_load_u8 v10, v[6:7] offset:64 slc dlc
	;; [unrolled: 1-line block ×31, first 2 shown]
	s_waitcnt vmcnt(31) lgkmcnt(31)
	flat_store_b8 v[4:5], v8 glc slc dlc
	s_waitcnt vmcnt(30) lgkmcnt(31)
	flat_store_b8 v[4:5], v9 offset:32 glc slc dlc
	s_waitcnt vmcnt(29) lgkmcnt(31)
	flat_store_b8 v[4:5], v10 offset:64 glc slc dlc
	;; [unrolled: 2-line block ×31, first 2 shown]
	s_cbranch_vccz .LBB14_36
.LBB14_37:
	s_or_b32 exec_lo, exec_lo, s4
	s_and_saveexec_b32 s4, s3
	s_cbranch_execz .LBB14_40
; %bb.38:
	v_add_co_u32 v2, vcc_lo, v0, v2
	v_add_co_ci_u32_e32 v3, vcc_lo, v1, v3, vcc_lo
	s_delay_alu instid0(VALU_DEP_2) | instskip(NEXT) | instid1(VALU_DEP_2)
	v_add_co_u32 v0, vcc_lo, v2, v18
	v_add_co_ci_u32_e32 v1, vcc_lo, v3, v19, vcc_lo
	v_add_co_u32 v2, vcc_lo, v2, v16
	v_add_co_ci_u32_e32 v3, vcc_lo, v3, v17, vcc_lo
	s_mov_b32 vcc_lo, 0
.LBB14_39:                              ; =>This Inner Loop Header: Depth=1
	global_load_b128 v[4:7], v[2:3], off slc dlc
	s_waitcnt vmcnt(0)
	global_store_b128 v[0:1], v[4:7], off glc slc dlc
	s_cbranch_vccz .LBB14_39
.LBB14_40:
	s_or_b32 exec_lo, exec_lo, s4
	s_and_saveexec_b32 s3, s0
	s_delay_alu instid0(SALU_CYCLE_1)
	s_xor_b32 s3, exec_lo, s3
	s_cbranch_execz .LBB14_43
; %bb.41:
	v_lshlrev_b32_e32 v0, 4, v20
	s_delay_alu instid0(VALU_DEP_1) | instskip(NEXT) | instid1(VALU_DEP_1)
	v_lshl_add_u32 v2, v21, 12, v0
	v_ashrrev_i32_e32 v3, 31, v2
	v_add_co_u32 v0, vcc_lo, v18, v2
	s_delay_alu instid0(VALU_DEP_2)
	v_add_co_ci_u32_e32 v1, vcc_lo, v19, v3, vcc_lo
	v_add_co_u32 v2, vcc_lo, v16, v2
	v_add_co_ci_u32_e32 v3, vcc_lo, v17, v3, vcc_lo
	s_mov_b32 vcc_lo, 0
	s_set_inst_prefetch_distance 0x1
	.p2align	6
.LBB14_42:                              ; =>This Inner Loop Header: Depth=1
	s_clause 0x7
	global_load_b128 v[4:7], v[2:3], off slc dlc
	global_load_b128 v[8:11], v[2:3], off offset:512 slc dlc
	global_load_b128 v[12:15], v[2:3], off offset:1024 slc dlc
	;; [unrolled: 1-line block ×7, first 2 shown]
	s_waitcnt vmcnt(7)
	global_store_b128 v[0:1], v[4:7], off glc slc dlc
	s_waitcnt vmcnt(6)
	global_store_b128 v[0:1], v[8:11], off offset:512 glc slc dlc
	s_waitcnt vmcnt(5)
	global_store_b128 v[0:1], v[12:15], off offset:1024 glc slc dlc
	s_waitcnt vmcnt(4)
	global_store_b128 v[0:1], v[16:19], off offset:1536 glc slc dlc
	s_waitcnt vmcnt(3)
	global_store_b128 v[0:1], v[20:23], off offset:2048 glc slc dlc
	s_waitcnt vmcnt(2)
	global_store_b128 v[0:1], v[24:27], off offset:2560 glc slc dlc
	s_waitcnt vmcnt(1)
	global_store_b128 v[0:1], v[28:31], off offset:3072 glc slc dlc
	s_waitcnt vmcnt(0)
	global_store_b128 v[0:1], v[32:35], off offset:3584 glc slc dlc
	s_cbranch_vccz .LBB14_42
.LBB14_43:
	s_set_inst_prefetch_distance 0x2
	s_or_b32 exec_lo, exec_lo, s2
                                        ; implicit-def: $vgpr7_vgpr8
                                        ; implicit-def: $vgpr27_vgpr28
                                        ; implicit-def: $vgpr17_vgpr18
                                        ; implicit-def: $vgpr4
                                        ; implicit-def: $vgpr1
                                        ; implicit-def: $vgpr25_vgpr26
                                        ; implicit-def: $vgpr9_vgpr10_vgpr11_vgpr12
                                        ; implicit-def: $vgpr31
                                        ; implicit-def: $vgpr2_vgpr3
                                        ; implicit-def: $vgpr0
                                        ; implicit-def: $vgpr102
.LBB14_44:
	s_and_not1_saveexec_b32 s11, s1
	s_cbranch_execz .LBB14_468
; %bb.45:
	s_load_b32 s0, s[8:9], 0x0
	v_mov_b32_e32 v5, 0
	s_mov_b32 s2, 0
	s_waitcnt lgkmcnt(0)
	s_cmp_lt_u32 s12, s0
	s_cselect_b32 s0, 12, 18
	s_delay_alu instid0(SALU_CYCLE_1)
	s_add_u32 s0, s8, s0
	s_addc_u32 s1, s9, 0
	s_clause 0x1
	flat_load_u16 v14, v[2:3] offset:8
	flat_load_b32 v13, v[2:3] offset:4
	global_load_u16 v6, v5, s[0:1]
	s_cbranch_execnz .LBB14_51
; %bb.46:
	ds_load_b32 v2, v0
	v_ashrrev_i32_e32 v5, 31, v4
	s_waitcnt vmcnt(1) lgkmcnt(1)
	v_lshrrev_b64 v[13:14], 31, v[13:14]
	s_delay_alu instid0(VALU_DEP_2) | instskip(NEXT) | instid1(VALU_DEP_2)
	v_lshrrev_b32_e32 v3, 27, v5
	v_and_b32_e32 v14, 3, v13
	s_delay_alu instid0(VALU_DEP_2) | instskip(NEXT) | instid1(VALU_DEP_1)
	v_add_nc_u32_e32 v3, v4, v3
	v_and_b32_e32 v3, 0xffffffe0, v3
	s_waitcnt lgkmcnt(0)
	v_cmp_gt_i32_e32 vcc_lo, 0, v2
	s_delay_alu instid0(VALU_DEP_2)
	v_sub_nc_u32_e32 v13, v4, v3
	v_readfirstlane_b32 s1, v2
	s_cbranch_vccnz .LBB14_53
; %bb.47:
	s_delay_alu instid0(VALU_DEP_2)
	v_cmp_eq_u32_e32 vcc_lo, 0, v13
	s_cbranch_execnz .LBB14_57
; %bb.48:
	ds_load_b64 v[15:16], v0
	v_dual_mov_b32 v3, 0 :: v_dual_and_b32 v18, 0xffff, v14
	s_mov_b32 s2, 1
	s_delay_alu instid0(VALU_DEP_1) | instskip(SKIP_1) | instid1(VALU_DEP_1)
	v_lshlrev_b64 v[2:3], 3, v[2:3]
	s_waitcnt lgkmcnt(0)
	v_add_co_u32 v2, s0, v15, v2
	s_delay_alu instid0(VALU_DEP_1)
	v_add_co_ci_u32_e64 v3, s0, v16, v3, s0
	flat_load_b64 v[2:3], v[2:3]
	s_waitcnt vmcnt(0) lgkmcnt(0)
	v_mad_u64_u32 v[15:16], null, 0xa8, v18, v[2:3]
	s_clause 0x1
	flat_load_b64 v[32:33], v[15:16] offset:504
	flat_load_b64 v[34:35], v[15:16] offset:608
	v_add_co_u32 v2, s0, 0x1f8, v15
	s_delay_alu instid0(VALU_DEP_1) | instskip(NEXT) | instid1(VALU_DEP_1)
	v_add_co_ci_u32_e64 v3, s0, 0, v16, s0
	v_dual_cndmask_b32 v29, 0, v2 :: v_dual_cndmask_b32 v30, 0, v3
	s_cbranch_execz .LBB14_54
.LBB14_49:
	s_trap 2
	s_sendmsg_rtn_b32 s0, sendmsg(MSG_RTN_GET_DOORBELL)
	s_mov_b32 ttmp2, m0
	s_waitcnt lgkmcnt(0)
	s_and_b32 s0, s0, 0x3ff
	s_delay_alu instid0(SALU_CYCLE_1) | instskip(NEXT) | instid1(SALU_CYCLE_1)
	s_bitset1_b32 s0, 10
	s_mov_b32 m0, s0
	s_sendmsg sendmsg(MSG_INTERRUPT)
	s_mov_b32 m0, ttmp2
.LBB14_50:                              ; =>This Inner Loop Header: Depth=1
	s_sethalt 5
	s_branch .LBB14_50
.LBB14_51:
	s_trap 2
	s_sendmsg_rtn_b32 s0, sendmsg(MSG_RTN_GET_DOORBELL)
	s_mov_b32 ttmp2, m0
	s_waitcnt lgkmcnt(0)
	s_and_b32 s0, s0, 0x3ff
	s_delay_alu instid0(SALU_CYCLE_1) | instskip(NEXT) | instid1(SALU_CYCLE_1)
	s_bitset1_b32 s0, 10
	s_mov_b32 m0, s0
	s_sendmsg sendmsg(MSG_INTERRUPT)
	s_mov_b32 m0, ttmp2
.LBB14_52:                              ; =>This Inner Loop Header: Depth=1
	s_sethalt 5
	s_branch .LBB14_52
.LBB14_53:
	v_mov_b32_e32 v29, 0
	v_mov_b32_e32 v30, 0
                                        ; implicit-def: $vgpr34_vgpr35
                                        ; implicit-def: $vgpr32_vgpr33
	s_cbranch_execnz .LBB14_49
.LBB14_54:
	ds_load_b32 v2, v0
	v_mov_b32_e32 v38, 0
	v_mov_b32_e32 v39, 0
	s_waitcnt lgkmcnt(0)
	v_cmp_gt_i32_e32 vcc_lo, 0, v2
	s_cbranch_vccnz .LBB14_59
; %bb.55:
	s_cbranch_execnz .LBB14_384
; %bb.56:
	ds_load_b64 v[15:16], v0
	v_mov_b32_e32 v3, 0
	s_delay_alu instid0(VALU_DEP_1) | instskip(SKIP_1) | instid1(VALU_DEP_1)
	v_lshlrev_b64 v[2:3], 3, v[2:3]
	s_waitcnt lgkmcnt(0)
	v_add_co_u32 v2, vcc_lo, v15, v2
	s_delay_alu instid0(VALU_DEP_2)
	v_add_co_ci_u32_e32 v3, vcc_lo, v16, v3, vcc_lo
	v_and_b32_e32 v16, 0xffff, v14
	v_cmp_eq_u32_e32 vcc_lo, 0, v13
	flat_load_b64 v[2:3], v[2:3]
	s_waitcnt vmcnt(0) lgkmcnt(0)
	v_mad_u64_u32 v[14:15], null, 0xa8, v16, v[2:3]
	s_clause 0x1
	flat_load_b64 v[48:49], v[14:15]
	flat_load_b64 v[21:22], v[14:15] offset:104
	v_dual_cndmask_b32 v37, 0, v15 :: v_dual_cndmask_b32 v36, 0, v14
	s_branch .LBB14_60
.LBB14_57:
	s_trap 2
	s_sendmsg_rtn_b32 s0, sendmsg(MSG_RTN_GET_DOORBELL)
	s_mov_b32 ttmp2, m0
	s_waitcnt lgkmcnt(0)
	s_and_b32 s0, s0, 0x3ff
	s_delay_alu instid0(SALU_CYCLE_1) | instskip(NEXT) | instid1(SALU_CYCLE_1)
	s_bitset1_b32 s0, 10
	s_mov_b32 m0, s0
	s_sendmsg sendmsg(MSG_INTERRUPT)
	s_mov_b32 m0, ttmp2
.LBB14_58:                              ; =>This Inner Loop Header: Depth=1
	s_sethalt 5
	s_branch .LBB14_58
.LBB14_59:
	s_delay_alu instid0(VALU_DEP_2)
	v_dual_mov_b32 v36, v38 :: v_dual_mov_b32 v37, v39
                                        ; implicit-def: $vgpr21_vgpr22
                                        ; implicit-def: $vgpr48_vgpr49
.LBB14_60:
	v_subrev_nc_u32_e32 v2, 32, v1
	v_cmp_gt_i32_e64 s0, s2, v13
                                        ; implicit-def: $vgpr50_vgpr51
	s_delay_alu instid0(VALU_DEP_2) | instskip(NEXT) | instid1(VALU_DEP_2)
	v_cmp_le_i32_e32 vcc_lo, v2, v4
	s_and_b32 s12, vcc_lo, s0
	s_delay_alu instid0(SALU_CYCLE_1)
	s_and_saveexec_b32 s0, s12
; %bb.61:
	s_clause 0x1
	flat_load_b64 v[38:39], v[29:30] offset:56
	flat_load_b64 v[50:51], v[29:30] offset:104
; %bb.62:
	s_or_b32 exec_lo, exec_lo, s0
	v_mov_b32_e32 v2, 0
	v_mov_b32_e32 v3, 0
	v_cmp_gt_i32_e64 s0, s2, v4
                                        ; implicit-def: $vgpr54_vgpr55
	s_delay_alu instid0(VALU_DEP_2) | instskip(SKIP_1) | instid1(VALU_DEP_3)
	v_dual_mov_b32 v14, v3 :: v_dual_mov_b32 v13, v2
	v_dual_mov_b32 v53, v3 :: v_dual_mov_b32 v52, v2
	s_and_saveexec_b32 s2, s0
	s_cbranch_execz .LBB14_64
; %bb.63:
	flat_load_b64 v[52:53], v[36:37] offset:56
	s_waitcnt vmcnt(0) lgkmcnt(0)
	flat_load_b64 v[54:55], v[52:53] glc dlc
	s_waitcnt vmcnt(0)
	flat_load_b128 v[13:16], v[36:37] offset:96
.LBB14_64:
	s_or_b32 exec_lo, exec_lo, s2
	s_waitcnt vmcnt(0)
	v_and_b32_e32 v103, 0xffff, v6
	s_mov_b32 s13, exec_lo
	v_cmpx_ne_u64_e32 0, v[7:8]
	s_cbranch_execz .LBB14_371
; %bb.65:
	v_cvt_f64_u32_e32 v[2:3], 0
	v_lshlrev_b32_e32 v6, 4, v17
	v_dual_mov_b32 v68, 0 :: v_dual_lshlrev_b32 v117, 3, v1
	v_mov_b32_e32 v69, 0
	s_delay_alu instid0(VALU_DEP_3)
	v_dual_mov_b32 v81, v28 :: v_dual_and_b32 v112, 0x1fffff0, v6
	v_lshlrev_b32_e32 v114, 3, v4
	v_lshlrev_b32_e32 v133, 6, v1
	s_ashr_i32 s2, s1, 31
	v_dual_mov_b32 v145, 0 :: v_dual_and_b32 v20, 31, v31
	v_cvt_f64_u32_e32 v[18:19], v112
	s_lshr_b32 s2, s2, 29
	s_waitcnt lgkmcnt(1)
	v_cmp_ne_u64_e64 s6, 0, v[38:39]
	s_add_i32 s1, s1, s2
	s_waitcnt lgkmcnt(0)
	v_cmp_ne_u64_e64 s2, 0, v[13:14]
	s_ashr_i32 s14, s1, 7
	v_cmp_ne_u64_e64 s1, 0, v[52:53]
	v_cmp_ne_u32_e64 s3, 32, v1
	v_cmp_ne_u32_e64 s4, v103, v1
	v_cmp_eq_u32_e64 s5, 0, v20
	v_ashrrev_i32_e32 v128, 31, v117
	s_cmp_lt_i32 s10, 3
	s_mov_b32 s15, 0
	s_cselect_b32 s16, -1, 0
	s_add_i32 s17, s10, -2
	v_mov_b32_e32 v144, 1
	v_mov_b32_e32 v80, v27
	v_ldexp_f64 v[2:3], v[2:3], 32
	s_delay_alu instid0(VALU_DEP_1) | instskip(SKIP_1) | instid1(VALU_DEP_1)
	v_add_f64 v[18:19], v[2:3], v[18:19]
	v_ashrrev_i32_e32 v2, 31, v1
	v_lshrrev_b32_e32 v3, 27, v2
	v_mov_b32_e32 v6, 0
	v_lshlrev_b64 v[70:71], 4, v[1:2]
	s_delay_alu instid0(VALU_DEP_3) | instskip(NEXT) | instid1(VALU_DEP_1)
	v_add_nc_u32_e32 v3, v1, v3
	v_ashrrev_i32_e32 v113, 5, v3
	v_and_b32_e32 v3, 0x1fffff, v17
	s_delay_alu instid0(VALU_DEP_2) | instskip(NEXT) | instid1(VALU_DEP_2)
	v_ashrrev_i32_e32 v115, 31, v113
	v_lshlrev_b32_e32 v132, 7, v3
	v_dual_mov_b32 v2, v68 :: v_dual_mov_b32 v3, v69
	v_ashrrev_i32_e32 v116, 31, v114
	v_add_co_u32 v118, vcc_lo, v9, v114
	s_delay_alu instid0(VALU_DEP_2) | instskip(SKIP_2) | instid1(VALU_DEP_2)
	v_add_co_ci_u32_e32 v119, vcc_lo, v10, v116, vcc_lo
	v_add_co_u32 v129, vcc_lo, v11, v114
	v_add_co_ci_u32_e32 v130, vcc_lo, v12, v116, vcc_lo
	v_add_co_u32 v66, vcc_lo, v129, v27
	v_max_f64 v[64:65], v[18:19], v[18:19]
	v_lshlrev_b64 v[17:18], 4, v[4:5]
	s_delay_alu instid0(VALU_DEP_4) | instskip(NEXT) | instid1(VALU_DEP_4)
	v_add_co_ci_u32_e32 v67, vcc_lo, v130, v28, vcc_lo
	v_lshlrev_b32_e32 v131, 3, v66
	s_delay_alu instid0(VALU_DEP_3) | instskip(NEXT) | instid1(VALU_DEP_4)
	v_add_co_u32 v134, vcc_lo, v48, v17
	v_add_co_ci_u32_e32 v135, vcc_lo, v49, v18, vcc_lo
.LBB14_66:                              ; =>This Loop Header: Depth=1
                                        ;     Child Loop BB14_74 Depth 2
                                        ;     Child Loop BB14_94 Depth 2
	;; [unrolled: 1-line block ×9, first 2 shown]
                                        ;       Child Loop BB14_202 Depth 3
                                        ;       Child Loop BB14_222 Depth 3
	;; [unrolled: 1-line block ×3, first 2 shown]
                                        ;         Child Loop BB14_242 Depth 4
                                        ;       Child Loop BB14_284 Depth 3
                                        ;       Child Loop BB14_301 Depth 3
                                        ;     Child Loop BB14_308 Depth 2
                                        ;       Child Loop BB14_312 Depth 3
                                        ;     Child Loop BB14_354 Depth 2
	flat_load_b32 v5, v[25:26]
	s_waitcnt vmcnt(1) lgkmcnt(1)
	v_sub_co_u32 v19, vcc_lo, v7, v68
	v_sub_co_ci_u32_e32 v17, vcc_lo, v8, v69, vcc_lo
	v_add_co_u32 v146, vcc_lo, v68, v27
	s_delay_alu instid0(VALU_DEP_3) | instskip(NEXT) | instid1(VALU_DEP_3)
	v_cvt_f64_u32_e32 v[19:20], v19
	v_cvt_f64_u32_e32 v[17:18], v17
	v_add_co_ci_u32_e32 v147, vcc_lo, v69, v28, vcc_lo
	s_mov_b32 s7, exec_lo
	s_delay_alu instid0(VALU_DEP_2) | instskip(NEXT) | instid1(VALU_DEP_1)
	v_ldexp_f64 v[17:18], v[17:18], 32
	v_add_f64 v[17:18], v[17:18], v[19:20]
	s_delay_alu instid0(VALU_DEP_1) | instskip(NEXT) | instid1(VALU_DEP_1)
	v_min_f64 v[17:18], v[64:65], v[17:18]
	v_cvt_i32_f64_e32 v17, v[17:18]
	s_delay_alu instid0(VALU_DEP_1) | instskip(NEXT) | instid1(VALU_DEP_1)
	v_max_i32_e32 v96, 0, v17
	v_add_nc_u32_e32 v82, 7, v96
	s_waitcnt vmcnt(0) lgkmcnt(0)
	v_ashrrev_i32_e32 v19, 31, v5
	v_mul_lo_u32 v20, v102, v5
	v_mad_u64_u32 v[17:18], null, v0, v5, 0
	s_delay_alu instid0(VALU_DEP_3) | instskip(NEXT) | instid1(VALU_DEP_2)
	v_mul_lo_u32 v5, v0, v19
	v_add_co_u32 v23, vcc_lo, v17, v146
	s_delay_alu instid0(VALU_DEP_2) | instskip(SKIP_1) | instid1(VALU_DEP_2)
	v_add3_u32 v18, v18, v5, v20
	v_ashrrev_i32_e32 v5, 31, v82
	v_add_co_ci_u32_e32 v24, vcc_lo, v18, v147, vcc_lo
	s_delay_alu instid0(VALU_DEP_2) | instskip(SKIP_2) | instid1(VALU_DEP_3)
	v_lshrrev_b32_e32 v5, 29, v5
	v_add_co_u32 v19, vcc_lo, v11, v146
	v_add_co_ci_u32_e32 v20, vcc_lo, v12, v147, vcc_lo
	v_add_nc_u32_e32 v5, v82, v5
	v_add_co_u32 v23, vcc_lo, v9, v23
	v_add_co_ci_u32_e32 v24, vcc_lo, v10, v24, vcc_lo
	s_delay_alu instid0(VALU_DEP_3) | instskip(NEXT) | instid1(VALU_DEP_2)
	v_ashrrev_i32_e32 v148, 3, v5
	v_cmpx_ne_u64_e64 v[19:20], v[23:24]
	s_xor_b32 s9, exec_lo, s7
	s_cbranch_execz .LBB14_137
; %bb.67:                               ;   in Loop: Header=BB14_66 Depth=1
	s_and_saveexec_b32 s7, s1
	s_cbranch_execz .LBB14_85
; %bb.68:                               ;   in Loop: Header=BB14_66 Depth=1
	v_add_co_u32 v19, vcc_lo, v15, 1
	v_add_co_ci_u32_e32 v20, vcc_lo, 0, v16, vcc_lo
	v_add_co_u32 v23, vcc_lo, v54, 8
	v_add_co_ci_u32_e32 v24, vcc_lo, 0, v55, vcc_lo
	s_mov_b32 s8, exec_lo
	s_delay_alu instid0(VALU_DEP_1)
	v_cmpx_lt_u64_e64 v[23:24], v[19:20]
	s_cbranch_execz .LBB14_82
; %bb.69:                               ;   in Loop: Header=BB14_66 Depth=1
	s_sleep 1
	flat_load_b64 v[54:55], v[52:53] glc
	v_cmp_eq_u32_e32 vcc_lo, 0, v145
	s_and_saveexec_b32 s18, vcc_lo
	s_cbranch_execz .LBB14_81
; %bb.70:                               ;   in Loop: Header=BB14_66 Depth=1
	v_cndmask_b32_e64 v5, 0, 1, vcc_lo
	s_mov_b32 s19, 0
                                        ; implicit-def: $sgpr20
	s_branch .LBB14_74
.LBB14_71:                              ;   in Loop: Header=BB14_74 Depth=2
	s_or_b32 exec_lo, exec_lo, s23
	s_delay_alu instid0(SALU_CYCLE_1)
	s_or_not1_b32 s23, s24, exec_lo
.LBB14_72:                              ;   in Loop: Header=BB14_74 Depth=2
	s_or_b32 exec_lo, exec_lo, s22
	s_xor_b32 s22, s23, -1
	s_and_not1_b32 s20, s20, exec_lo
	s_and_b32 s22, s22, exec_lo
	s_delay_alu instid0(SALU_CYCLE_1)
	s_or_b32 s20, s20, s22
.LBB14_73:                              ;   in Loop: Header=BB14_74 Depth=2
	s_or_b32 exec_lo, exec_lo, s21
	s_delay_alu instid0(SALU_CYCLE_1) | instskip(NEXT) | instid1(SALU_CYCLE_1)
	s_and_b32 s21, exec_lo, s20
	s_or_b32 s19, s21, s19
	s_delay_alu instid0(SALU_CYCLE_1)
	s_and_not1_b32 exec_lo, exec_lo, s19
	s_cbranch_execz .LBB14_80
.LBB14_74:                              ;   Parent Loop BB14_66 Depth=1
                                        ; =>  This Inner Loop Header: Depth=2
	s_waitcnt vmcnt(0) lgkmcnt(0)
	v_add_co_u32 v23, vcc_lo, v54, 8
	v_add_co_ci_u32_e32 v24, vcc_lo, 0, v55, vcc_lo
	v_mov_b32_e32 v145, 0
	s_or_b32 s20, s20, exec_lo
	s_mov_b32 s21, exec_lo
	s_delay_alu instid0(VALU_DEP_2)
	v_cmpx_lt_u64_e64 v[23:24], v[19:20]
	s_cbranch_execz .LBB14_73
; %bb.75:                               ;   in Loop: Header=BB14_74 Depth=2
	s_sleep 1
	flat_load_b64 v[54:55], v[52:53] glc
	v_add_nc_u32_e32 v5, 1, v5
	v_mov_b32_e32 v145, 0
	s_mov_b32 s23, -1
	s_mov_b32 s22, exec_lo
	s_delay_alu instid0(VALU_DEP_2)
	v_cmpx_eq_u32_e32 0x2710, v5
	s_cbranch_execz .LBB14_72
; %bb.76:                               ;   in Loop: Header=BB14_74 Depth=2
	s_cbranch_execnz .LBB14_394
; %bb.77:                               ;   in Loop: Header=BB14_74 Depth=2
	ds_load_b64 v[23:24], v0
	v_mov_b32_e32 v5, 0
	v_mov_b32_e32 v145, 0
	s_mov_b32 s24, -1
	s_mov_b32 s23, exec_lo
	s_waitcnt vmcnt(0) lgkmcnt(0)
	s_waitcnt_vscnt null, 0x0
	flat_load_b32 v16, v[23:24] glc
	s_waitcnt vmcnt(0) lgkmcnt(0)
	buffer_gl1_inv
	buffer_gl0_inv
	v_cmpx_ne_u32_e32 0, v16
	s_cbranch_execz .LBB14_71
; %bb.78:                               ;   in Loop: Header=BB14_74 Depth=2
	ds_store_b32 v0, v16
	s_cbranch_execnz .LBB14_427
; %bb.79:                               ;   in Loop: Header=BB14_74 Depth=2
	v_mov_b32_e32 v145, 1
	s_xor_b32 s24, exec_lo, -1
	s_branch .LBB14_71
.LBB14_80:                              ;   in Loop: Header=BB14_66 Depth=1
	s_or_b32 exec_lo, exec_lo, s19
.LBB14_81:                              ;   in Loop: Header=BB14_66 Depth=1
	s_delay_alu instid0(SALU_CYCLE_1)
	s_or_b32 exec_lo, exec_lo, s18
.LBB14_82:                              ;   in Loop: Header=BB14_66 Depth=1
	s_delay_alu instid0(SALU_CYCLE_1)
	s_or_b32 exec_lo, exec_lo, s8
	s_and_saveexec_b32 s8, s2
	s_cbranch_execz .LBB14_84
; %bb.83:                               ;   in Loop: Header=BB14_66 Depth=1
	v_and_b32_e32 v5, 0x7ffffff8, v15
	v_and_b32_e32 v16, 7, v15
	s_delay_alu instid0(VALU_DEP_2) | instskip(NEXT) | instid1(VALU_DEP_2)
	v_cmp_eq_u64_e32 vcc_lo, 0x7ffffff8, v[5:6]
	v_mad_u64_u32 v[23:24], null, v16, 24, v[13:14]
	v_cndmask_b32_e64 v5, v148, s14, vcc_lo
	s_delay_alu instid0(VALU_DEP_1) | instskip(NEXT) | instid1(VALU_DEP_1)
	v_lshlrev_b32_e32 v15, 4, v5
	v_ashrrev_i32_e32 v16, 31, v15
	flat_store_b64 v[23:24], v[15:16] offset:8 dlc
	s_waitcnt_vscnt null, 0x0
.LBB14_84:                              ;   in Loop: Header=BB14_66 Depth=1
	s_or_b32 exec_lo, exec_lo, s8
	v_dual_mov_b32 v15, v19 :: v_dual_mov_b32 v16, v20
.LBB14_85:                              ;   in Loop: Header=BB14_66 Depth=1
	s_or_b32 exec_lo, exec_lo, s7
	s_and_saveexec_b32 s7, s3
	s_cbranch_execz .LBB14_107
; %bb.86:                               ;   in Loop: Header=BB14_66 Depth=1
	s_and_saveexec_b32 s8, s4
	s_delay_alu instid0(SALU_CYCLE_1)
	s_xor_b32 s8, exec_lo, s8
	s_cbranch_execz .LBB14_104
; %bb.87:                               ;   in Loop: Header=BB14_66 Depth=1
	s_and_saveexec_b32 s18, s5
	s_cbranch_execz .LBB14_103
; %bb.88:                               ;   in Loop: Header=BB14_66 Depth=1
	s_mov_b32 s20, exec_lo
	s_mov_b32 s19, exec_lo
	v_mbcnt_lo_u32_b32 v5, s20, 0
	s_waitcnt vmcnt(0) lgkmcnt(0)
	s_waitcnt_vscnt null, 0x0
	buffer_gl1_inv
	buffer_gl0_inv
	v_cmpx_eq_u32_e32 0, v5
	s_cbranch_execz .LBB14_90
; %bb.89:                               ;   in Loop: Header=BB14_66 Depth=1
	s_bcnt1_i32_b32 s20, s20
	s_delay_alu instid0(SALU_CYCLE_1)
	v_mov_b32_e32 v5, s20
	ds_add_u64 v0, v[5:6]
	s_cbranch_execnz .LBB14_421
.LBB14_90:                              ;   in Loop: Header=BB14_66 Depth=1
	s_or_b32 exec_lo, exec_lo, s19
	s_cbranch_execnz .LBB14_413
; %bb.91:                               ;   in Loop: Header=BB14_66 Depth=1
	ds_load_b64 v[19:20], v0
	v_add_co_u32 v2, vcc_lo, v2, v113
	v_add_co_ci_u32_e32 v3, vcc_lo, v3, v115, vcc_lo
	s_mov_b32 s19, exec_lo
	s_waitcnt lgkmcnt(0)
	s_delay_alu instid0(VALU_DEP_1)
	v_cmpx_lt_u64_e64 v[19:20], v[2:3]
	s_cbranch_execz .LBB14_102
; %bb.92:                               ;   in Loop: Header=BB14_66 Depth=1
	s_mov_b32 s20, 0
	s_mov_b32 s23, 0
                                        ; implicit-def: $sgpr21
                                        ; implicit-def: $sgpr22
	s_branch .LBB14_94
.LBB14_93:                              ;   in Loop: Header=BB14_94 Depth=2
	s_or_b32 exec_lo, exec_lo, s26
	s_delay_alu instid0(SALU_CYCLE_1) | instskip(NEXT) | instid1(SALU_CYCLE_1)
	s_and_b32 s24, exec_lo, s25
	s_or_b32 s20, s24, s20
	s_and_not1_b32 s21, s21, exec_lo
	s_and_b32 s24, s22, exec_lo
	s_delay_alu instid0(SALU_CYCLE_1)
	s_or_b32 s21, s21, s24
	s_and_not1_b32 exec_lo, exec_lo, s20
	s_cbranch_execz .LBB14_100
.LBB14_94:                              ;   Parent Loop BB14_66 Depth=1
                                        ; =>  This Inner Loop Header: Depth=2
	s_add_i32 s23, s23, 1
                                        ; implicit-def: $sgpr25
	s_delay_alu instid0(SALU_CYCLE_1) | instskip(SKIP_1) | instid1(SALU_CYCLE_1)
	s_cmpk_lg_i32 s23, 0x2710
	s_cselect_b32 s24, -1, 0
	s_and_b32 vcc_lo, exec_lo, s24
	s_cbranch_vccz .LBB14_98
.LBB14_95:                              ;   in Loop: Header=BB14_94 Depth=2
	s_and_not1_b32 s22, s22, exec_lo
	s_and_b32 s26, s25, exec_lo
	s_mov_b32 s25, -1
	s_or_b32 s22, s22, s26
	s_and_saveexec_b32 s26, s24
	s_cbranch_execz .LBB14_93
; %bb.96:                               ;   in Loop: Header=BB14_94 Depth=2
	s_sleep 1
	s_cbranch_execnz .LBB14_445
; %bb.97:                               ;   in Loop: Header=BB14_94 Depth=2
	ds_load_b64 v[19:20], v0
	s_and_not1_b32 s22, s22, exec_lo
	s_waitcnt lgkmcnt(0)
	v_cmp_ge_u64_e32 vcc_lo, v[19:20], v[2:3]
	s_or_not1_b32 s25, vcc_lo, exec_lo
	s_branch .LBB14_93
.LBB14_98:                              ;   in Loop: Header=BB14_94 Depth=2
	s_cbranch_execnz .LBB14_449
; %bb.99:                               ;   in Loop: Header=BB14_94 Depth=2
	ds_load_b64 v[19:20], v0
	s_and_not1_b32 s24, s24, exec_lo
	s_mov_b32 s23, 0
	s_mov_b32 s25, -1
	s_waitcnt lgkmcnt(0)
	flat_load_b32 v5, v[19:20] glc
	s_waitcnt vmcnt(0) lgkmcnt(0)
	buffer_gl1_inv
	buffer_gl0_inv
	v_cmp_eq_u32_e32 vcc_lo, 0, v5
	s_and_b32 s26, vcc_lo, exec_lo
	s_delay_alu instid0(SALU_CYCLE_1)
	s_or_b32 s24, s24, s26
	s_branch .LBB14_95
.LBB14_100:                             ;   in Loop: Header=BB14_66 Depth=1
	s_or_b32 exec_lo, exec_lo, s20
	s_and_saveexec_b32 s20, s21
	s_delay_alu instid0(SALU_CYCLE_1)
	s_xor_b32 s20, exec_lo, s20
	s_cbranch_execz .LBB14_102
; %bb.101:                              ;   in Loop: Header=BB14_66 Depth=1
	ds_store_b32 v0, v144
	s_cbranch_execnz .LBB14_473
.LBB14_102:                             ;   in Loop: Header=BB14_66 Depth=1
	s_or_b32 exec_lo, exec_lo, s19
	;;#ASMSTART
	s_wakeup
	;;#ASMEND
.LBB14_103:                             ;   in Loop: Header=BB14_66 Depth=1
	s_or_b32 exec_lo, exec_lo, s18
.LBB14_104:                             ;   in Loop: Header=BB14_66 Depth=1
	s_and_not1_saveexec_b32 s8, s8
	s_cbranch_execz .LBB14_106
; %bb.105:                              ;   in Loop: Header=BB14_66 Depth=1
	s_waitcnt vmcnt(0) lgkmcnt(0)
	s_waitcnt_vscnt null, 0x0
	buffer_gl1_inv
	buffer_gl0_inv
	s_barrier
.LBB14_106:                             ;   in Loop: Header=BB14_66 Depth=1
	s_or_b32 exec_lo, exec_lo, s8
.LBB14_107:                             ;   in Loop: Header=BB14_66 Depth=1
	s_delay_alu instid0(SALU_CYCLE_1) | instskip(SKIP_3) | instid1(VALU_DEP_2)
	s_or_b32 exec_lo, exec_lo, s7
	v_sub_nc_u32_e32 v5, v96, v114
	v_mov_b32_e32 v23, v4
	s_mov_b32 s18, exec_lo
	v_cmpx_lt_i32_e32 0, v5
	s_cbranch_execz .LBB14_133
; %bb.108:                              ;   in Loop: Header=BB14_66 Depth=1
	v_dual_mov_b32 v98, v131 :: v_dual_and_b32 v19, 7, v21
	v_mov_b32_e32 v23, v21
	v_add_co_u32 v24, vcc_lo, v118, v17
	s_delay_alu instid0(VALU_DEP_3)
	v_mul_lo_u32 v19, v19, s14
	v_add_co_ci_u32_e32 v97, vcc_lo, v119, v18, vcc_lo
	v_add_co_u32 v99, vcc_lo, 0, 0
	v_dual_mov_b32 v83, v81 :: v_dual_mov_b32 v82, v80
	v_add_co_ci_u32_e32 v18, vcc_lo, 1, v23, vcc_lo
	v_ashrrev_i32_e32 v20, 31, v19
	v_mov_b32_e32 v23, v4
	s_mov_b32 s19, 0
	s_delay_alu instid0(VALU_DEP_2) | instskip(NEXT) | instid1(VALU_DEP_1)
	v_lshlrev_b64 v[19:20], 4, v[19:20]
	v_add_co_u32 v84, vcc_lo, v134, v19
	s_delay_alu instid0(VALU_DEP_2)
	v_add_co_ci_u32_e32 v85, vcc_lo, v135, v20, vcc_lo
	s_branch .LBB14_110
.LBB14_109:                             ;   in Loop: Header=BB14_110 Depth=2
	v_sub_nc_u32_e32 v5, v5, v117
	v_add_co_u32 v82, vcc_lo, v82, v117
	v_add_co_ci_u32_e32 v83, vcc_lo, v83, v128, vcc_lo
	s_delay_alu instid0(VALU_DEP_3)
	v_cmp_gt_i32_e32 vcc_lo, 1, v5
	v_add_co_u32 v84, s7, v84, v70
	v_add_nc_u32_e32 v23, v23, v1
	v_add_nc_u32_e32 v98, v98, v133
	v_add_co_ci_u32_e64 v85, s7, v85, v71, s7
	s_or_b32 s19, vcc_lo, s19
	s_delay_alu instid0(SALU_CYCLE_1)
	s_and_not1_b32 exec_lo, exec_lo, s19
	s_cbranch_execz .LBB14_132
.LBB14_110:                             ;   Parent Loop BB14_66 Depth=1
                                        ; =>  This Inner Loop Header: Depth=2
	v_add_co_u32 v86, vcc_lo, v129, v82
	v_add_co_ci_u32_e32 v20, vcc_lo, v130, v83, vcc_lo
	v_min_u32_e32 v87, 8, v5
	s_delay_alu instid0(VALU_DEP_3) | instskip(SKIP_3) | instid1(VALU_DEP_1)
	v_dual_mov_b32 v100, 0 :: v_dual_and_b32 v19, -4, v86
	v_dual_mov_b32 v101, 0 :: v_dual_and_b32 v86, 3, v86
	flat_load_b32 v17, v[19:20] glc
	v_add_co_u32 v86, s7, v86, v87
	v_add_co_ci_u32_e64 v87, null, 0, 0, s7
	s_mov_b32 s7, exec_lo
	s_delay_alu instid0(VALU_DEP_1)
	v_cmpx_lt_u64_e32 4, v[86:87]
	s_cbranch_execz .LBB14_112
; %bb.111:                              ;   in Loop: Header=BB14_110 Depth=2
	flat_load_b32 v101, v[19:20] offset:4 glc
.LBB14_112:                             ;   in Loop: Header=BB14_110 Depth=2
	s_or_b32 exec_lo, exec_lo, s7
	s_delay_alu instid0(SALU_CYCLE_1)
	s_mov_b32 s7, exec_lo
	v_cmpx_lt_u64_e32 8, v[86:87]
	s_cbranch_execz .LBB14_114
; %bb.113:                              ;   in Loop: Header=BB14_110 Depth=2
	flat_load_b32 v100, v[19:20] offset:8 glc
.LBB14_114:                             ;   in Loop: Header=BB14_110 Depth=2
	s_or_b32 exec_lo, exec_lo, s7
	s_waitcnt vmcnt(0) lgkmcnt(0)
	v_alignbit_b32 v86, v101, v17, v98
	v_alignbit_b32 v87, v100, v101, v98
	v_cmp_lt_u32_e32 vcc_lo, 7, v5
	v_mov_b32_e32 v20, v18
	s_delay_alu instid0(VALU_DEP_4) | instskip(NEXT) | instid1(VALU_DEP_4)
	v_or_b32_e32 v17, v99, v86
	v_or_b32_e32 v19, v99, v87
	v_cndmask_b32_e64 v100, 0, 1, vcc_lo
	global_store_b128 v[84:85], v[17:20], off
	;;#ASMSTART
	;;#ASMEND
	v_cmp_ne_u32_e64 s7, 0, v100
	v_add_co_u32 v19, s8, v24, v82
	s_delay_alu instid0(VALU_DEP_1) | instskip(NEXT) | instid1(VALU_DEP_3)
	v_add_co_ci_u32_e64 v20, s8, v97, v83, s8
	s_cmp_lg_u32 s7, exec_lo
	s_mov_b32 s7, -1
	s_cbranch_scc0 .LBB14_130
; %bb.115:                              ;   in Loop: Header=BB14_110 Depth=2
	s_mov_b32 s8, exec_lo
	flat_store_b8 v[19:20], v86
	v_cmpx_ne_u32_e32 1, v5
	s_cbranch_execz .LBB14_117
; %bb.116:                              ;   in Loop: Header=BB14_110 Depth=2
	v_lshrrev_b32_e32 v17, 8, v86
	flat_store_b8 v[19:20], v17 offset:1
.LBB14_117:                             ;   in Loop: Header=BB14_110 Depth=2
	s_or_b32 exec_lo, exec_lo, s8
	s_delay_alu instid0(SALU_CYCLE_1)
	s_mov_b32 s8, exec_lo
	v_cmpx_lt_u32_e32 2, v5
	s_cbranch_execz .LBB14_119
; %bb.118:                              ;   in Loop: Header=BB14_110 Depth=2
	flat_store_d16_hi_b8 v[19:20], v86 offset:2
.LBB14_119:                             ;   in Loop: Header=BB14_110 Depth=2
	s_or_b32 exec_lo, exec_lo, s8
	s_delay_alu instid0(SALU_CYCLE_1)
	s_mov_b32 s8, exec_lo
	v_cmpx_lt_u32_e32 3, v5
	s_cbranch_execz .LBB14_121
; %bb.120:                              ;   in Loop: Header=BB14_110 Depth=2
	v_lshrrev_b32_e32 v17, 24, v86
	flat_store_b8 v[19:20], v17 offset:3
.LBB14_121:                             ;   in Loop: Header=BB14_110 Depth=2
	s_or_b32 exec_lo, exec_lo, s8
	s_delay_alu instid0(SALU_CYCLE_1)
	s_mov_b32 s8, exec_lo
	v_cmpx_lt_u32_e32 4, v5
	s_cbranch_execz .LBB14_123
; %bb.122:                              ;   in Loop: Header=BB14_110 Depth=2
	flat_store_b8 v[19:20], v87 offset:4
.LBB14_123:                             ;   in Loop: Header=BB14_110 Depth=2
	s_or_b32 exec_lo, exec_lo, s8
	s_delay_alu instid0(SALU_CYCLE_1)
	s_mov_b32 s8, exec_lo
	v_cmpx_lt_u32_e32 5, v5
	s_cbranch_execz .LBB14_125
; %bb.124:                              ;   in Loop: Header=BB14_110 Depth=2
	v_lshrrev_b32_e32 v17, 8, v87
	flat_store_b8 v[19:20], v17 offset:5
.LBB14_125:                             ;   in Loop: Header=BB14_110 Depth=2
	s_or_b32 exec_lo, exec_lo, s8
	s_delay_alu instid0(SALU_CYCLE_1)
	s_mov_b32 s8, exec_lo
	v_cmpx_lt_u32_e32 6, v5
	s_cbranch_execz .LBB14_127
; %bb.126:                              ;   in Loop: Header=BB14_110 Depth=2
	flat_store_d16_hi_b8 v[19:20], v87 offset:6
.LBB14_127:                             ;   in Loop: Header=BB14_110 Depth=2
	s_or_b32 exec_lo, exec_lo, s8
	s_and_saveexec_b32 s7, vcc_lo
	s_cbranch_execz .LBB14_129
; %bb.128:                              ;   in Loop: Header=BB14_110 Depth=2
	v_lshrrev_b32_e32 v17, 24, v87
	flat_store_b8 v[19:20], v17 offset:7
.LBB14_129:                             ;   in Loop: Header=BB14_110 Depth=2
	s_or_b32 exec_lo, exec_lo, s7
	s_mov_b32 s7, 0
.LBB14_130:                             ;   in Loop: Header=BB14_110 Depth=2
	s_delay_alu instid0(SALU_CYCLE_1)
	s_and_b32 vcc_lo, exec_lo, s7
	s_cbranch_vccz .LBB14_109
; %bb.131:                              ;   in Loop: Header=BB14_110 Depth=2
	global_store_b64 v[19:20], v[86:87], off
	s_branch .LBB14_109
.LBB14_132:                             ;   in Loop: Header=BB14_66 Depth=1
	s_or_b32 exec_lo, exec_lo, s19
.LBB14_133:                             ;   in Loop: Header=BB14_66 Depth=1
	s_delay_alu instid0(SALU_CYCLE_1) | instskip(SKIP_2) | instid1(VALU_DEP_2)
	s_or_b32 exec_lo, exec_lo, s18
	v_and_b32_e32 v5, 0x7ffffff8, v21
	v_cmp_gt_i32_e64 s7, s14, v23
	v_cmp_eq_u64_e32 vcc_lo, 0x7ffffff8, v[5:6]
	s_delay_alu instid0(VALU_DEP_2) | instskip(NEXT) | instid1(SALU_CYCLE_1)
	s_and_b32 s7, vcc_lo, s7
	s_and_saveexec_b32 s8, s7
	s_cbranch_execz .LBB14_136
; %bb.134:                              ;   in Loop: Header=BB14_66 Depth=1
	v_and_b32_e32 v5, 7, v21
	v_ashrrev_i32_e32 v24, 31, v23
	s_mov_b32 s18, 0
	s_delay_alu instid0(VALU_DEP_2) | instskip(NEXT) | instid1(VALU_DEP_2)
	v_mul_lo_u32 v17, v5, s14
	v_lshlrev_b64 v[19:20], 4, v[23:24]
	v_mov_b32_e32 v5, v21
	s_delay_alu instid0(VALU_DEP_3) | instskip(NEXT) | instid1(VALU_DEP_1)
	v_ashrrev_i32_e32 v18, 31, v17
	v_lshlrev_b64 v[17:18], 4, v[17:18]
	s_delay_alu instid0(VALU_DEP_1) | instskip(NEXT) | instid1(VALU_DEP_2)
	v_add_co_u32 v19, vcc_lo, v19, v17
	v_add_co_ci_u32_e32 v20, vcc_lo, v20, v18, vcc_lo
	v_add_co_u32 v17, vcc_lo, 0, 0
	v_add_co_ci_u32_e32 v18, vcc_lo, 1, v5, vcc_lo
	s_delay_alu instid0(VALU_DEP_4) | instskip(NEXT) | instid1(VALU_DEP_4)
	v_add_co_u32 v82, vcc_lo, v48, v19
	v_add_co_ci_u32_e32 v83, vcc_lo, v49, v20, vcc_lo
.LBB14_135:                             ;   Parent Loop BB14_66 Depth=1
                                        ; =>  This Inner Loop Header: Depth=2
	s_delay_alu instid0(VALU_DEP_3) | instskip(SKIP_4) | instid1(VALU_DEP_1)
	v_dual_mov_b32 v19, v17 :: v_dual_mov_b32 v20, v18
	v_add_nc_u32_e32 v23, v23, v1
	global_store_b128 v[82:83], v[17:20], off
	v_cmp_le_i32_e32 vcc_lo, s14, v23
	v_add_co_u32 v82, s7, v82, v70
	v_add_co_ci_u32_e64 v83, s7, v83, v71, s7
	s_or_b32 s18, vcc_lo, s18
	s_delay_alu instid0(SALU_CYCLE_1)
	s_and_not1_b32 exec_lo, exec_lo, s18
	s_cbranch_execnz .LBB14_135
.LBB14_136:                             ;   in Loop: Header=BB14_66 Depth=1
	s_or_b32 exec_lo, exec_lo, s8
.LBB14_137:                             ;   in Loop: Header=BB14_66 Depth=1
	s_and_not1_saveexec_b32 s8, s9
	s_cbranch_execz .LBB14_190
; %bb.138:                              ;   in Loop: Header=BB14_66 Depth=1
	s_and_saveexec_b32 s7, s1
	s_cbranch_execz .LBB14_156
; %bb.139:                              ;   in Loop: Header=BB14_66 Depth=1
	v_add_co_u32 v17, vcc_lo, v15, 1
	v_add_co_ci_u32_e32 v18, vcc_lo, 0, v16, vcc_lo
	s_waitcnt vmcnt(0) lgkmcnt(0)
	v_add_co_u32 v19, vcc_lo, v54, 8
	v_add_co_ci_u32_e32 v20, vcc_lo, 0, v55, vcc_lo
	s_mov_b32 s9, exec_lo
	s_delay_alu instid0(VALU_DEP_1)
	v_cmpx_lt_u64_e64 v[19:20], v[17:18]
	s_cbranch_execz .LBB14_153
; %bb.140:                              ;   in Loop: Header=BB14_66 Depth=1
	s_sleep 1
	flat_load_b64 v[54:55], v[52:53] glc
	v_cmp_eq_u32_e32 vcc_lo, 0, v145
	s_and_saveexec_b32 s18, vcc_lo
	s_cbranch_execz .LBB14_152
; %bb.141:                              ;   in Loop: Header=BB14_66 Depth=1
	v_cndmask_b32_e64 v5, 0, 1, vcc_lo
	s_mov_b32 s19, 0
                                        ; implicit-def: $sgpr20
	s_branch .LBB14_145
.LBB14_142:                             ;   in Loop: Header=BB14_145 Depth=2
	s_or_b32 exec_lo, exec_lo, s23
	s_delay_alu instid0(SALU_CYCLE_1)
	s_or_not1_b32 s23, s24, exec_lo
.LBB14_143:                             ;   in Loop: Header=BB14_145 Depth=2
	s_or_b32 exec_lo, exec_lo, s22
	s_xor_b32 s22, s23, -1
	s_and_not1_b32 s20, s20, exec_lo
	s_and_b32 s22, s22, exec_lo
	s_delay_alu instid0(SALU_CYCLE_1)
	s_or_b32 s20, s20, s22
.LBB14_144:                             ;   in Loop: Header=BB14_145 Depth=2
	s_or_b32 exec_lo, exec_lo, s21
	s_delay_alu instid0(SALU_CYCLE_1) | instskip(NEXT) | instid1(SALU_CYCLE_1)
	s_and_b32 s21, exec_lo, s20
	s_or_b32 s19, s21, s19
	s_delay_alu instid0(SALU_CYCLE_1)
	s_and_not1_b32 exec_lo, exec_lo, s19
	s_cbranch_execz .LBB14_151
.LBB14_145:                             ;   Parent Loop BB14_66 Depth=1
                                        ; =>  This Inner Loop Header: Depth=2
	s_waitcnt vmcnt(0) lgkmcnt(0)
	v_add_co_u32 v19, vcc_lo, v54, 8
	v_add_co_ci_u32_e32 v20, vcc_lo, 0, v55, vcc_lo
	v_mov_b32_e32 v145, 0
	s_or_b32 s20, s20, exec_lo
	s_mov_b32 s21, exec_lo
	s_delay_alu instid0(VALU_DEP_2)
	v_cmpx_lt_u64_e64 v[19:20], v[17:18]
	s_cbranch_execz .LBB14_144
; %bb.146:                              ;   in Loop: Header=BB14_145 Depth=2
	s_sleep 1
	flat_load_b64 v[54:55], v[52:53] glc
	v_add_nc_u32_e32 v5, 1, v5
	v_mov_b32_e32 v145, 0
	s_mov_b32 s23, -1
	s_mov_b32 s22, exec_lo
	s_delay_alu instid0(VALU_DEP_2)
	v_cmpx_eq_u32_e32 0x2710, v5
	s_cbranch_execz .LBB14_143
; %bb.147:                              ;   in Loop: Header=BB14_145 Depth=2
	s_cbranch_execnz .LBB14_396
; %bb.148:                              ;   in Loop: Header=BB14_145 Depth=2
	ds_load_b64 v[19:20], v0
	v_mov_b32_e32 v5, 0
	v_mov_b32_e32 v145, 0
	s_mov_b32 s24, -1
	s_mov_b32 s23, exec_lo
	s_waitcnt vmcnt(0) lgkmcnt(0)
	s_waitcnt_vscnt null, 0x0
	flat_load_b32 v16, v[19:20] glc
	s_waitcnt vmcnt(0) lgkmcnt(0)
	buffer_gl1_inv
	buffer_gl0_inv
	v_cmpx_ne_u32_e32 0, v16
	s_cbranch_execz .LBB14_142
; %bb.149:                              ;   in Loop: Header=BB14_145 Depth=2
	ds_store_b32 v0, v16
	s_cbranch_execnz .LBB14_433
; %bb.150:                              ;   in Loop: Header=BB14_145 Depth=2
	v_mov_b32_e32 v145, 1
	s_xor_b32 s24, exec_lo, -1
	s_branch .LBB14_142
.LBB14_151:                             ;   in Loop: Header=BB14_66 Depth=1
	s_or_b32 exec_lo, exec_lo, s19
.LBB14_152:                             ;   in Loop: Header=BB14_66 Depth=1
	s_delay_alu instid0(SALU_CYCLE_1)
	s_or_b32 exec_lo, exec_lo, s18
.LBB14_153:                             ;   in Loop: Header=BB14_66 Depth=1
	s_delay_alu instid0(SALU_CYCLE_1)
	s_or_b32 exec_lo, exec_lo, s9
	s_and_saveexec_b32 s9, s2
	s_cbranch_execz .LBB14_155
; %bb.154:                              ;   in Loop: Header=BB14_66 Depth=1
	v_and_b32_e32 v5, 0x7ffffff8, v15
	v_and_b32_e32 v16, 7, v15
	s_delay_alu instid0(VALU_DEP_2) | instskip(NEXT) | instid1(VALU_DEP_2)
	v_cmp_eq_u64_e32 vcc_lo, 0x7ffffff8, v[5:6]
	v_mad_u64_u32 v[19:20], null, v16, 24, v[13:14]
	v_cndmask_b32_e64 v5, v148, s14, vcc_lo
	s_delay_alu instid0(VALU_DEP_1) | instskip(NEXT) | instid1(VALU_DEP_1)
	v_lshlrev_b32_e32 v15, 4, v5
	v_ashrrev_i32_e32 v16, 31, v15
	flat_store_b64 v[19:20], v[15:16] offset:8 dlc
	s_waitcnt_vscnt null, 0x0
.LBB14_155:                             ;   in Loop: Header=BB14_66 Depth=1
	s_or_b32 exec_lo, exec_lo, s9
	v_dual_mov_b32 v15, v17 :: v_dual_mov_b32 v16, v18
.LBB14_156:                             ;   in Loop: Header=BB14_66 Depth=1
	s_or_b32 exec_lo, exec_lo, s7
	s_and_saveexec_b32 s7, s3
	s_cbranch_execz .LBB14_178
; %bb.157:                              ;   in Loop: Header=BB14_66 Depth=1
	s_and_saveexec_b32 s9, s4
	s_delay_alu instid0(SALU_CYCLE_1)
	s_xor_b32 s9, exec_lo, s9
	s_cbranch_execz .LBB14_175
; %bb.158:                              ;   in Loop: Header=BB14_66 Depth=1
	s_and_saveexec_b32 s18, s5
	s_cbranch_execz .LBB14_174
; %bb.159:                              ;   in Loop: Header=BB14_66 Depth=1
	s_mov_b32 s20, exec_lo
	s_mov_b32 s19, exec_lo
	v_mbcnt_lo_u32_b32 v5, s20, 0
	s_waitcnt vmcnt(0) lgkmcnt(0)
	s_waitcnt_vscnt null, 0x0
	buffer_gl1_inv
	buffer_gl0_inv
	v_cmpx_eq_u32_e32 0, v5
	s_cbranch_execz .LBB14_161
; %bb.160:                              ;   in Loop: Header=BB14_66 Depth=1
	s_bcnt1_i32_b32 s20, s20
	s_delay_alu instid0(SALU_CYCLE_1)
	v_mov_b32_e32 v5, s20
	ds_add_u64 v0, v[5:6]
	s_cbranch_execnz .LBB14_425
.LBB14_161:                             ;   in Loop: Header=BB14_66 Depth=1
	s_or_b32 exec_lo, exec_lo, s19
	s_cbranch_execnz .LBB14_415
; %bb.162:                              ;   in Loop: Header=BB14_66 Depth=1
	ds_load_b64 v[17:18], v0
	v_add_co_u32 v2, vcc_lo, v2, v113
	v_add_co_ci_u32_e32 v3, vcc_lo, v3, v115, vcc_lo
	s_mov_b32 s19, exec_lo
	s_waitcnt lgkmcnt(0)
	s_delay_alu instid0(VALU_DEP_1)
	v_cmpx_lt_u64_e64 v[17:18], v[2:3]
	s_cbranch_execz .LBB14_173
; %bb.163:                              ;   in Loop: Header=BB14_66 Depth=1
	s_mov_b32 s20, 0
	s_mov_b32 s23, 0
                                        ; implicit-def: $sgpr21
                                        ; implicit-def: $sgpr22
	s_branch .LBB14_165
.LBB14_164:                             ;   in Loop: Header=BB14_165 Depth=2
	s_or_b32 exec_lo, exec_lo, s26
	s_delay_alu instid0(SALU_CYCLE_1) | instskip(NEXT) | instid1(SALU_CYCLE_1)
	s_and_b32 s24, exec_lo, s25
	s_or_b32 s20, s24, s20
	s_and_not1_b32 s21, s21, exec_lo
	s_and_b32 s24, s22, exec_lo
	s_delay_alu instid0(SALU_CYCLE_1)
	s_or_b32 s21, s21, s24
	s_and_not1_b32 exec_lo, exec_lo, s20
	s_cbranch_execz .LBB14_171
.LBB14_165:                             ;   Parent Loop BB14_66 Depth=1
                                        ; =>  This Inner Loop Header: Depth=2
	s_add_i32 s23, s23, 1
                                        ; implicit-def: $sgpr25
	s_delay_alu instid0(SALU_CYCLE_1) | instskip(SKIP_1) | instid1(SALU_CYCLE_1)
	s_cmpk_lg_i32 s23, 0x2710
	s_cselect_b32 s24, -1, 0
	s_and_b32 vcc_lo, exec_lo, s24
	s_cbranch_vccz .LBB14_169
.LBB14_166:                             ;   in Loop: Header=BB14_165 Depth=2
	s_and_not1_b32 s22, s22, exec_lo
	s_and_b32 s26, s25, exec_lo
	s_mov_b32 s25, -1
	s_or_b32 s22, s22, s26
	s_and_saveexec_b32 s26, s24
	s_cbranch_execz .LBB14_164
; %bb.167:                              ;   in Loop: Header=BB14_165 Depth=2
	s_sleep 1
	s_cbranch_execnz .LBB14_447
; %bb.168:                              ;   in Loop: Header=BB14_165 Depth=2
	ds_load_b64 v[17:18], v0
	s_and_not1_b32 s22, s22, exec_lo
	s_waitcnt lgkmcnt(0)
	v_cmp_ge_u64_e32 vcc_lo, v[17:18], v[2:3]
	s_or_not1_b32 s25, vcc_lo, exec_lo
	s_branch .LBB14_164
.LBB14_169:                             ;   in Loop: Header=BB14_165 Depth=2
	s_cbranch_execnz .LBB14_451
; %bb.170:                              ;   in Loop: Header=BB14_165 Depth=2
	ds_load_b64 v[17:18], v0
	s_and_not1_b32 s24, s24, exec_lo
	s_mov_b32 s23, 0
	s_mov_b32 s25, -1
	s_waitcnt lgkmcnt(0)
	flat_load_b32 v5, v[17:18] glc
	s_waitcnt vmcnt(0) lgkmcnt(0)
	buffer_gl1_inv
	buffer_gl0_inv
	v_cmp_eq_u32_e32 vcc_lo, 0, v5
	s_and_b32 s26, vcc_lo, exec_lo
	s_delay_alu instid0(SALU_CYCLE_1)
	s_or_b32 s24, s24, s26
	s_branch .LBB14_166
.LBB14_171:                             ;   in Loop: Header=BB14_66 Depth=1
	s_or_b32 exec_lo, exec_lo, s20
	s_and_saveexec_b32 s20, s21
	s_delay_alu instid0(SALU_CYCLE_1)
	s_xor_b32 s20, exec_lo, s20
	s_cbranch_execz .LBB14_173
; %bb.172:                              ;   in Loop: Header=BB14_66 Depth=1
	ds_store_b32 v0, v144
	s_cbranch_execnz .LBB14_475
.LBB14_173:                             ;   in Loop: Header=BB14_66 Depth=1
	s_or_b32 exec_lo, exec_lo, s19
	;;#ASMSTART
	s_wakeup
	;;#ASMEND
.LBB14_174:                             ;   in Loop: Header=BB14_66 Depth=1
	s_or_b32 exec_lo, exec_lo, s18
.LBB14_175:                             ;   in Loop: Header=BB14_66 Depth=1
	s_and_not1_saveexec_b32 s9, s9
	s_cbranch_execz .LBB14_177
; %bb.176:                              ;   in Loop: Header=BB14_66 Depth=1
	s_waitcnt vmcnt(0) lgkmcnt(0)
	s_waitcnt_vscnt null, 0x0
	buffer_gl1_inv
	buffer_gl0_inv
	s_barrier
.LBB14_177:                             ;   in Loop: Header=BB14_66 Depth=1
	s_or_b32 exec_lo, exec_lo, s9
.LBB14_178:                             ;   in Loop: Header=BB14_66 Depth=1
	s_delay_alu instid0(SALU_CYCLE_1) | instskip(SKIP_3) | instid1(VALU_DEP_2)
	s_or_b32 exec_lo, exec_lo, s7
	v_sub_nc_u32_e32 v5, v96, v114
	v_mov_b32_e32 v23, v4
	s_mov_b32 s9, exec_lo
	v_cmpx_lt_i32_e32 0, v5
	s_cbranch_execz .LBB14_186
; %bb.179:                              ;   in Loop: Header=BB14_66 Depth=1
	v_dual_mov_b32 v24, v131 :: v_dual_and_b32 v17, 7, v21
	v_mov_b32_e32 v23, v21
	v_add_co_u32 v97, vcc_lo, 0, 0
	s_delay_alu instid0(VALU_DEP_3) | instskip(SKIP_2) | instid1(VALU_DEP_2)
	v_mul_lo_u32 v17, v17, s14
	v_dual_mov_b32 v83, v67 :: v_dual_mov_b32 v82, v66
	s_mov_b32 s18, 0
	v_ashrrev_i32_e32 v18, 31, v17
	s_delay_alu instid0(VALU_DEP_1) | instskip(SKIP_2) | instid1(VALU_DEP_3)
	v_lshlrev_b64 v[19:20], 4, v[17:18]
	v_add_co_ci_u32_e32 v18, vcc_lo, 1, v23, vcc_lo
	v_mov_b32_e32 v23, v4
	v_add_co_u32 v84, vcc_lo, v134, v19
	s_delay_alu instid0(VALU_DEP_4)
	v_add_co_ci_u32_e32 v85, vcc_lo, v135, v20, vcc_lo
	s_set_inst_prefetch_distance 0x1
	s_branch .LBB14_181
.LBB14_180:                             ;   in Loop: Header=BB14_181 Depth=2
	s_or_b32 exec_lo, exec_lo, s7
	s_waitcnt vmcnt(0) lgkmcnt(0)
	v_alignbit_b32 v17, v99, v17, v24
	v_alignbit_b32 v19, v98, v99, v24
	v_dual_mov_b32 v20, v18 :: v_dual_add_nc_u32 v23, v23, v1
	v_sub_nc_u32_e32 v5, v5, v117
	s_delay_alu instid0(VALU_DEP_4) | instskip(NEXT) | instid1(VALU_DEP_4)
	v_or_b32_e32 v17, v97, v17
	v_or_b32_e32 v19, v97, v19
	v_add_co_u32 v82, vcc_lo, v82, v117
	v_add_co_ci_u32_e32 v83, vcc_lo, v83, v128, vcc_lo
	global_store_b128 v[84:85], v[17:20], off
	v_cmp_gt_i32_e32 vcc_lo, 1, v5
	v_add_co_u32 v84, s7, v84, v70
	v_add_nc_u32_e32 v24, v24, v133
	v_add_co_ci_u32_e64 v85, s7, v85, v71, s7
	s_or_b32 s18, vcc_lo, s18
	s_delay_alu instid0(SALU_CYCLE_1)
	s_and_not1_b32 exec_lo, exec_lo, s18
	s_cbranch_execz .LBB14_185
.LBB14_181:                             ;   Parent Loop BB14_66 Depth=1
                                        ; =>  This Inner Loop Header: Depth=2
	v_dual_mov_b32 v20, v83 :: v_dual_and_b32 v19, -4, v82
	v_min_u32_e32 v86, 8, v5
	v_dual_mov_b32 v98, 0 :: v_dual_and_b32 v87, 3, v82
	v_mov_b32_e32 v99, 0
	flat_load_b32 v17, v[19:20] glc
	v_add_co_u32 v86, s7, v87, v86
	s_delay_alu instid0(VALU_DEP_1) | instskip(SKIP_1) | instid1(VALU_DEP_1)
	v_add_co_ci_u32_e64 v87, null, 0, 0, s7
	s_mov_b32 s7, exec_lo
	v_cmpx_lt_u64_e32 4, v[86:87]
	s_cbranch_execz .LBB14_183
; %bb.182:                              ;   in Loop: Header=BB14_181 Depth=2
	flat_load_b32 v99, v[19:20] offset:4 glc
.LBB14_183:                             ;   in Loop: Header=BB14_181 Depth=2
	s_or_b32 exec_lo, exec_lo, s7
	s_delay_alu instid0(SALU_CYCLE_1)
	s_mov_b32 s7, exec_lo
	v_cmpx_lt_u64_e32 8, v[86:87]
	s_cbranch_execz .LBB14_180
; %bb.184:                              ;   in Loop: Header=BB14_181 Depth=2
	flat_load_b32 v98, v[19:20] offset:8 glc
	s_branch .LBB14_180
.LBB14_185:                             ;   in Loop: Header=BB14_66 Depth=1
	s_set_inst_prefetch_distance 0x2
	s_or_b32 exec_lo, exec_lo, s18
.LBB14_186:                             ;   in Loop: Header=BB14_66 Depth=1
	s_delay_alu instid0(SALU_CYCLE_1) | instskip(SKIP_2) | instid1(VALU_DEP_2)
	s_or_b32 exec_lo, exec_lo, s9
	v_and_b32_e32 v5, 0x7ffffff8, v21
	v_cmp_gt_i32_e64 s7, s14, v23
	v_cmp_eq_u64_e32 vcc_lo, 0x7ffffff8, v[5:6]
	s_delay_alu instid0(VALU_DEP_2) | instskip(NEXT) | instid1(SALU_CYCLE_1)
	s_and_b32 s7, vcc_lo, s7
	s_and_saveexec_b32 s9, s7
	s_cbranch_execz .LBB14_189
; %bb.187:                              ;   in Loop: Header=BB14_66 Depth=1
	v_and_b32_e32 v5, 7, v21
	v_ashrrev_i32_e32 v24, 31, v23
	s_mov_b32 s18, 0
	s_delay_alu instid0(VALU_DEP_2) | instskip(NEXT) | instid1(VALU_DEP_2)
	v_mul_lo_u32 v17, v5, s14
	v_lshlrev_b64 v[19:20], 4, v[23:24]
	v_mov_b32_e32 v5, v21
	s_delay_alu instid0(VALU_DEP_3) | instskip(NEXT) | instid1(VALU_DEP_1)
	v_ashrrev_i32_e32 v18, 31, v17
	v_lshlrev_b64 v[17:18], 4, v[17:18]
	s_delay_alu instid0(VALU_DEP_1) | instskip(NEXT) | instid1(VALU_DEP_2)
	v_add_co_u32 v19, vcc_lo, v19, v17
	v_add_co_ci_u32_e32 v20, vcc_lo, v20, v18, vcc_lo
	v_add_co_u32 v17, vcc_lo, 0, 0
	v_add_co_ci_u32_e32 v18, vcc_lo, 1, v5, vcc_lo
	s_delay_alu instid0(VALU_DEP_4) | instskip(NEXT) | instid1(VALU_DEP_4)
	v_add_co_u32 v82, vcc_lo, v48, v19
	v_add_co_ci_u32_e32 v83, vcc_lo, v49, v20, vcc_lo
.LBB14_188:                             ;   Parent Loop BB14_66 Depth=1
                                        ; =>  This Inner Loop Header: Depth=2
	s_delay_alu instid0(VALU_DEP_3) | instskip(SKIP_4) | instid1(VALU_DEP_1)
	v_dual_mov_b32 v19, v17 :: v_dual_mov_b32 v20, v18
	v_add_nc_u32_e32 v23, v23, v1
	global_store_b128 v[82:83], v[17:20], off
	v_cmp_le_i32_e32 vcc_lo, s14, v23
	v_add_co_u32 v82, s7, v82, v70
	v_add_co_ci_u32_e64 v83, s7, v83, v71, s7
	s_or_b32 s18, vcc_lo, s18
	s_delay_alu instid0(SALU_CYCLE_1)
	s_and_not1_b32 exec_lo, exec_lo, s18
	s_cbranch_execnz .LBB14_188
.LBB14_189:                             ;   in Loop: Header=BB14_66 Depth=1
	s_or_b32 exec_lo, exec_lo, s9
.LBB14_190:                             ;   in Loop: Header=BB14_66 Depth=1
	s_delay_alu instid0(SALU_CYCLE_1)
	s_or_b32 exec_lo, exec_lo, s8
	v_add_co_u32 v82, vcc_lo, v21, 1
	v_add_co_ci_u32_e32 v83, vcc_lo, 0, v22, vcc_lo
	v_sub_nc_u32_e32 v149, v96, v114
	s_and_not1_b32 vcc_lo, exec_lo, s16
	s_cbranch_vccnz .LBB14_192
; %bb.191:                              ;   in Loop: Header=BB14_66 Depth=1
	v_sub_nc_u32_e32 v5, v96, v114
	s_mov_b32 s7, 0
	s_branch .LBB14_193
.LBB14_192:                             ;   in Loop: Header=BB14_66 Depth=1
	s_mov_b32 s7, -1
                                        ; implicit-def: $vgpr5
.LBB14_193:                             ;   in Loop: Header=BB14_66 Depth=1
	s_delay_alu instid0(SALU_CYCLE_1)
	s_and_not1_b32 vcc_lo, exec_lo, s7
	s_cbranch_vccnz .LBB14_305
; %bb.194:                              ;   in Loop: Header=BB14_66 Depth=1
	v_add_co_u32 v84, vcc_lo, v118, v146
	v_cmp_lt_i32_e64 s7, 0, v149
	v_add_co_ci_u32_e32 v85, vcc_lo, v119, v147, vcc_lo
	v_add_nc_u16 v150, v21, 1
	s_mov_b32 s18, 1
.LBB14_195:                             ;   Parent Loop BB14_66 Depth=1
                                        ; =>  This Loop Header: Depth=2
                                        ;       Child Loop BB14_202 Depth 3
                                        ;       Child Loop BB14_222 Depth 3
	;; [unrolled: 1-line block ×3, first 2 shown]
                                        ;         Child Loop BB14_242 Depth 4
                                        ;       Child Loop BB14_284 Depth 3
                                        ;       Child Loop BB14_301 Depth 3
	s_delay_alu instid0(SALU_CYCLE_1) | instskip(NEXT) | instid1(SALU_CYCLE_1)
	s_sub_i32 s8, s10, s18
	s_ashr_i32 s9, s8, 31
	s_delay_alu instid0(SALU_CYCLE_1) | instskip(NEXT) | instid1(SALU_CYCLE_1)
	s_lshl_b64 s[8:9], s[8:9], 2
	v_add_co_u32 v17, vcc_lo, v25, s8
	v_add_co_ci_u32_e32 v18, vcc_lo, s9, v26, vcc_lo
	s_waitcnt vmcnt(0) lgkmcnt(0)
	flat_load_b32 v19, v[17:18]
	s_and_saveexec_b32 s8, s1
	s_cbranch_execz .LBB14_213
; %bb.196:                              ;   in Loop: Header=BB14_195 Depth=2
	v_add_co_u32 v17, vcc_lo, v15, 1
	v_add_co_ci_u32_e32 v18, vcc_lo, 0, v16, vcc_lo
	s_waitcnt vmcnt(1) lgkmcnt(1)
	v_add_co_u32 v20, vcc_lo, v54, 8
	v_add_co_ci_u32_e32 v21, vcc_lo, 0, v55, vcc_lo
	s_mov_b32 s9, exec_lo
	s_delay_alu instid0(VALU_DEP_1)
	v_cmpx_lt_u64_e64 v[20:21], v[17:18]
	s_cbranch_execz .LBB14_210
; %bb.197:                              ;   in Loop: Header=BB14_195 Depth=2
	s_sleep 1
	flat_load_b64 v[54:55], v[52:53] glc
	v_cmp_eq_u32_e32 vcc_lo, 0, v145
	s_and_saveexec_b32 s19, vcc_lo
	s_cbranch_execz .LBB14_209
; %bb.198:                              ;   in Loop: Header=BB14_195 Depth=2
	v_cndmask_b32_e64 v5, 0, 1, vcc_lo
	s_mov_b32 s20, 0
                                        ; implicit-def: $sgpr21
	s_branch .LBB14_202
.LBB14_199:                             ;   in Loop: Header=BB14_202 Depth=3
	s_or_b32 exec_lo, exec_lo, s24
	s_delay_alu instid0(SALU_CYCLE_1)
	s_or_not1_b32 s24, s25, exec_lo
.LBB14_200:                             ;   in Loop: Header=BB14_202 Depth=3
	s_or_b32 exec_lo, exec_lo, s23
	s_xor_b32 s23, s24, -1
	s_and_not1_b32 s21, s21, exec_lo
	s_and_b32 s23, s23, exec_lo
	s_delay_alu instid0(SALU_CYCLE_1)
	s_or_b32 s21, s21, s23
.LBB14_201:                             ;   in Loop: Header=BB14_202 Depth=3
	s_or_b32 exec_lo, exec_lo, s22
	s_delay_alu instid0(SALU_CYCLE_1) | instskip(NEXT) | instid1(SALU_CYCLE_1)
	s_and_b32 s22, exec_lo, s21
	s_or_b32 s20, s22, s20
	s_delay_alu instid0(SALU_CYCLE_1)
	s_and_not1_b32 exec_lo, exec_lo, s20
	s_cbranch_execz .LBB14_208
.LBB14_202:                             ;   Parent Loop BB14_66 Depth=1
                                        ;     Parent Loop BB14_195 Depth=2
                                        ; =>    This Inner Loop Header: Depth=3
	s_waitcnt vmcnt(0) lgkmcnt(0)
	v_add_co_u32 v20, vcc_lo, v54, 8
	v_add_co_ci_u32_e32 v21, vcc_lo, 0, v55, vcc_lo
	v_mov_b32_e32 v145, 0
	s_or_b32 s21, s21, exec_lo
	s_mov_b32 s22, exec_lo
	s_delay_alu instid0(VALU_DEP_2)
	v_cmpx_lt_u64_e64 v[20:21], v[17:18]
	s_cbranch_execz .LBB14_201
; %bb.203:                              ;   in Loop: Header=BB14_202 Depth=3
	s_sleep 1
	flat_load_b64 v[54:55], v[52:53] glc
	v_add_nc_u32_e32 v5, 1, v5
	v_mov_b32_e32 v145, 0
	s_mov_b32 s24, -1
	s_mov_b32 s23, exec_lo
	s_delay_alu instid0(VALU_DEP_2)
	v_cmpx_eq_u32_e32 0x2710, v5
	s_cbranch_execz .LBB14_200
; %bb.204:                              ;   in Loop: Header=BB14_202 Depth=3
	s_cbranch_execnz .LBB14_390
; %bb.205:                              ;   in Loop: Header=BB14_202 Depth=3
	ds_load_b64 v[20:21], v0
	v_mov_b32_e32 v5, 0
	v_mov_b32_e32 v145, 0
	s_mov_b32 s25, -1
	s_mov_b32 s24, exec_lo
	s_waitcnt vmcnt(0) lgkmcnt(0)
	s_waitcnt_vscnt null, 0x0
	flat_load_b32 v16, v[20:21] glc
	s_waitcnt vmcnt(0) lgkmcnt(0)
	buffer_gl1_inv
	buffer_gl0_inv
	v_cmpx_ne_u32_e32 0, v16
	s_cbranch_execz .LBB14_199
; %bb.206:                              ;   in Loop: Header=BB14_202 Depth=3
	ds_store_b32 v0, v16
	s_cbranch_execnz .LBB14_419
; %bb.207:                              ;   in Loop: Header=BB14_202 Depth=3
	v_mov_b32_e32 v145, 1
	s_xor_b32 s25, exec_lo, -1
	s_branch .LBB14_199
.LBB14_208:                             ;   in Loop: Header=BB14_195 Depth=2
	s_or_b32 exec_lo, exec_lo, s20
.LBB14_209:                             ;   in Loop: Header=BB14_195 Depth=2
	s_delay_alu instid0(SALU_CYCLE_1)
	s_or_b32 exec_lo, exec_lo, s19
.LBB14_210:                             ;   in Loop: Header=BB14_195 Depth=2
	s_delay_alu instid0(SALU_CYCLE_1)
	s_or_b32 exec_lo, exec_lo, s9
	s_and_saveexec_b32 s9, s2
	s_cbranch_execz .LBB14_212
; %bb.211:                              ;   in Loop: Header=BB14_195 Depth=2
	v_and_b32_e32 v5, 0x7ffffff8, v15
	v_and_b32_e32 v16, 7, v15
	s_delay_alu instid0(VALU_DEP_2) | instskip(NEXT) | instid1(VALU_DEP_2)
	v_cmp_eq_u64_e32 vcc_lo, 0x7ffffff8, v[5:6]
	v_mad_u64_u32 v[20:21], null, v16, 24, v[13:14]
	v_cndmask_b32_e64 v5, v148, s14, vcc_lo
	s_delay_alu instid0(VALU_DEP_1) | instskip(NEXT) | instid1(VALU_DEP_1)
	v_lshlrev_b32_e32 v15, 4, v5
	v_ashrrev_i32_e32 v16, 31, v15
	flat_store_b64 v[20:21], v[15:16] offset:8 dlc
	s_waitcnt_vscnt null, 0x0
.LBB14_212:                             ;   in Loop: Header=BB14_195 Depth=2
	s_or_b32 exec_lo, exec_lo, s9
	v_dual_mov_b32 v15, v17 :: v_dual_mov_b32 v16, v18
.LBB14_213:                             ;   in Loop: Header=BB14_195 Depth=2
	s_or_b32 exec_lo, exec_lo, s8
	s_and_saveexec_b32 s8, s3
	s_cbranch_execz .LBB14_235
; %bb.214:                              ;   in Loop: Header=BB14_195 Depth=2
	s_and_saveexec_b32 s9, s4
	s_delay_alu instid0(SALU_CYCLE_1)
	s_xor_b32 s9, exec_lo, s9
	s_cbranch_execz .LBB14_232
; %bb.215:                              ;   in Loop: Header=BB14_195 Depth=2
	s_and_saveexec_b32 s19, s5
	s_cbranch_execz .LBB14_231
; %bb.216:                              ;   in Loop: Header=BB14_195 Depth=2
	s_mov_b32 s21, exec_lo
	s_mov_b32 s20, exec_lo
	v_mbcnt_lo_u32_b32 v5, s21, 0
	s_waitcnt vmcnt(0) lgkmcnt(0)
	s_waitcnt_vscnt null, 0x0
	buffer_gl1_inv
	buffer_gl0_inv
	v_cmpx_eq_u32_e32 0, v5
	s_cbranch_execz .LBB14_218
; %bb.217:                              ;   in Loop: Header=BB14_195 Depth=2
	s_bcnt1_i32_b32 s21, s21
	s_delay_alu instid0(SALU_CYCLE_1)
	v_mov_b32_e32 v5, s21
	ds_add_u64 v0, v[5:6]
	s_cbranch_execnz .LBB14_417
.LBB14_218:                             ;   in Loop: Header=BB14_195 Depth=2
	s_or_b32 exec_lo, exec_lo, s20
	s_cbranch_execnz .LBB14_409
; %bb.219:                              ;   in Loop: Header=BB14_195 Depth=2
	ds_load_b64 v[17:18], v0
	v_add_co_u32 v2, vcc_lo, v2, v113
	v_add_co_ci_u32_e32 v3, vcc_lo, v3, v115, vcc_lo
	s_mov_b32 s20, exec_lo
	s_waitcnt lgkmcnt(0)
	s_delay_alu instid0(VALU_DEP_1)
	v_cmpx_lt_u64_e64 v[17:18], v[2:3]
	s_cbranch_execz .LBB14_230
; %bb.220:                              ;   in Loop: Header=BB14_195 Depth=2
	s_mov_b32 s21, 0
	s_mov_b32 s24, 0
                                        ; implicit-def: $sgpr22
                                        ; implicit-def: $sgpr23
	s_branch .LBB14_222
.LBB14_221:                             ;   in Loop: Header=BB14_222 Depth=3
	s_or_b32 exec_lo, exec_lo, s27
	s_delay_alu instid0(SALU_CYCLE_1) | instskip(NEXT) | instid1(SALU_CYCLE_1)
	s_and_b32 s25, exec_lo, s26
	s_or_b32 s21, s25, s21
	s_and_not1_b32 s22, s22, exec_lo
	s_and_b32 s25, s23, exec_lo
	s_delay_alu instid0(SALU_CYCLE_1)
	s_or_b32 s22, s22, s25
	s_and_not1_b32 exec_lo, exec_lo, s21
	s_cbranch_execz .LBB14_228
.LBB14_222:                             ;   Parent Loop BB14_66 Depth=1
                                        ;     Parent Loop BB14_195 Depth=2
                                        ; =>    This Inner Loop Header: Depth=3
	s_add_i32 s24, s24, 1
                                        ; implicit-def: $sgpr26
	s_delay_alu instid0(SALU_CYCLE_1) | instskip(SKIP_1) | instid1(SALU_CYCLE_1)
	s_cmpk_lg_i32 s24, 0x2710
	s_cselect_b32 s25, -1, 0
	s_and_b32 vcc_lo, exec_lo, s25
	s_cbranch_vccz .LBB14_226
.LBB14_223:                             ;   in Loop: Header=BB14_222 Depth=3
	s_and_not1_b32 s23, s23, exec_lo
	s_and_b32 s27, s26, exec_lo
	s_mov_b32 s26, -1
	s_or_b32 s23, s23, s27
	s_and_saveexec_b32 s27, s25
	s_cbranch_execz .LBB14_221
; %bb.224:                              ;   in Loop: Header=BB14_222 Depth=3
	s_sleep 1
	s_cbranch_execnz .LBB14_439
; %bb.225:                              ;   in Loop: Header=BB14_222 Depth=3
	ds_load_b64 v[17:18], v0
	s_and_not1_b32 s23, s23, exec_lo
	s_waitcnt lgkmcnt(0)
	v_cmp_ge_u64_e32 vcc_lo, v[17:18], v[2:3]
	s_or_not1_b32 s26, vcc_lo, exec_lo
	s_branch .LBB14_221
.LBB14_226:                             ;   in Loop: Header=BB14_222 Depth=3
	s_cbranch_execnz .LBB14_443
; %bb.227:                              ;   in Loop: Header=BB14_222 Depth=3
	ds_load_b64 v[17:18], v0
	s_and_not1_b32 s25, s25, exec_lo
	s_mov_b32 s24, 0
	s_mov_b32 s26, -1
	s_waitcnt lgkmcnt(0)
	flat_load_b32 v5, v[17:18] glc
	s_waitcnt vmcnt(0) lgkmcnt(0)
	buffer_gl1_inv
	buffer_gl0_inv
	v_cmp_eq_u32_e32 vcc_lo, 0, v5
	s_and_b32 s27, vcc_lo, exec_lo
	s_delay_alu instid0(SALU_CYCLE_1)
	s_or_b32 s25, s25, s27
	s_branch .LBB14_223
.LBB14_228:                             ;   in Loop: Header=BB14_195 Depth=2
	s_or_b32 exec_lo, exec_lo, s21
	s_and_saveexec_b32 s21, s22
	s_delay_alu instid0(SALU_CYCLE_1)
	s_xor_b32 s21, exec_lo, s21
	s_cbranch_execz .LBB14_230
; %bb.229:                              ;   in Loop: Header=BB14_195 Depth=2
	ds_store_b32 v0, v144
	s_cbranch_execnz .LBB14_471
.LBB14_230:                             ;   in Loop: Header=BB14_195 Depth=2
	s_or_b32 exec_lo, exec_lo, s20
	;;#ASMSTART
	s_wakeup
	;;#ASMEND
.LBB14_231:                             ;   in Loop: Header=BB14_195 Depth=2
	s_or_b32 exec_lo, exec_lo, s19
.LBB14_232:                             ;   in Loop: Header=BB14_195 Depth=2
	s_and_not1_saveexec_b32 s9, s9
	s_cbranch_execz .LBB14_234
; %bb.233:                              ;   in Loop: Header=BB14_195 Depth=2
	s_waitcnt vmcnt(0) lgkmcnt(0)
	s_waitcnt_vscnt null, 0x0
	buffer_gl1_inv
	buffer_gl0_inv
	s_barrier
.LBB14_234:                             ;   in Loop: Header=BB14_195 Depth=2
	s_or_b32 exec_lo, exec_lo, s9
.LBB14_235:                             ;   in Loop: Header=BB14_195 Depth=2
	s_delay_alu instid0(SALU_CYCLE_1)
	s_or_b32 exec_lo, exec_lo, s8
	v_mov_b32_e32 v86, v4
	s_and_saveexec_b32 s19, s7
	s_cbranch_execz .LBB14_275
; %bb.236:                              ;   in Loop: Header=BB14_195 Depth=2
	v_dual_mov_b32 v164, v149 :: v_dual_and_b32 v5, 7, v34
	v_dual_mov_b32 v23, v82 :: v_dual_and_b32 v18, 7, v82
	s_waitcnt vmcnt(0) lgkmcnt(0)
	v_mad_u64_u32 v[96:97], null, v0, v19, v[84:85]
	s_delay_alu instid0(VALU_DEP_3)
	v_mul_lo_u32 v17, v5, s14
	v_ashrrev_i32_e32 v5, 31, v19
	v_mul_lo_u32 v20, v18, s14
	v_mul_lo_u32 v19, v102, v19
	v_mov_b32_e32 v86, v4
	s_mov_b32 s20, 0
	v_mul_lo_u32 v22, v0, v5
	v_add_nc_u32_e32 v5, 1, v34
	v_ashrrev_i32_e32 v18, 31, v17
	v_ashrrev_i32_e32 v21, 31, v20
	s_delay_alu instid0(VALU_DEP_2) | instskip(SKIP_1) | instid1(VALU_DEP_3)
	v_lshlrev_b64 v[17:18], 4, v[17:18]
	v_add3_u32 v97, v19, v97, v22
	v_lshlrev_b64 v[19:20], 4, v[20:21]
	s_delay_alu instid0(VALU_DEP_3) | instskip(NEXT) | instid1(VALU_DEP_4)
	v_add_co_u32 v151, vcc_lo, v32, v17
	v_add_co_ci_u32_e32 v160, vcc_lo, v33, v18, vcc_lo
	s_delay_alu instid0(VALU_DEP_3) | instskip(NEXT) | instid1(VALU_DEP_4)
	v_add_co_u32 v161, vcc_lo, v48, v19
	v_add_co_ci_u32_e32 v162, vcc_lo, v49, v20, vcc_lo
	v_add_co_u32 v163, vcc_lo, 0, 0
	v_add_co_ci_u32_e32 v18, vcc_lo, 1, v23, vcc_lo
	s_branch .LBB14_238
.LBB14_237:                             ;   in Loop: Header=BB14_238 Depth=3
	v_sub_nc_u32_e32 v164, v164, v117
	v_add_co_u32 v96, s8, v96, v117
	s_delay_alu instid0(VALU_DEP_1) | instskip(NEXT) | instid1(VALU_DEP_3)
	v_add_co_ci_u32_e64 v97, s8, v97, v128, s8
	v_cmp_gt_i32_e32 vcc_lo, 1, v164
	v_add_nc_u32_e32 v86, v86, v1
	s_or_b32 s20, vcc_lo, s20
	s_delay_alu instid0(SALU_CYCLE_1)
	s_and_not1_b32 exec_lo, exec_lo, s20
	s_cbranch_execz .LBB14_274
.LBB14_238:                             ;   Parent Loop BB14_66 Depth=1
                                        ;     Parent Loop BB14_195 Depth=2
                                        ; =>    This Loop Header: Depth=3
                                        ;         Child Loop BB14_242 Depth 4
	s_delay_alu instid0(VALU_DEP_1) | instskip(NEXT) | instid1(VALU_DEP_1)
	v_ashrrev_i32_e32 v87, 31, v86
	v_lshlrev_b64 v[19:20], 4, v[86:87]
	s_delay_alu instid0(VALU_DEP_1) | instskip(NEXT) | instid1(VALU_DEP_2)
	v_add_co_u32 v100, vcc_lo, v151, v19
	v_add_co_ci_u32_e32 v101, vcc_lo, v160, v20, vcc_lo
	;;#ASMSTART
	global_load_b128 v[21:24], v[100:101], off glc slc dlc
s_waitcnt vmcnt(0)

	;;#ASMEND
	v_lshrrev_b64 v[98:99], 24, v[21:22]
	v_cmp_eq_u32_e32 vcc_lo, 0, v145
	v_lshrrev_b32_e32 v87, 8, v21
	v_lshrrev_b32_e32 v99, 16, v21
	s_and_saveexec_b32 s21, vcc_lo
	s_cbranch_execz .LBB14_256
; %bb.239:                              ;   in Loop: Header=BB14_238 Depth=3
	v_cmp_ne_u32_e64 s8, v5, v22
	v_cmp_ne_u32_e64 s9, v5, v24
	v_mov_b32_e32 v145, 0
	s_delay_alu instid0(VALU_DEP_2) | instskip(NEXT) | instid1(SALU_CYCLE_1)
	s_or_b32 s8, s8, s9
	s_and_saveexec_b32 s9, s8
	s_cbranch_execz .LBB14_255
; %bb.240:                              ;   in Loop: Header=BB14_238 Depth=3
	v_cndmask_b32_e64 v17, 0, 1, vcc_lo
	s_mov_b32 s22, 0
                                        ; implicit-def: $sgpr23
                                        ; implicit-def: $sgpr24
	s_branch .LBB14_242
.LBB14_241:                             ;   in Loop: Header=BB14_242 Depth=4
	s_or_b32 exec_lo, exec_lo, s25
	s_delay_alu instid0(SALU_CYCLE_1) | instskip(NEXT) | instid1(SALU_CYCLE_1)
	s_and_b32 s8, exec_lo, s8
	s_or_b32 s22, s8, s22
	s_and_not1_b32 s8, s23, exec_lo
	s_and_b32 s23, s24, exec_lo
	s_delay_alu instid0(SALU_CYCLE_1)
	s_or_b32 s23, s8, s23
	s_and_not1_b32 exec_lo, exec_lo, s22
	s_cbranch_execz .LBB14_250
.LBB14_242:                             ;   Parent Loop BB14_66 Depth=1
                                        ;     Parent Loop BB14_195 Depth=2
                                        ;       Parent Loop BB14_238 Depth=3
                                        ; =>      This Inner Loop Header: Depth=4
	s_delay_alu instid0(VALU_DEP_1)
	v_add_nc_u32_e32 v17, 1, v17
	v_mov_b32_e32 v145, 0
	s_mov_b32 s8, -1
	s_mov_b32 s26, -1
	s_mov_b32 s25, exec_lo
	;;#ASMSTART
	global_load_b128 v[21:24], v[100:101], off glc slc dlc
s_waitcnt vmcnt(0)

	;;#ASMEND
	v_cmpx_eq_u32_e32 0x2710, v17
	s_cbranch_execz .LBB14_248
; %bb.243:                              ;   in Loop: Header=BB14_242 Depth=4
	s_cbranch_execnz .LBB14_386
; %bb.244:                              ;   in Loop: Header=BB14_242 Depth=4
	ds_load_b64 v[98:99], v0
	v_mov_b32_e32 v17, 0
	v_mov_b32_e32 v145, 0
	s_mov_b32 s27, -1
	s_mov_b32 s26, exec_lo
	s_waitcnt lgkmcnt(0)
	s_waitcnt_vscnt null, 0x0
	flat_load_b32 v87, v[98:99] glc
	s_waitcnt vmcnt(0) lgkmcnt(0)
	buffer_gl1_inv
	buffer_gl0_inv
	v_cmpx_ne_u32_e32 0, v87
	s_cbranch_execz .LBB14_247
; %bb.245:                              ;   in Loop: Header=BB14_242 Depth=4
	ds_store_b32 v0, v87
	s_cbranch_execnz .LBB14_392
; %bb.246:                              ;   in Loop: Header=BB14_242 Depth=4
	v_mov_b32_e32 v145, 1
	s_xor_b32 s27, exec_lo, -1
.LBB14_247:                             ;   in Loop: Header=BB14_242 Depth=4
	s_or_b32 exec_lo, exec_lo, s26
	s_delay_alu instid0(SALU_CYCLE_1)
	s_or_not1_b32 s26, s27, exec_lo
.LBB14_248:                             ;   in Loop: Header=BB14_242 Depth=4
	s_or_b32 exec_lo, exec_lo, s25
	s_delay_alu instid0(SALU_CYCLE_1)
	s_or_b32 s24, s24, exec_lo
	s_and_saveexec_b32 s25, s26
	s_cbranch_execz .LBB14_241
; %bb.249:                              ;   in Loop: Header=BB14_242 Depth=4
	v_cmp_eq_u32_e32 vcc_lo, v5, v22
	v_cmp_eq_u32_e64 s8, v5, v24
	s_and_not1_b32 s24, s24, exec_lo
	s_delay_alu instid0(VALU_DEP_1) | instskip(NEXT) | instid1(SALU_CYCLE_1)
	s_and_b32 s8, vcc_lo, s8
	s_or_not1_b32 s8, s8, exec_lo
	s_branch .LBB14_241
.LBB14_250:                             ;   in Loop: Header=BB14_238 Depth=3
	s_or_b32 exec_lo, exec_lo, s22
	s_xor_b32 s8, s23, -1
                                        ; implicit-def: $vgpr98
                                        ; implicit-def: $vgpr99
                                        ; implicit-def: $vgpr87
	s_delay_alu instid0(SALU_CYCLE_1) | instskip(NEXT) | instid1(SALU_CYCLE_1)
	s_and_saveexec_b32 s22, s8
	s_xor_b32 s8, exec_lo, s22
; %bb.251:                              ;   in Loop: Header=BB14_238 Depth=3
	v_lshrrev_b64 v[98:99], 24, v[21:22]
	v_lshrrev_b32_e32 v87, 8, v21
	v_lshrrev_b32_e32 v99, 16, v21
; %bb.252:                              ;   in Loop: Header=BB14_238 Depth=3
	s_and_not1_saveexec_b32 s8, s8
; %bb.253:                              ;   in Loop: Header=BB14_238 Depth=3
	v_lshrrev_b64 v[98:99], 24, v[21:22]
	v_lshrrev_b32_e32 v87, 8, v21
	v_lshrrev_b32_e32 v99, 16, v21
; %bb.254:                              ;   in Loop: Header=BB14_238 Depth=3
	s_or_b32 exec_lo, exec_lo, s8
.LBB14_255:                             ;   in Loop: Header=BB14_238 Depth=3
	s_delay_alu instid0(SALU_CYCLE_1)
	s_or_b32 exec_lo, exec_lo, s9
.LBB14_256:                             ;   in Loop: Header=BB14_238 Depth=3
	s_delay_alu instid0(SALU_CYCLE_1)
	s_or_b32 exec_lo, exec_lo, s21
	v_add_co_u32 v100, vcc_lo, v161, v19
	v_add_co_ci_u32_e32 v101, vcc_lo, v162, v20, vcc_lo
	v_cmp_lt_u32_e32 vcc_lo, 7, v164
	v_or_b32_e32 v17, v21, v163
	v_or_b32_e32 v19, v23, v163
	v_mov_b32_e32 v20, v18
	v_cndmask_b32_e64 v22, 0, 1, vcc_lo
	global_store_b128 v[100:101], v[17:20], off
	;;#ASMSTART
	;;#ASMEND
	v_cmp_ne_u32_e64 s8, 0, v22
	s_delay_alu instid0(VALU_DEP_1)
	s_cmp_lg_u32 s8, exec_lo
	s_mov_b32 s8, -1
	s_cbranch_scc0 .LBB14_272
; %bb.257:                              ;   in Loop: Header=BB14_238 Depth=3
	s_mov_b32 s9, exec_lo
	flat_store_b8 v[96:97], v21
	v_cmpx_ne_u32_e32 1, v164
	s_cbranch_execz .LBB14_259
; %bb.258:                              ;   in Loop: Header=BB14_238 Depth=3
	flat_store_b8 v[96:97], v87 offset:1
.LBB14_259:                             ;   in Loop: Header=BB14_238 Depth=3
	s_or_b32 exec_lo, exec_lo, s9
	s_delay_alu instid0(SALU_CYCLE_1)
	s_mov_b32 s9, exec_lo
	v_cmpx_lt_u32_e32 2, v164
	s_cbranch_execz .LBB14_261
; %bb.260:                              ;   in Loop: Header=BB14_238 Depth=3
	flat_store_b8 v[96:97], v99 offset:2
.LBB14_261:                             ;   in Loop: Header=BB14_238 Depth=3
	s_or_b32 exec_lo, exec_lo, s9
	s_delay_alu instid0(SALU_CYCLE_1)
	s_mov_b32 s9, exec_lo
	v_cmpx_lt_u32_e32 3, v164
	;; [unrolled: 8-line block ×4, first 2 shown]
	s_cbranch_execz .LBB14_267
; %bb.266:                              ;   in Loop: Header=BB14_238 Depth=3
	v_lshrrev_b32_e32 v17, 8, v23
	flat_store_b8 v[96:97], v17 offset:5
.LBB14_267:                             ;   in Loop: Header=BB14_238 Depth=3
	s_or_b32 exec_lo, exec_lo, s9
	s_delay_alu instid0(SALU_CYCLE_1)
	s_mov_b32 s9, exec_lo
	v_cmpx_lt_u32_e32 6, v164
	s_cbranch_execz .LBB14_269
; %bb.268:                              ;   in Loop: Header=BB14_238 Depth=3
	flat_store_d16_hi_b8 v[96:97], v23 offset:6
.LBB14_269:                             ;   in Loop: Header=BB14_238 Depth=3
	s_or_b32 exec_lo, exec_lo, s9
	s_and_saveexec_b32 s8, vcc_lo
	s_cbranch_execz .LBB14_271
; %bb.270:                              ;   in Loop: Header=BB14_238 Depth=3
	v_lshrrev_b32_e32 v17, 24, v23
	flat_store_b8 v[96:97], v17 offset:7
.LBB14_271:                             ;   in Loop: Header=BB14_238 Depth=3
	s_or_b32 exec_lo, exec_lo, s8
	s_mov_b32 s8, 0
.LBB14_272:                             ;   in Loop: Header=BB14_238 Depth=3
	s_delay_alu instid0(SALU_CYCLE_1)
	s_and_b32 vcc_lo, exec_lo, s8
	s_cbranch_vccz .LBB14_237
; %bb.273:                              ;   in Loop: Header=BB14_238 Depth=3
	v_or_b32_e32 v22, 0, v23
	global_store_b64 v[96:97], v[21:22], off
	s_branch .LBB14_237
.LBB14_274:                             ;   in Loop: Header=BB14_195 Depth=2
	s_or_b32 exec_lo, exec_lo, s20
.LBB14_275:                             ;   in Loop: Header=BB14_195 Depth=2
	s_delay_alu instid0(SALU_CYCLE_1)
	s_or_b32 exec_lo, exec_lo, s19
	s_and_saveexec_b32 s8, s3
	s_cbranch_execz .LBB14_297
; %bb.276:                              ;   in Loop: Header=BB14_195 Depth=2
	s_and_saveexec_b32 s9, s4
	s_delay_alu instid0(SALU_CYCLE_1)
	s_xor_b32 s9, exec_lo, s9
	s_cbranch_execz .LBB14_294
; %bb.277:                              ;   in Loop: Header=BB14_195 Depth=2
	s_and_saveexec_b32 s19, s5
	s_cbranch_execz .LBB14_293
; %bb.278:                              ;   in Loop: Header=BB14_195 Depth=2
	s_mov_b32 s21, exec_lo
	s_mov_b32 s20, exec_lo
	v_mbcnt_lo_u32_b32 v5, s21, 0
	s_waitcnt vmcnt(0) lgkmcnt(0)
	s_waitcnt_vscnt null, 0x0
	buffer_gl1_inv
	buffer_gl0_inv
	v_cmpx_eq_u32_e32 0, v5
	s_cbranch_execz .LBB14_280
; %bb.279:                              ;   in Loop: Header=BB14_195 Depth=2
	s_bcnt1_i32_b32 s21, s21
	s_delay_alu instid0(SALU_CYCLE_1)
	v_mov_b32_e32 v5, s21
	ds_add_u64 v0, v[5:6]
	s_cbranch_execnz .LBB14_435
.LBB14_280:                             ;   in Loop: Header=BB14_195 Depth=2
	s_or_b32 exec_lo, exec_lo, s20
	s_cbranch_execnz .LBB14_423
; %bb.281:                              ;   in Loop: Header=BB14_195 Depth=2
	ds_load_b64 v[17:18], v0
	v_add_co_u32 v2, vcc_lo, v2, v113
	v_add_co_ci_u32_e32 v3, vcc_lo, v3, v115, vcc_lo
	s_mov_b32 s20, exec_lo
	s_waitcnt lgkmcnt(0)
	s_delay_alu instid0(VALU_DEP_1)
	v_cmpx_lt_u64_e64 v[17:18], v[2:3]
	s_cbranch_execz .LBB14_292
; %bb.282:                              ;   in Loop: Header=BB14_195 Depth=2
	s_mov_b32 s21, 0
	s_mov_b32 s24, 0
                                        ; implicit-def: $sgpr22
                                        ; implicit-def: $sgpr23
	s_branch .LBB14_284
.LBB14_283:                             ;   in Loop: Header=BB14_284 Depth=3
	s_or_b32 exec_lo, exec_lo, s27
	s_delay_alu instid0(SALU_CYCLE_1) | instskip(NEXT) | instid1(SALU_CYCLE_1)
	s_and_b32 s25, exec_lo, s26
	s_or_b32 s21, s25, s21
	s_and_not1_b32 s22, s22, exec_lo
	s_and_b32 s25, s23, exec_lo
	s_delay_alu instid0(SALU_CYCLE_1)
	s_or_b32 s22, s22, s25
	s_and_not1_b32 exec_lo, exec_lo, s21
	s_cbranch_execz .LBB14_290
.LBB14_284:                             ;   Parent Loop BB14_66 Depth=1
                                        ;     Parent Loop BB14_195 Depth=2
                                        ; =>    This Inner Loop Header: Depth=3
	s_add_i32 s24, s24, 1
                                        ; implicit-def: $sgpr26
	s_delay_alu instid0(SALU_CYCLE_1) | instskip(SKIP_1) | instid1(SALU_CYCLE_1)
	s_cmpk_lg_i32 s24, 0x2710
	s_cselect_b32 s25, -1, 0
	s_and_b32 vcc_lo, exec_lo, s25
	s_cbranch_vccz .LBB14_288
.LBB14_285:                             ;   in Loop: Header=BB14_284 Depth=3
	s_and_not1_b32 s23, s23, exec_lo
	s_and_b32 s27, s26, exec_lo
	s_mov_b32 s26, -1
	s_or_b32 s23, s23, s27
	s_and_saveexec_b32 s27, s25
	s_cbranch_execz .LBB14_283
; %bb.286:                              ;   in Loop: Header=BB14_284 Depth=3
	s_sleep 1
	s_cbranch_execnz .LBB14_453
; %bb.287:                              ;   in Loop: Header=BB14_284 Depth=3
	ds_load_b64 v[17:18], v0
	s_and_not1_b32 s23, s23, exec_lo
	s_waitcnt lgkmcnt(0)
	v_cmp_ge_u64_e32 vcc_lo, v[17:18], v[2:3]
	s_or_not1_b32 s26, vcc_lo, exec_lo
	s_branch .LBB14_283
.LBB14_288:                             ;   in Loop: Header=BB14_284 Depth=3
	s_cbranch_execnz .LBB14_455
; %bb.289:                              ;   in Loop: Header=BB14_284 Depth=3
	ds_load_b64 v[17:18], v0
	s_and_not1_b32 s25, s25, exec_lo
	s_mov_b32 s24, 0
	s_mov_b32 s26, -1
	s_waitcnt lgkmcnt(0)
	flat_load_b32 v5, v[17:18] glc
	s_waitcnt vmcnt(0) lgkmcnt(0)
	buffer_gl1_inv
	buffer_gl0_inv
	v_cmp_eq_u32_e32 vcc_lo, 0, v5
	s_and_b32 s27, vcc_lo, exec_lo
	s_delay_alu instid0(SALU_CYCLE_1)
	s_or_b32 s25, s25, s27
	s_branch .LBB14_285
.LBB14_290:                             ;   in Loop: Header=BB14_195 Depth=2
	s_or_b32 exec_lo, exec_lo, s21
	s_and_saveexec_b32 s21, s22
	s_delay_alu instid0(SALU_CYCLE_1)
	s_xor_b32 s21, exec_lo, s21
	s_cbranch_execz .LBB14_292
; %bb.291:                              ;   in Loop: Header=BB14_195 Depth=2
	ds_store_b32 v0, v144
	s_cbranch_execnz .LBB14_477
.LBB14_292:                             ;   in Loop: Header=BB14_195 Depth=2
	s_or_b32 exec_lo, exec_lo, s20
	;;#ASMSTART
	s_wakeup
	;;#ASMEND
.LBB14_293:                             ;   in Loop: Header=BB14_195 Depth=2
	s_or_b32 exec_lo, exec_lo, s19
.LBB14_294:                             ;   in Loop: Header=BB14_195 Depth=2
	s_and_not1_saveexec_b32 s9, s9
	s_cbranch_execz .LBB14_296
; %bb.295:                              ;   in Loop: Header=BB14_195 Depth=2
	s_waitcnt vmcnt(0) lgkmcnt(0)
	s_waitcnt_vscnt null, 0x0
	buffer_gl1_inv
	buffer_gl0_inv
	s_barrier
.LBB14_296:                             ;   in Loop: Header=BB14_195 Depth=2
	s_or_b32 exec_lo, exec_lo, s9
.LBB14_297:                             ;   in Loop: Header=BB14_195 Depth=2
	s_delay_alu instid0(SALU_CYCLE_1)
	s_or_b32 exec_lo, exec_lo, s8
	s_and_saveexec_b32 s8, s6
	s_cbranch_execz .LBB14_299
; %bb.298:                              ;   in Loop: Header=BB14_195 Depth=2
	v_add_co_u32 v50, vcc_lo, v50, 1
	v_add_co_ci_u32_e32 v51, vcc_lo, 0, v51, vcc_lo
	s_waitcnt vmcnt(0) lgkmcnt(0)
	s_waitcnt_vscnt null, 0x0
	flat_store_b64 v[38:39], v[50:51]
.LBB14_299:                             ;   in Loop: Header=BB14_195 Depth=2
	s_or_b32 exec_lo, exec_lo, s8
	v_and_b32_e32 v5, 0x7ffffff8, v82
	v_cmp_gt_i32_e64 s8, s14, v86
	s_delay_alu instid0(VALU_DEP_2) | instskip(NEXT) | instid1(VALU_DEP_2)
	v_cmp_eq_u64_e32 vcc_lo, 0x7ffffff8, v[5:6]
	s_and_b32 s8, vcc_lo, s8
	s_delay_alu instid0(SALU_CYCLE_1)
	s_and_saveexec_b32 s9, s8
	s_cbranch_execz .LBB14_302
; %bb.300:                              ;   in Loop: Header=BB14_195 Depth=2
	v_and_b32_e32 v5, 7, v150
	v_ashrrev_i32_e32 v87, 31, v86
	s_mov_b32 s19, 0
	s_delay_alu instid0(VALU_DEP_2) | instskip(SKIP_1) | instid1(VALU_DEP_2)
	v_mul_lo_u32 v17, s14, v5
	s_waitcnt vmcnt(0) lgkmcnt(0)
	v_lshlrev_b64 v[19:20], 4, v[86:87]
	v_mov_b32_e32 v5, v82
	s_delay_alu instid0(VALU_DEP_3) | instskip(NEXT) | instid1(VALU_DEP_1)
	v_ashrrev_i32_e32 v18, 31, v17
	v_lshlrev_b64 v[17:18], 4, v[17:18]
	s_delay_alu instid0(VALU_DEP_1) | instskip(NEXT) | instid1(VALU_DEP_2)
	v_add_co_u32 v19, vcc_lo, v19, v17
	v_add_co_ci_u32_e32 v20, vcc_lo, v20, v18, vcc_lo
	v_add_co_u32 v17, vcc_lo, 0, 0
	v_add_co_ci_u32_e32 v18, vcc_lo, 1, v5, vcc_lo
	s_delay_alu instid0(VALU_DEP_4) | instskip(NEXT) | instid1(VALU_DEP_4)
	v_add_co_u32 v21, vcc_lo, v48, v19
	v_add_co_ci_u32_e32 v22, vcc_lo, v49, v20, vcc_lo
.LBB14_301:                             ;   Parent Loop BB14_66 Depth=1
                                        ;     Parent Loop BB14_195 Depth=2
                                        ; =>    This Inner Loop Header: Depth=3
	s_delay_alu instid0(VALU_DEP_4) | instskip(NEXT) | instid1(VALU_DEP_4)
	v_dual_mov_b32 v19, v17 :: v_dual_add_nc_u32 v86, v86, v1
	v_mov_b32_e32 v20, v18
	s_delay_alu instid0(VALU_DEP_2) | instskip(SKIP_2) | instid1(VALU_DEP_1)
	v_cmp_le_i32_e32 vcc_lo, s14, v86
	global_store_b128 v[21:22], v[17:20], off
	v_add_co_u32 v21, s8, v21, v70
	v_add_co_ci_u32_e64 v22, s8, v22, v71, s8
	s_or_b32 s19, vcc_lo, s19
	s_delay_alu instid0(SALU_CYCLE_1)
	s_and_not1_b32 exec_lo, exec_lo, s19
	s_cbranch_execnz .LBB14_301
.LBB14_302:                             ;   in Loop: Header=BB14_195 Depth=2
	s_or_b32 exec_lo, exec_lo, s9
	v_add_co_u32 v34, vcc_lo, v34, 1
	v_add_co_ci_u32_e32 v35, vcc_lo, 0, v35, vcc_lo
	v_add_co_u32 v82, vcc_lo, v82, 1
	v_add_co_ci_u32_e32 v83, vcc_lo, 0, v83, vcc_lo
	v_add_nc_u16 v150, v150, 1
	s_add_i32 s8, s18, 1
	s_cmp_eq_u32 s18, s17
	s_cbranch_scc1 .LBB14_304
; %bb.303:                              ;   in Loop: Header=BB14_195 Depth=2
	s_mov_b32 s18, s8
	s_branch .LBB14_195
.LBB14_304:                             ;   in Loop: Header=BB14_66 Depth=1
	v_mov_b32_e32 v5, v149
.LBB14_305:                             ;   in Loop: Header=BB14_66 Depth=1
	v_dual_mov_b32 v21, v82 :: v_dual_mov_b32 v22, v83
	s_mov_b32 s9, exec_lo
	s_delay_alu instid0(VALU_DEP_2)
	v_cmpx_lt_i32_e32 0, v5
	s_cbranch_execz .LBB14_345
; %bb.306:                              ;   in Loop: Header=BB14_66 Depth=1
	flat_load_b32 v82, v[25:26] offset:4
	s_waitcnt vmcnt(1) lgkmcnt(1)
	v_add_co_u32 v19, vcc_lo, v9, v146
	v_and_b32_e32 v17, 7, v34
	v_add_co_ci_u32_e32 v20, vcc_lo, v10, v147, vcc_lo
	v_add_nc_u32_e32 v87, 1, v34
	s_mov_b32 s18, 0
	s_waitcnt vmcnt(0) lgkmcnt(0)
	v_ashrrev_i32_e32 v83, 31, v82
	v_mul_lo_u32 v84, v102, v82
	v_mad_u64_u32 v[23:24], null, v0, v82, v[19:20]
	v_mov_b32_e32 v82, v4
	v_mul_lo_u32 v17, v17, s14
	v_mul_lo_u32 v19, v0, v83
	s_delay_alu instid0(VALU_DEP_2) | instskip(NEXT) | instid1(VALU_DEP_2)
	v_ashrrev_i32_e32 v18, 31, v17
	v_add3_u32 v19, v84, v24, v19
	s_delay_alu instid0(VALU_DEP_2) | instskip(NEXT) | instid1(VALU_DEP_1)
	v_lshlrev_b64 v[17:18], 4, v[17:18]
	v_add_co_u32 v96, vcc_lo, v32, v17
	s_delay_alu instid0(VALU_DEP_2)
	v_add_co_ci_u32_e32 v97, vcc_lo, v33, v18, vcc_lo
	v_add_co_u32 v23, vcc_lo, v23, v114
	v_add_co_ci_u32_e32 v24, vcc_lo, v19, v116, vcc_lo
	s_branch .LBB14_308
.LBB14_307:                             ;   in Loop: Header=BB14_308 Depth=2
	v_sub_nc_u32_e32 v5, v5, v117
	v_add_co_u32 v23, s7, v23, v117
	s_delay_alu instid0(VALU_DEP_1) | instskip(NEXT) | instid1(VALU_DEP_3)
	v_add_co_ci_u32_e64 v24, s7, v24, v128, s7
	v_cmp_gt_i32_e32 vcc_lo, 1, v5
	v_add_nc_u32_e32 v82, v82, v1
	s_or_b32 s18, vcc_lo, s18
	s_delay_alu instid0(SALU_CYCLE_1)
	s_and_not1_b32 exec_lo, exec_lo, s18
	s_cbranch_execz .LBB14_344
.LBB14_308:                             ;   Parent Loop BB14_66 Depth=1
                                        ; =>  This Loop Header: Depth=2
                                        ;       Child Loop BB14_312 Depth 3
	s_delay_alu instid0(VALU_DEP_1) | instskip(NEXT) | instid1(VALU_DEP_1)
	v_ashrrev_i32_e32 v83, 31, v82
	v_lshlrev_b64 v[17:18], 4, v[82:83]
	s_delay_alu instid0(VALU_DEP_1) | instskip(NEXT) | instid1(VALU_DEP_2)
	v_add_co_u32 v85, vcc_lo, v96, v17
	v_add_co_ci_u32_e32 v86, vcc_lo, v97, v18, vcc_lo
	;;#ASMSTART
	global_load_b128 v[17:20], v[85:86], off glc slc dlc
s_waitcnt vmcnt(0)

	;;#ASMEND
	v_lshrrev_b64 v[83:84], 24, v[17:18]
	v_cmp_eq_u32_e32 vcc_lo, 0, v145
	v_lshrrev_b32_e32 v98, 8, v17
	v_lshrrev_b32_e32 v84, 16, v17
	s_and_saveexec_b32 s19, vcc_lo
	s_cbranch_execz .LBB14_326
; %bb.309:                              ;   in Loop: Header=BB14_308 Depth=2
	v_cmp_ne_u32_e64 s7, v87, v18
	v_cmp_ne_u32_e64 s8, v87, v20
	v_mov_b32_e32 v145, 0
	s_delay_alu instid0(VALU_DEP_2) | instskip(NEXT) | instid1(SALU_CYCLE_1)
	s_or_b32 s7, s7, s8
	s_and_saveexec_b32 s8, s7
	s_cbranch_execz .LBB14_325
; %bb.310:                              ;   in Loop: Header=BB14_308 Depth=2
	v_cndmask_b32_e64 v83, 0, 1, vcc_lo
	s_mov_b32 s20, 0
                                        ; implicit-def: $sgpr21
                                        ; implicit-def: $sgpr22
	s_branch .LBB14_312
.LBB14_311:                             ;   in Loop: Header=BB14_312 Depth=3
	s_or_b32 exec_lo, exec_lo, s23
	s_delay_alu instid0(SALU_CYCLE_1) | instskip(NEXT) | instid1(SALU_CYCLE_1)
	s_and_b32 s7, exec_lo, s7
	s_or_b32 s20, s7, s20
	s_and_not1_b32 s7, s21, exec_lo
	s_and_b32 s21, s22, exec_lo
	s_delay_alu instid0(SALU_CYCLE_1)
	s_or_b32 s21, s7, s21
	s_and_not1_b32 exec_lo, exec_lo, s20
	s_cbranch_execz .LBB14_320
.LBB14_312:                             ;   Parent Loop BB14_66 Depth=1
                                        ;     Parent Loop BB14_308 Depth=2
                                        ; =>    This Inner Loop Header: Depth=3
	s_delay_alu instid0(VALU_DEP_1)
	v_add_nc_u32_e32 v83, 1, v83
	v_mov_b32_e32 v145, 0
	s_mov_b32 s7, -1
	s_mov_b32 s24, -1
	s_mov_b32 s23, exec_lo
	;;#ASMSTART
	global_load_b128 v[17:20], v[85:86], off glc slc dlc
s_waitcnt vmcnt(0)

	;;#ASMEND
	v_cmpx_eq_u32_e32 0x2710, v83
	s_cbranch_execz .LBB14_318
; %bb.313:                              ;   in Loop: Header=BB14_312 Depth=3
	s_cbranch_execnz .LBB14_388
; %bb.314:                              ;   in Loop: Header=BB14_312 Depth=3
	ds_load_b64 v[83:84], v0
	v_mov_b32_e32 v145, 0
	s_mov_b32 s25, -1
	s_mov_b32 s24, exec_lo
	s_waitcnt lgkmcnt(0)
	s_waitcnt_vscnt null, 0x0
	flat_load_b32 v84, v[83:84] glc
	s_waitcnt vmcnt(0) lgkmcnt(0)
	buffer_gl1_inv
	buffer_gl0_inv
	v_mov_b32_e32 v83, 0
	v_cmpx_ne_u32_e32 0, v84
	s_cbranch_execz .LBB14_317
; %bb.315:                              ;   in Loop: Header=BB14_312 Depth=3
	ds_store_b32 v0, v84
	s_cbranch_execnz .LBB14_400
; %bb.316:                              ;   in Loop: Header=BB14_312 Depth=3
	v_mov_b32_e32 v145, 1
	s_xor_b32 s25, exec_lo, -1
.LBB14_317:                             ;   in Loop: Header=BB14_312 Depth=3
	s_or_b32 exec_lo, exec_lo, s24
	s_delay_alu instid0(SALU_CYCLE_1)
	s_or_not1_b32 s24, s25, exec_lo
.LBB14_318:                             ;   in Loop: Header=BB14_312 Depth=3
	s_or_b32 exec_lo, exec_lo, s23
	s_delay_alu instid0(SALU_CYCLE_1)
	s_or_b32 s22, s22, exec_lo
	s_and_saveexec_b32 s23, s24
	s_cbranch_execz .LBB14_311
; %bb.319:                              ;   in Loop: Header=BB14_312 Depth=3
	v_cmp_eq_u32_e32 vcc_lo, v87, v18
	v_cmp_eq_u32_e64 s7, v87, v20
	s_and_not1_b32 s22, s22, exec_lo
	s_delay_alu instid0(VALU_DEP_1) | instskip(NEXT) | instid1(SALU_CYCLE_1)
	s_and_b32 s7, vcc_lo, s7
	s_or_not1_b32 s7, s7, exec_lo
	s_branch .LBB14_311
.LBB14_320:                             ;   in Loop: Header=BB14_308 Depth=2
	s_or_b32 exec_lo, exec_lo, s20
	s_xor_b32 s7, s21, -1
                                        ; implicit-def: $vgpr83
                                        ; implicit-def: $vgpr84
                                        ; implicit-def: $vgpr98
	s_delay_alu instid0(SALU_CYCLE_1) | instskip(NEXT) | instid1(SALU_CYCLE_1)
	s_and_saveexec_b32 s20, s7
	s_xor_b32 s7, exec_lo, s20
; %bb.321:                              ;   in Loop: Header=BB14_308 Depth=2
	v_lshrrev_b64 v[83:84], 24, v[17:18]
	v_lshrrev_b32_e32 v98, 8, v17
	v_lshrrev_b32_e32 v84, 16, v17
; %bb.322:                              ;   in Loop: Header=BB14_308 Depth=2
	s_and_not1_saveexec_b32 s7, s7
; %bb.323:                              ;   in Loop: Header=BB14_308 Depth=2
	v_lshrrev_b64 v[83:84], 24, v[17:18]
	v_lshrrev_b32_e32 v98, 8, v17
	v_lshrrev_b32_e32 v84, 16, v17
; %bb.324:                              ;   in Loop: Header=BB14_308 Depth=2
	s_or_b32 exec_lo, exec_lo, s7
.LBB14_325:                             ;   in Loop: Header=BB14_308 Depth=2
	s_delay_alu instid0(SALU_CYCLE_1)
	s_or_b32 exec_lo, exec_lo, s8
.LBB14_326:                             ;   in Loop: Header=BB14_308 Depth=2
	s_delay_alu instid0(SALU_CYCLE_1) | instskip(SKIP_3) | instid1(VALU_DEP_1)
	s_or_b32 exec_lo, exec_lo, s19
	v_cmp_lt_u32_e32 vcc_lo, 7, v5
	v_cndmask_b32_e64 v18, 0, 1, vcc_lo
	;;#ASMSTART
	;;#ASMEND
	v_cmp_ne_u32_e64 s7, 0, v18
	s_delay_alu instid0(VALU_DEP_1)
	s_cmp_lg_u32 s7, exec_lo
	s_mov_b32 s7, -1
	s_cbranch_scc0 .LBB14_342
; %bb.327:                              ;   in Loop: Header=BB14_308 Depth=2
	s_mov_b32 s8, exec_lo
	flat_store_b8 v[23:24], v17
	v_cmpx_ne_u32_e32 1, v5
	s_cbranch_execz .LBB14_329
; %bb.328:                              ;   in Loop: Header=BB14_308 Depth=2
	flat_store_b8 v[23:24], v98 offset:1
.LBB14_329:                             ;   in Loop: Header=BB14_308 Depth=2
	s_or_b32 exec_lo, exec_lo, s8
	s_delay_alu instid0(SALU_CYCLE_1)
	s_mov_b32 s8, exec_lo
	v_cmpx_lt_u32_e32 2, v5
	s_cbranch_execz .LBB14_331
; %bb.330:                              ;   in Loop: Header=BB14_308 Depth=2
	flat_store_b8 v[23:24], v84 offset:2
.LBB14_331:                             ;   in Loop: Header=BB14_308 Depth=2
	s_or_b32 exec_lo, exec_lo, s8
	s_delay_alu instid0(SALU_CYCLE_1)
	s_mov_b32 s8, exec_lo
	v_cmpx_lt_u32_e32 3, v5
	;; [unrolled: 8-line block ×4, first 2 shown]
	s_cbranch_execz .LBB14_337
; %bb.336:                              ;   in Loop: Header=BB14_308 Depth=2
	v_lshrrev_b32_e32 v18, 8, v19
	flat_store_b8 v[23:24], v18 offset:5
.LBB14_337:                             ;   in Loop: Header=BB14_308 Depth=2
	s_or_b32 exec_lo, exec_lo, s8
	s_delay_alu instid0(SALU_CYCLE_1)
	s_mov_b32 s8, exec_lo
	v_cmpx_lt_u32_e32 6, v5
	s_cbranch_execz .LBB14_339
; %bb.338:                              ;   in Loop: Header=BB14_308 Depth=2
	flat_store_d16_hi_b8 v[23:24], v19 offset:6
.LBB14_339:                             ;   in Loop: Header=BB14_308 Depth=2
	s_or_b32 exec_lo, exec_lo, s8
	s_and_saveexec_b32 s7, vcc_lo
	s_cbranch_execz .LBB14_341
; %bb.340:                              ;   in Loop: Header=BB14_308 Depth=2
	v_lshrrev_b32_e32 v18, 24, v19
	flat_store_b8 v[23:24], v18 offset:7
.LBB14_341:                             ;   in Loop: Header=BB14_308 Depth=2
	s_or_b32 exec_lo, exec_lo, s7
	s_mov_b32 s7, 0
.LBB14_342:                             ;   in Loop: Header=BB14_308 Depth=2
	s_delay_alu instid0(SALU_CYCLE_1)
	s_and_b32 vcc_lo, exec_lo, s7
	s_cbranch_vccz .LBB14_307
; %bb.343:                              ;   in Loop: Header=BB14_308 Depth=2
	v_mov_b32_e32 v18, v19
	global_store_b64 v[23:24], v[17:18], off
	s_branch .LBB14_307
.LBB14_344:                             ;   in Loop: Header=BB14_66 Depth=1
	s_or_b32 exec_lo, exec_lo, s18
.LBB14_345:                             ;   in Loop: Header=BB14_66 Depth=1
	s_delay_alu instid0(SALU_CYCLE_1)
	s_or_b32 exec_lo, exec_lo, s9
	s_and_saveexec_b32 s7, s3
	s_cbranch_execz .LBB14_367
; %bb.346:                              ;   in Loop: Header=BB14_66 Depth=1
	s_and_saveexec_b32 s8, s4
	s_delay_alu instid0(SALU_CYCLE_1)
	s_xor_b32 s8, exec_lo, s8
	s_cbranch_execz .LBB14_364
; %bb.347:                              ;   in Loop: Header=BB14_66 Depth=1
	s_and_saveexec_b32 s9, s5
	s_cbranch_execz .LBB14_363
; %bb.348:                              ;   in Loop: Header=BB14_66 Depth=1
	s_mov_b32 s19, exec_lo
	s_mov_b32 s18, exec_lo
	v_mbcnt_lo_u32_b32 v5, s19, 0
	s_waitcnt vmcnt(0) lgkmcnt(0)
	s_waitcnt_vscnt null, 0x0
	buffer_gl1_inv
	buffer_gl0_inv
	v_cmpx_eq_u32_e32 0, v5
	s_cbranch_execz .LBB14_350
; %bb.349:                              ;   in Loop: Header=BB14_66 Depth=1
	s_bcnt1_i32_b32 s19, s19
	s_delay_alu instid0(SALU_CYCLE_1)
	v_mov_b32_e32 v5, s19
	ds_add_u64 v0, v[5:6]
	s_cbranch_execnz .LBB14_441
.LBB14_350:                             ;   in Loop: Header=BB14_66 Depth=1
	s_or_b32 exec_lo, exec_lo, s18
	s_cbranch_execnz .LBB14_429
; %bb.351:                              ;   in Loop: Header=BB14_66 Depth=1
	ds_load_b64 v[17:18], v0
	v_add_co_u32 v2, vcc_lo, v2, v113
	v_add_co_ci_u32_e32 v3, vcc_lo, v3, v115, vcc_lo
	s_mov_b32 s18, exec_lo
	s_waitcnt lgkmcnt(0)
	s_delay_alu instid0(VALU_DEP_1)
	v_cmpx_lt_u64_e64 v[17:18], v[2:3]
	s_cbranch_execz .LBB14_362
; %bb.352:                              ;   in Loop: Header=BB14_66 Depth=1
	s_mov_b32 s19, 0
	s_mov_b32 s22, 0
                                        ; implicit-def: $sgpr20
                                        ; implicit-def: $sgpr21
	s_branch .LBB14_354
.LBB14_353:                             ;   in Loop: Header=BB14_354 Depth=2
	s_or_b32 exec_lo, exec_lo, s25
	s_delay_alu instid0(SALU_CYCLE_1) | instskip(NEXT) | instid1(SALU_CYCLE_1)
	s_and_b32 s23, exec_lo, s24
	s_or_b32 s19, s23, s19
	s_and_not1_b32 s20, s20, exec_lo
	s_and_b32 s23, s21, exec_lo
	s_delay_alu instid0(SALU_CYCLE_1)
	s_or_b32 s20, s20, s23
	s_and_not1_b32 exec_lo, exec_lo, s19
	s_cbranch_execz .LBB14_360
.LBB14_354:                             ;   Parent Loop BB14_66 Depth=1
                                        ; =>  This Inner Loop Header: Depth=2
	s_add_i32 s22, s22, 1
                                        ; implicit-def: $sgpr24
	s_delay_alu instid0(SALU_CYCLE_1) | instskip(SKIP_1) | instid1(SALU_CYCLE_1)
	s_cmpk_lg_i32 s22, 0x2710
	s_cselect_b32 s23, -1, 0
	s_and_b32 vcc_lo, exec_lo, s23
	s_cbranch_vccz .LBB14_358
.LBB14_355:                             ;   in Loop: Header=BB14_354 Depth=2
	s_and_not1_b32 s21, s21, exec_lo
	s_and_b32 s25, s24, exec_lo
	s_mov_b32 s24, -1
	s_or_b32 s21, s21, s25
	s_and_saveexec_b32 s25, s23
	s_cbranch_execz .LBB14_353
; %bb.356:                              ;   in Loop: Header=BB14_354 Depth=2
	s_sleep 1
	s_cbranch_execnz .LBB14_457
; %bb.357:                              ;   in Loop: Header=BB14_354 Depth=2
	ds_load_b64 v[17:18], v0
	s_and_not1_b32 s21, s21, exec_lo
	s_waitcnt lgkmcnt(0)
	v_cmp_ge_u64_e32 vcc_lo, v[17:18], v[2:3]
	s_or_not1_b32 s24, vcc_lo, exec_lo
	s_branch .LBB14_353
.LBB14_358:                             ;   in Loop: Header=BB14_354 Depth=2
	s_cbranch_execnz .LBB14_459
; %bb.359:                              ;   in Loop: Header=BB14_354 Depth=2
	ds_load_b64 v[17:18], v0
	s_and_not1_b32 s23, s23, exec_lo
	s_mov_b32 s22, 0
	s_mov_b32 s24, -1
	s_waitcnt lgkmcnt(0)
	flat_load_b32 v5, v[17:18] glc
	s_waitcnt vmcnt(0) lgkmcnt(0)
	buffer_gl1_inv
	buffer_gl0_inv
	v_cmp_eq_u32_e32 vcc_lo, 0, v5
	s_and_b32 s25, vcc_lo, exec_lo
	s_delay_alu instid0(SALU_CYCLE_1)
	s_or_b32 s23, s23, s25
	s_branch .LBB14_355
.LBB14_360:                             ;   in Loop: Header=BB14_66 Depth=1
	s_or_b32 exec_lo, exec_lo, s19
	s_and_saveexec_b32 s19, s20
	s_delay_alu instid0(SALU_CYCLE_1)
	s_xor_b32 s19, exec_lo, s19
	s_cbranch_execz .LBB14_362
; %bb.361:                              ;   in Loop: Header=BB14_66 Depth=1
	ds_store_b32 v0, v144
	s_cbranch_execnz .LBB14_479
.LBB14_362:                             ;   in Loop: Header=BB14_66 Depth=1
	s_or_b32 exec_lo, exec_lo, s18
	;;#ASMSTART
	s_wakeup
	;;#ASMEND
.LBB14_363:                             ;   in Loop: Header=BB14_66 Depth=1
	s_or_b32 exec_lo, exec_lo, s9
.LBB14_364:                             ;   in Loop: Header=BB14_66 Depth=1
	s_and_not1_saveexec_b32 s8, s8
	s_cbranch_execz .LBB14_366
; %bb.365:                              ;   in Loop: Header=BB14_66 Depth=1
	s_waitcnt vmcnt(0) lgkmcnt(0)
	s_waitcnt_vscnt null, 0x0
	buffer_gl1_inv
	buffer_gl0_inv
	s_barrier
.LBB14_366:                             ;   in Loop: Header=BB14_66 Depth=1
	s_or_b32 exec_lo, exec_lo, s8
.LBB14_367:                             ;   in Loop: Header=BB14_66 Depth=1
	s_delay_alu instid0(SALU_CYCLE_1)
	s_or_b32 exec_lo, exec_lo, s7
	s_and_saveexec_b32 s7, s6
	s_cbranch_execz .LBB14_369
; %bb.368:                              ;   in Loop: Header=BB14_66 Depth=1
	v_add_co_u32 v50, vcc_lo, v50, 1
	v_add_co_ci_u32_e32 v51, vcc_lo, 0, v51, vcc_lo
	s_waitcnt vmcnt(0) lgkmcnt(0)
	s_waitcnt_vscnt null, 0x0
	flat_store_b64 v[38:39], v[50:51]
.LBB14_369:                             ;   in Loop: Header=BB14_66 Depth=1
	s_or_b32 exec_lo, exec_lo, s7
	v_add_co_u32 v34, vcc_lo, v34, 1
	v_add_co_ci_u32_e32 v35, vcc_lo, 0, v35, vcc_lo
	v_add_co_u32 v68, vcc_lo, v68, v112
	v_add_co_ci_u32_e32 v69, vcc_lo, 0, v69, vcc_lo
	;; [unrolled: 2-line block ×3, first 2 shown]
	s_delay_alu instid0(VALU_DEP_3) | instskip(SKIP_4) | instid1(SALU_CYCLE_1)
	v_cmp_ge_u64_e32 vcc_lo, v[68:69], v[7:8]
	v_add_co_u32 v66, s7, v66, v112
	v_add_nc_u32_e32 v131, v131, v132
	v_add_co_ci_u32_e64 v67, s7, 0, v67, s7
	s_or_b32 s15, vcc_lo, s15
	s_and_not1_b32 exec_lo, exec_lo, s15
	s_cbranch_execnz .LBB14_66
; %bb.370:
	s_or_b32 exec_lo, exec_lo, s15
.LBB14_371:
	s_delay_alu instid0(SALU_CYCLE_1)
	s_or_b32 exec_lo, exec_lo, s13
; %bb.372:
	s_and_saveexec_b32 s1, s12
	s_cbranch_execz .LBB14_374
; %bb.373:
	s_waitcnt lgkmcnt(0)
	flat_store_b64 v[29:30], v[50:51] offset:104
.LBB14_374:
	s_or_b32 exec_lo, exec_lo, s1
	s_and_saveexec_b32 s1, s0
	s_cbranch_execz .LBB14_376
; %bb.375:
	s_waitcnt lgkmcnt(0)
	flat_store_b64 v[36:37], v[15:16] offset:104
.LBB14_376:
	s_or_b32 exec_lo, exec_lo, s1
	s_delay_alu instid0(SALU_CYCLE_1)
	s_mov_b32 s0, exec_lo
	v_cmpx_ne_u32_e32 32, v1
	s_cbranch_execz .LBB14_467
; %bb.377:
	s_mov_b32 s1, exec_lo
	v_cmpx_ne_u32_e64 v103, v1
	s_xor_b32 s1, exec_lo, s1
	s_cbranch_execz .LBB14_465
; %bb.378:
	v_and_b32_e32 v0, 31, v31
	s_mov_b32 s2, exec_lo
	s_delay_alu instid0(VALU_DEP_1)
	v_cmpx_eq_u32_e32 0, v0
	s_cbranch_execz .LBB14_464
; %bb.379:
	s_mov_b32 s4, exec_lo
	s_mov_b32 s3, exec_lo
	v_mbcnt_lo_u32_b32 v0, s4, 0
	s_waitcnt vmcnt(0) lgkmcnt(0)
	s_waitcnt_vscnt null, 0x0
	buffer_gl1_inv
	buffer_gl0_inv
	v_cmpx_eq_u32_e32 0, v0
	s_cbranch_execz .LBB14_381
; %bb.380:
	s_bcnt1_i32_b32 s4, s4
	s_delay_alu instid0(SALU_CYCLE_1)
	v_dual_mov_b32 v5, 0 :: v_dual_mov_b32 v4, s4
	ds_add_u64 v0, v[4:5]
	s_cbranch_execnz .LBB14_411
.LBB14_381:
	s_or_b32 exec_lo, exec_lo, s3
	s_cbranch_execnz .LBB14_398
; %bb.382:
	v_ashrrev_i32_e32 v0, 31, v1
	s_mov_b32 s3, exec_lo
	s_delay_alu instid0(VALU_DEP_1) | instskip(NEXT) | instid1(VALU_DEP_1)
	v_lshrrev_b32_e32 v0, 27, v0
	v_add_nc_u32_e32 v0, v1, v0
	ds_load_b64 v[4:5], v0
	v_ashrrev_i32_e32 v0, 5, v0
	s_delay_alu instid0(VALU_DEP_1) | instskip(SKIP_1) | instid1(VALU_DEP_2)
	v_ashrrev_i32_e32 v1, 31, v0
	v_add_co_u32 v0, vcc_lo, v2, v0
	v_add_co_ci_u32_e32 v1, vcc_lo, v3, v1, vcc_lo
	s_waitcnt lgkmcnt(0)
	s_delay_alu instid0(VALU_DEP_1)
	v_cmpx_lt_u64_e64 v[4:5], v[0:1]
	s_cbranch_execz .LBB14_463
; %bb.383:
	s_mov_b32 s4, 0
	s_mov_b32 s7, 0
                                        ; implicit-def: $sgpr5
                                        ; implicit-def: $sgpr6
	s_branch .LBB14_403
.LBB14_384:
	s_trap 2
	s_sendmsg_rtn_b32 s0, sendmsg(MSG_RTN_GET_DOORBELL)
	s_mov_b32 ttmp2, m0
	s_waitcnt lgkmcnt(0)
	s_and_b32 s0, s0, 0x3ff
	s_delay_alu instid0(SALU_CYCLE_1) | instskip(NEXT) | instid1(SALU_CYCLE_1)
	s_bitset1_b32 s0, 10
	s_mov_b32 m0, s0
	s_sendmsg sendmsg(MSG_INTERRUPT)
	s_mov_b32 m0, ttmp2
.LBB14_385:                             ; =>This Inner Loop Header: Depth=1
	s_sethalt 5
	s_branch .LBB14_385
.LBB14_386:
	s_trap 2
	s_sendmsg_rtn_b32 s0, sendmsg(MSG_RTN_GET_DOORBELL)
	s_mov_b32 ttmp2, m0
	s_waitcnt lgkmcnt(0)
	s_and_b32 s0, s0, 0x3ff
	s_delay_alu instid0(SALU_CYCLE_1) | instskip(NEXT) | instid1(SALU_CYCLE_1)
	s_bitset1_b32 s0, 10
	s_mov_b32 m0, s0
	s_sendmsg sendmsg(MSG_INTERRUPT)
	s_mov_b32 m0, ttmp2
.LBB14_387:                             ; =>This Inner Loop Header: Depth=1
	s_sethalt 5
	s_branch .LBB14_387
.LBB14_388:
	s_trap 2
	s_sendmsg_rtn_b32 s0, sendmsg(MSG_RTN_GET_DOORBELL)
	s_mov_b32 ttmp2, m0
	s_waitcnt lgkmcnt(0)
	s_and_b32 s0, s0, 0x3ff
	s_delay_alu instid0(SALU_CYCLE_1) | instskip(NEXT) | instid1(SALU_CYCLE_1)
	s_bitset1_b32 s0, 10
	s_mov_b32 m0, s0
	s_sendmsg sendmsg(MSG_INTERRUPT)
	s_mov_b32 m0, ttmp2
.LBB14_389:                             ; =>This Inner Loop Header: Depth=1
	s_sethalt 5
	s_branch .LBB14_389
.LBB14_390:
	s_trap 2
	s_sendmsg_rtn_b32 s0, sendmsg(MSG_RTN_GET_DOORBELL)
	s_mov_b32 ttmp2, m0
	s_waitcnt lgkmcnt(0)
	s_and_b32 s0, s0, 0x3ff
	s_delay_alu instid0(SALU_CYCLE_1) | instskip(NEXT) | instid1(SALU_CYCLE_1)
	s_bitset1_b32 s0, 10
	s_mov_b32 m0, s0
	s_sendmsg sendmsg(MSG_INTERRUPT)
	s_mov_b32 m0, ttmp2
.LBB14_391:                             ; =>This Inner Loop Header: Depth=1
	s_sethalt 5
	s_branch .LBB14_391
.LBB14_392:
	s_trap 2
	s_sendmsg_rtn_b32 s0, sendmsg(MSG_RTN_GET_DOORBELL)
	s_mov_b32 ttmp2, m0
	s_waitcnt lgkmcnt(0)
	s_and_b32 s0, s0, 0x3ff
	s_delay_alu instid0(SALU_CYCLE_1) | instskip(NEXT) | instid1(SALU_CYCLE_1)
	s_bitset1_b32 s0, 10
	s_mov_b32 m0, s0
	s_sendmsg sendmsg(MSG_INTERRUPT)
	s_mov_b32 m0, ttmp2
.LBB14_393:                             ; =>This Inner Loop Header: Depth=1
	s_sethalt 5
	s_branch .LBB14_393
.LBB14_394:
	s_trap 2
	s_sendmsg_rtn_b32 s0, sendmsg(MSG_RTN_GET_DOORBELL)
	s_mov_b32 ttmp2, m0
	s_waitcnt lgkmcnt(0)
	s_and_b32 s0, s0, 0x3ff
	s_delay_alu instid0(SALU_CYCLE_1) | instskip(NEXT) | instid1(SALU_CYCLE_1)
	s_bitset1_b32 s0, 10
	s_mov_b32 m0, s0
	s_sendmsg sendmsg(MSG_INTERRUPT)
	s_mov_b32 m0, ttmp2
.LBB14_395:                             ; =>This Inner Loop Header: Depth=1
	s_sethalt 5
	s_branch .LBB14_395
.LBB14_396:
	s_trap 2
	s_sendmsg_rtn_b32 s0, sendmsg(MSG_RTN_GET_DOORBELL)
	s_mov_b32 ttmp2, m0
	s_waitcnt lgkmcnt(0)
	s_and_b32 s0, s0, 0x3ff
	s_delay_alu instid0(SALU_CYCLE_1) | instskip(NEXT) | instid1(SALU_CYCLE_1)
	s_bitset1_b32 s0, 10
	s_mov_b32 m0, s0
	s_sendmsg sendmsg(MSG_INTERRUPT)
	s_mov_b32 m0, ttmp2
.LBB14_397:                             ; =>This Inner Loop Header: Depth=1
	s_sethalt 5
	s_branch .LBB14_397
.LBB14_398:
	s_trap 2
	s_sendmsg_rtn_b32 s0, sendmsg(MSG_RTN_GET_DOORBELL)
	s_mov_b32 ttmp2, m0
	s_waitcnt lgkmcnt(0)
	s_and_b32 s0, s0, 0x3ff
	s_delay_alu instid0(SALU_CYCLE_1) | instskip(NEXT) | instid1(SALU_CYCLE_1)
	s_bitset1_b32 s0, 10
	s_mov_b32 m0, s0
	s_sendmsg sendmsg(MSG_INTERRUPT)
	s_mov_b32 m0, ttmp2
.LBB14_399:                             ; =>This Inner Loop Header: Depth=1
	s_sethalt 5
	s_branch .LBB14_399
.LBB14_400:
	s_trap 2
	s_sendmsg_rtn_b32 s0, sendmsg(MSG_RTN_GET_DOORBELL)
	s_mov_b32 ttmp2, m0
	s_waitcnt lgkmcnt(0)
	s_and_b32 s0, s0, 0x3ff
	s_delay_alu instid0(SALU_CYCLE_1) | instskip(NEXT) | instid1(SALU_CYCLE_1)
	s_bitset1_b32 s0, 10
	s_mov_b32 m0, s0
	s_sendmsg sendmsg(MSG_INTERRUPT)
	s_mov_b32 m0, ttmp2
.LBB14_401:                             ; =>This Inner Loop Header: Depth=1
	s_sethalt 5
	s_branch .LBB14_401
.LBB14_402:                             ;   in Loop: Header=BB14_403 Depth=1
	s_or_b32 exec_lo, exec_lo, s10
	s_delay_alu instid0(SALU_CYCLE_1) | instskip(NEXT) | instid1(SALU_CYCLE_1)
	s_and_b32 s8, exec_lo, s9
	s_or_b32 s4, s8, s4
	s_and_not1_b32 s5, s5, exec_lo
	s_and_b32 s8, s6, exec_lo
	s_delay_alu instid0(SALU_CYCLE_1)
	s_or_b32 s5, s5, s8
	s_and_not1_b32 exec_lo, exec_lo, s4
	s_cbranch_execz .LBB14_461
.LBB14_403:                             ; =>This Inner Loop Header: Depth=1
	s_add_i32 s7, s7, 1
                                        ; implicit-def: $sgpr9
	s_delay_alu instid0(SALU_CYCLE_1) | instskip(SKIP_1) | instid1(SALU_CYCLE_1)
	s_cmpk_lg_i32 s7, 0x2710
	s_cselect_b32 s8, -1, 0
	s_and_b32 vcc_lo, exec_lo, s8
	s_cbranch_vccz .LBB14_407
.LBB14_404:                             ;   in Loop: Header=BB14_403 Depth=1
	s_and_not1_b32 s6, s6, exec_lo
	s_and_b32 s10, s9, exec_lo
	s_mov_b32 s9, -1
	s_or_b32 s6, s6, s10
	s_and_saveexec_b32 s10, s8
	s_cbranch_execz .LBB14_402
; %bb.405:                              ;   in Loop: Header=BB14_403 Depth=1
	s_sleep 1
	s_cbranch_execnz .LBB14_431
; %bb.406:                              ;   in Loop: Header=BB14_403 Depth=1
	ds_load_b64 v[2:3], v0
	s_and_not1_b32 s6, s6, exec_lo
	s_waitcnt lgkmcnt(0)
	v_cmp_ge_u64_e32 vcc_lo, v[2:3], v[0:1]
	s_or_not1_b32 s9, vcc_lo, exec_lo
	s_branch .LBB14_402
.LBB14_407:                             ;   in Loop: Header=BB14_403 Depth=1
	s_cbranch_execnz .LBB14_437
; %bb.408:                              ;   in Loop: Header=BB14_403 Depth=1
	ds_load_b64 v[2:3], v0
	s_and_not1_b32 s8, s8, exec_lo
	s_mov_b32 s7, 0
	s_mov_b32 s9, -1
	s_waitcnt lgkmcnt(0)
	flat_load_b32 v2, v[2:3] glc
	s_waitcnt vmcnt(0) lgkmcnt(0)
	buffer_gl1_inv
	buffer_gl0_inv
	v_cmp_eq_u32_e32 vcc_lo, 0, v2
	s_and_b32 s10, vcc_lo, exec_lo
	s_delay_alu instid0(SALU_CYCLE_1)
	s_or_b32 s8, s8, s10
	s_branch .LBB14_404
.LBB14_409:
	s_trap 2
	s_sendmsg_rtn_b32 s0, sendmsg(MSG_RTN_GET_DOORBELL)
	s_mov_b32 ttmp2, m0
	s_waitcnt lgkmcnt(0)
	s_and_b32 s0, s0, 0x3ff
	s_delay_alu instid0(SALU_CYCLE_1) | instskip(NEXT) | instid1(SALU_CYCLE_1)
	s_bitset1_b32 s0, 10
	s_mov_b32 m0, s0
	s_sendmsg sendmsg(MSG_INTERRUPT)
	s_mov_b32 m0, ttmp2
.LBB14_410:                             ; =>This Inner Loop Header: Depth=1
	s_sethalt 5
	s_branch .LBB14_410
.LBB14_411:
	s_trap 2
	s_sendmsg_rtn_b32 s0, sendmsg(MSG_RTN_GET_DOORBELL)
	s_mov_b32 ttmp2, m0
	s_waitcnt lgkmcnt(0)
	s_and_b32 s0, s0, 0x3ff
	s_delay_alu instid0(SALU_CYCLE_1) | instskip(NEXT) | instid1(SALU_CYCLE_1)
	s_bitset1_b32 s0, 10
	s_mov_b32 m0, s0
	s_sendmsg sendmsg(MSG_INTERRUPT)
	s_mov_b32 m0, ttmp2
.LBB14_412:                             ; =>This Inner Loop Header: Depth=1
	s_sethalt 5
	s_branch .LBB14_412
.LBB14_413:
	s_trap 2
	s_sendmsg_rtn_b32 s0, sendmsg(MSG_RTN_GET_DOORBELL)
	s_mov_b32 ttmp2, m0
	s_waitcnt lgkmcnt(0)
	s_and_b32 s0, s0, 0x3ff
	s_delay_alu instid0(SALU_CYCLE_1) | instskip(NEXT) | instid1(SALU_CYCLE_1)
	s_bitset1_b32 s0, 10
	s_mov_b32 m0, s0
	s_sendmsg sendmsg(MSG_INTERRUPT)
	s_mov_b32 m0, ttmp2
.LBB14_414:                             ; =>This Inner Loop Header: Depth=1
	s_sethalt 5
	s_branch .LBB14_414
.LBB14_415:
	s_trap 2
	s_sendmsg_rtn_b32 s0, sendmsg(MSG_RTN_GET_DOORBELL)
	s_mov_b32 ttmp2, m0
	s_waitcnt lgkmcnt(0)
	s_and_b32 s0, s0, 0x3ff
	s_delay_alu instid0(SALU_CYCLE_1) | instskip(NEXT) | instid1(SALU_CYCLE_1)
	s_bitset1_b32 s0, 10
	s_mov_b32 m0, s0
	s_sendmsg sendmsg(MSG_INTERRUPT)
	s_mov_b32 m0, ttmp2
.LBB14_416:                             ; =>This Inner Loop Header: Depth=1
	s_sethalt 5
	s_branch .LBB14_416
.LBB14_417:
	s_trap 2
	s_sendmsg_rtn_b32 s0, sendmsg(MSG_RTN_GET_DOORBELL)
	s_mov_b32 ttmp2, m0
	s_waitcnt lgkmcnt(0)
	s_and_b32 s0, s0, 0x3ff
	s_delay_alu instid0(SALU_CYCLE_1) | instskip(NEXT) | instid1(SALU_CYCLE_1)
	s_bitset1_b32 s0, 10
	s_mov_b32 m0, s0
	s_sendmsg sendmsg(MSG_INTERRUPT)
	s_mov_b32 m0, ttmp2
.LBB14_418:                             ; =>This Inner Loop Header: Depth=1
	s_sethalt 5
	s_branch .LBB14_418
.LBB14_419:
	s_trap 2
	s_sendmsg_rtn_b32 s0, sendmsg(MSG_RTN_GET_DOORBELL)
	s_mov_b32 ttmp2, m0
	s_waitcnt lgkmcnt(0)
	s_and_b32 s0, s0, 0x3ff
	s_delay_alu instid0(SALU_CYCLE_1) | instskip(NEXT) | instid1(SALU_CYCLE_1)
	s_bitset1_b32 s0, 10
	s_mov_b32 m0, s0
	s_sendmsg sendmsg(MSG_INTERRUPT)
	s_mov_b32 m0, ttmp2
.LBB14_420:                             ; =>This Inner Loop Header: Depth=1
	s_sethalt 5
	s_branch .LBB14_420
.LBB14_421:
	s_trap 2
	s_sendmsg_rtn_b32 s0, sendmsg(MSG_RTN_GET_DOORBELL)
	s_mov_b32 ttmp2, m0
	s_waitcnt lgkmcnt(0)
	s_and_b32 s0, s0, 0x3ff
	s_delay_alu instid0(SALU_CYCLE_1) | instskip(NEXT) | instid1(SALU_CYCLE_1)
	s_bitset1_b32 s0, 10
	s_mov_b32 m0, s0
	s_sendmsg sendmsg(MSG_INTERRUPT)
	s_mov_b32 m0, ttmp2
.LBB14_422:                             ; =>This Inner Loop Header: Depth=1
	s_sethalt 5
	s_branch .LBB14_422
.LBB14_423:
	s_trap 2
	s_sendmsg_rtn_b32 s0, sendmsg(MSG_RTN_GET_DOORBELL)
	s_mov_b32 ttmp2, m0
	s_waitcnt lgkmcnt(0)
	s_and_b32 s0, s0, 0x3ff
	s_delay_alu instid0(SALU_CYCLE_1) | instskip(NEXT) | instid1(SALU_CYCLE_1)
	s_bitset1_b32 s0, 10
	s_mov_b32 m0, s0
	s_sendmsg sendmsg(MSG_INTERRUPT)
	s_mov_b32 m0, ttmp2
.LBB14_424:                             ; =>This Inner Loop Header: Depth=1
	s_sethalt 5
	s_branch .LBB14_424
.LBB14_425:
	s_trap 2
	s_sendmsg_rtn_b32 s0, sendmsg(MSG_RTN_GET_DOORBELL)
	s_mov_b32 ttmp2, m0
	s_waitcnt lgkmcnt(0)
	s_and_b32 s0, s0, 0x3ff
	s_delay_alu instid0(SALU_CYCLE_1) | instskip(NEXT) | instid1(SALU_CYCLE_1)
	s_bitset1_b32 s0, 10
	s_mov_b32 m0, s0
	s_sendmsg sendmsg(MSG_INTERRUPT)
	s_mov_b32 m0, ttmp2
.LBB14_426:                             ; =>This Inner Loop Header: Depth=1
	s_sethalt 5
	s_branch .LBB14_426
.LBB14_427:
	s_trap 2
	s_sendmsg_rtn_b32 s0, sendmsg(MSG_RTN_GET_DOORBELL)
	s_mov_b32 ttmp2, m0
	s_waitcnt lgkmcnt(0)
	s_and_b32 s0, s0, 0x3ff
	s_delay_alu instid0(SALU_CYCLE_1) | instskip(NEXT) | instid1(SALU_CYCLE_1)
	s_bitset1_b32 s0, 10
	s_mov_b32 m0, s0
	s_sendmsg sendmsg(MSG_INTERRUPT)
	s_mov_b32 m0, ttmp2
.LBB14_428:                             ; =>This Inner Loop Header: Depth=1
	s_sethalt 5
	s_branch .LBB14_428
.LBB14_429:
	s_trap 2
	s_sendmsg_rtn_b32 s0, sendmsg(MSG_RTN_GET_DOORBELL)
	s_mov_b32 ttmp2, m0
	s_waitcnt lgkmcnt(0)
	s_and_b32 s0, s0, 0x3ff
	s_delay_alu instid0(SALU_CYCLE_1) | instskip(NEXT) | instid1(SALU_CYCLE_1)
	s_bitset1_b32 s0, 10
	s_mov_b32 m0, s0
	s_sendmsg sendmsg(MSG_INTERRUPT)
	s_mov_b32 m0, ttmp2
.LBB14_430:                             ; =>This Inner Loop Header: Depth=1
	s_sethalt 5
	s_branch .LBB14_430
.LBB14_431:
	s_trap 2
	s_sendmsg_rtn_b32 s0, sendmsg(MSG_RTN_GET_DOORBELL)
	s_mov_b32 ttmp2, m0
	s_waitcnt lgkmcnt(0)
	s_and_b32 s0, s0, 0x3ff
	s_delay_alu instid0(SALU_CYCLE_1) | instskip(NEXT) | instid1(SALU_CYCLE_1)
	s_bitset1_b32 s0, 10
	s_mov_b32 m0, s0
	s_sendmsg sendmsg(MSG_INTERRUPT)
	s_mov_b32 m0, ttmp2
.LBB14_432:                             ; =>This Inner Loop Header: Depth=1
	s_sethalt 5
	s_branch .LBB14_432
.LBB14_433:
	s_trap 2
	s_sendmsg_rtn_b32 s0, sendmsg(MSG_RTN_GET_DOORBELL)
	s_mov_b32 ttmp2, m0
	s_waitcnt lgkmcnt(0)
	s_and_b32 s0, s0, 0x3ff
	s_delay_alu instid0(SALU_CYCLE_1) | instskip(NEXT) | instid1(SALU_CYCLE_1)
	s_bitset1_b32 s0, 10
	s_mov_b32 m0, s0
	s_sendmsg sendmsg(MSG_INTERRUPT)
	s_mov_b32 m0, ttmp2
.LBB14_434:                             ; =>This Inner Loop Header: Depth=1
	s_sethalt 5
	s_branch .LBB14_434
.LBB14_435:
	s_trap 2
	s_sendmsg_rtn_b32 s0, sendmsg(MSG_RTN_GET_DOORBELL)
	s_mov_b32 ttmp2, m0
	s_waitcnt lgkmcnt(0)
	s_and_b32 s0, s0, 0x3ff
	s_delay_alu instid0(SALU_CYCLE_1) | instskip(NEXT) | instid1(SALU_CYCLE_1)
	s_bitset1_b32 s0, 10
	s_mov_b32 m0, s0
	s_sendmsg sendmsg(MSG_INTERRUPT)
	s_mov_b32 m0, ttmp2
.LBB14_436:                             ; =>This Inner Loop Header: Depth=1
	s_sethalt 5
	s_branch .LBB14_436
.LBB14_437:
	s_trap 2
	s_sendmsg_rtn_b32 s0, sendmsg(MSG_RTN_GET_DOORBELL)
	s_mov_b32 ttmp2, m0
	s_waitcnt lgkmcnt(0)
	s_and_b32 s0, s0, 0x3ff
	s_delay_alu instid0(SALU_CYCLE_1) | instskip(NEXT) | instid1(SALU_CYCLE_1)
	s_bitset1_b32 s0, 10
	s_mov_b32 m0, s0
	s_sendmsg sendmsg(MSG_INTERRUPT)
	s_mov_b32 m0, ttmp2
.LBB14_438:                             ; =>This Inner Loop Header: Depth=1
	s_sethalt 5
	s_branch .LBB14_438
.LBB14_439:
	s_trap 2
	s_sendmsg_rtn_b32 s0, sendmsg(MSG_RTN_GET_DOORBELL)
	s_mov_b32 ttmp2, m0
	s_waitcnt lgkmcnt(0)
	s_and_b32 s0, s0, 0x3ff
	s_delay_alu instid0(SALU_CYCLE_1) | instskip(NEXT) | instid1(SALU_CYCLE_1)
	s_bitset1_b32 s0, 10
	s_mov_b32 m0, s0
	s_sendmsg sendmsg(MSG_INTERRUPT)
	s_mov_b32 m0, ttmp2
.LBB14_440:                             ; =>This Inner Loop Header: Depth=1
	s_sethalt 5
	s_branch .LBB14_440
.LBB14_441:
	s_trap 2
	s_sendmsg_rtn_b32 s0, sendmsg(MSG_RTN_GET_DOORBELL)
	s_mov_b32 ttmp2, m0
	s_waitcnt lgkmcnt(0)
	s_and_b32 s0, s0, 0x3ff
	s_delay_alu instid0(SALU_CYCLE_1) | instskip(NEXT) | instid1(SALU_CYCLE_1)
	s_bitset1_b32 s0, 10
	s_mov_b32 m0, s0
	s_sendmsg sendmsg(MSG_INTERRUPT)
	s_mov_b32 m0, ttmp2
.LBB14_442:                             ; =>This Inner Loop Header: Depth=1
	s_sethalt 5
	s_branch .LBB14_442
.LBB14_443:
	s_trap 2
	s_sendmsg_rtn_b32 s0, sendmsg(MSG_RTN_GET_DOORBELL)
	s_mov_b32 ttmp2, m0
	s_waitcnt lgkmcnt(0)
	s_and_b32 s0, s0, 0x3ff
	s_delay_alu instid0(SALU_CYCLE_1) | instskip(NEXT) | instid1(SALU_CYCLE_1)
	s_bitset1_b32 s0, 10
	s_mov_b32 m0, s0
	s_sendmsg sendmsg(MSG_INTERRUPT)
	s_mov_b32 m0, ttmp2
.LBB14_444:                             ; =>This Inner Loop Header: Depth=1
	s_sethalt 5
	s_branch .LBB14_444
.LBB14_445:
	s_trap 2
	s_sendmsg_rtn_b32 s0, sendmsg(MSG_RTN_GET_DOORBELL)
	s_mov_b32 ttmp2, m0
	s_waitcnt lgkmcnt(0)
	s_and_b32 s0, s0, 0x3ff
	s_delay_alu instid0(SALU_CYCLE_1) | instskip(NEXT) | instid1(SALU_CYCLE_1)
	s_bitset1_b32 s0, 10
	s_mov_b32 m0, s0
	s_sendmsg sendmsg(MSG_INTERRUPT)
	s_mov_b32 m0, ttmp2
.LBB14_446:                             ; =>This Inner Loop Header: Depth=1
	s_sethalt 5
	s_branch .LBB14_446
.LBB14_447:
	s_trap 2
	s_sendmsg_rtn_b32 s0, sendmsg(MSG_RTN_GET_DOORBELL)
	s_mov_b32 ttmp2, m0
	s_waitcnt lgkmcnt(0)
	s_and_b32 s0, s0, 0x3ff
	s_delay_alu instid0(SALU_CYCLE_1) | instskip(NEXT) | instid1(SALU_CYCLE_1)
	s_bitset1_b32 s0, 10
	s_mov_b32 m0, s0
	s_sendmsg sendmsg(MSG_INTERRUPT)
	s_mov_b32 m0, ttmp2
.LBB14_448:                             ; =>This Inner Loop Header: Depth=1
	s_sethalt 5
	s_branch .LBB14_448
.LBB14_449:
	s_trap 2
	s_sendmsg_rtn_b32 s0, sendmsg(MSG_RTN_GET_DOORBELL)
	s_mov_b32 ttmp2, m0
	s_waitcnt lgkmcnt(0)
	s_and_b32 s0, s0, 0x3ff
	s_delay_alu instid0(SALU_CYCLE_1) | instskip(NEXT) | instid1(SALU_CYCLE_1)
	s_bitset1_b32 s0, 10
	s_mov_b32 m0, s0
	s_sendmsg sendmsg(MSG_INTERRUPT)
	s_mov_b32 m0, ttmp2
.LBB14_450:                             ; =>This Inner Loop Header: Depth=1
	s_sethalt 5
	s_branch .LBB14_450
.LBB14_451:
	s_trap 2
	s_sendmsg_rtn_b32 s0, sendmsg(MSG_RTN_GET_DOORBELL)
	s_mov_b32 ttmp2, m0
	s_waitcnt lgkmcnt(0)
	s_and_b32 s0, s0, 0x3ff
	s_delay_alu instid0(SALU_CYCLE_1) | instskip(NEXT) | instid1(SALU_CYCLE_1)
	s_bitset1_b32 s0, 10
	s_mov_b32 m0, s0
	s_sendmsg sendmsg(MSG_INTERRUPT)
	s_mov_b32 m0, ttmp2
.LBB14_452:                             ; =>This Inner Loop Header: Depth=1
	s_sethalt 5
	s_branch .LBB14_452
.LBB14_453:
	s_trap 2
	s_sendmsg_rtn_b32 s0, sendmsg(MSG_RTN_GET_DOORBELL)
	s_mov_b32 ttmp2, m0
	s_waitcnt lgkmcnt(0)
	s_and_b32 s0, s0, 0x3ff
	s_delay_alu instid0(SALU_CYCLE_1) | instskip(NEXT) | instid1(SALU_CYCLE_1)
	s_bitset1_b32 s0, 10
	s_mov_b32 m0, s0
	s_sendmsg sendmsg(MSG_INTERRUPT)
	s_mov_b32 m0, ttmp2
.LBB14_454:                             ; =>This Inner Loop Header: Depth=1
	s_sethalt 5
	s_branch .LBB14_454
.LBB14_455:
	s_trap 2
	s_sendmsg_rtn_b32 s0, sendmsg(MSG_RTN_GET_DOORBELL)
	s_mov_b32 ttmp2, m0
	s_waitcnt lgkmcnt(0)
	s_and_b32 s0, s0, 0x3ff
	s_delay_alu instid0(SALU_CYCLE_1) | instskip(NEXT) | instid1(SALU_CYCLE_1)
	s_bitset1_b32 s0, 10
	s_mov_b32 m0, s0
	s_sendmsg sendmsg(MSG_INTERRUPT)
	s_mov_b32 m0, ttmp2
.LBB14_456:                             ; =>This Inner Loop Header: Depth=1
	s_sethalt 5
	s_branch .LBB14_456
.LBB14_457:
	s_trap 2
	s_sendmsg_rtn_b32 s0, sendmsg(MSG_RTN_GET_DOORBELL)
	s_mov_b32 ttmp2, m0
	s_waitcnt lgkmcnt(0)
	s_and_b32 s0, s0, 0x3ff
	s_delay_alu instid0(SALU_CYCLE_1) | instskip(NEXT) | instid1(SALU_CYCLE_1)
	s_bitset1_b32 s0, 10
	s_mov_b32 m0, s0
	s_sendmsg sendmsg(MSG_INTERRUPT)
	s_mov_b32 m0, ttmp2
.LBB14_458:                             ; =>This Inner Loop Header: Depth=1
	s_sethalt 5
	s_branch .LBB14_458
.LBB14_459:
	s_trap 2
	s_sendmsg_rtn_b32 s0, sendmsg(MSG_RTN_GET_DOORBELL)
	s_mov_b32 ttmp2, m0
	s_waitcnt lgkmcnt(0)
	s_and_b32 s0, s0, 0x3ff
	s_delay_alu instid0(SALU_CYCLE_1) | instskip(NEXT) | instid1(SALU_CYCLE_1)
	s_bitset1_b32 s0, 10
	s_mov_b32 m0, s0
	s_sendmsg sendmsg(MSG_INTERRUPT)
	s_mov_b32 m0, ttmp2
.LBB14_460:                             ; =>This Inner Loop Header: Depth=1
	s_sethalt 5
	s_branch .LBB14_460
.LBB14_461:
	s_or_b32 exec_lo, exec_lo, s4
	s_and_saveexec_b32 s4, s5
	s_delay_alu instid0(SALU_CYCLE_1)
	s_xor_b32 s4, exec_lo, s4
	s_cbranch_execz .LBB14_463
; %bb.462:
	v_mov_b32_e32 v0, 1
	ds_store_b32 v0, v0
	s_cbranch_execnz .LBB14_469
.LBB14_463:
	s_or_b32 exec_lo, exec_lo, s3
	;;#ASMSTART
	s_wakeup
	;;#ASMEND
.LBB14_464:
	s_or_b32 exec_lo, exec_lo, s2
.LBB14_465:
	s_and_not1_saveexec_b32 s1, s1
	s_cbranch_execz .LBB14_467
; %bb.466:
	s_waitcnt vmcnt(0) lgkmcnt(0)
	s_waitcnt_vscnt null, 0x0
	buffer_gl1_inv
	buffer_gl0_inv
	s_barrier
.LBB14_467:
	s_or_b32 exec_lo, exec_lo, s0
.LBB14_468:
	s_delay_alu instid0(SALU_CYCLE_1)
	s_or_b32 exec_lo, exec_lo, s11
	s_waitcnt vmcnt(0) lgkmcnt(0)
	s_setpc_b64 s[30:31]
.LBB14_469:
	s_trap 2
	s_sendmsg_rtn_b32 s0, sendmsg(MSG_RTN_GET_DOORBELL)
	s_mov_b32 ttmp2, m0
	s_waitcnt lgkmcnt(0)
	s_and_b32 s0, s0, 0x3ff
	s_delay_alu instid0(SALU_CYCLE_1) | instskip(NEXT) | instid1(SALU_CYCLE_1)
	s_bitset1_b32 s0, 10
	s_mov_b32 m0, s0
	s_sendmsg sendmsg(MSG_INTERRUPT)
	s_mov_b32 m0, ttmp2
.LBB14_470:                             ; =>This Inner Loop Header: Depth=1
	s_sethalt 5
	s_branch .LBB14_470
.LBB14_471:
	s_trap 2
	s_sendmsg_rtn_b32 s0, sendmsg(MSG_RTN_GET_DOORBELL)
	s_mov_b32 ttmp2, m0
	s_waitcnt lgkmcnt(0)
	s_and_b32 s0, s0, 0x3ff
	s_delay_alu instid0(SALU_CYCLE_1) | instskip(NEXT) | instid1(SALU_CYCLE_1)
	s_bitset1_b32 s0, 10
	s_mov_b32 m0, s0
	s_sendmsg sendmsg(MSG_INTERRUPT)
	s_mov_b32 m0, ttmp2
.LBB14_472:                             ; =>This Inner Loop Header: Depth=1
	s_sethalt 5
	s_branch .LBB14_472
.LBB14_473:
	s_trap 2
	s_sendmsg_rtn_b32 s0, sendmsg(MSG_RTN_GET_DOORBELL)
	s_mov_b32 ttmp2, m0
	s_waitcnt lgkmcnt(0)
	s_and_b32 s0, s0, 0x3ff
	s_delay_alu instid0(SALU_CYCLE_1) | instskip(NEXT) | instid1(SALU_CYCLE_1)
	s_bitset1_b32 s0, 10
	s_mov_b32 m0, s0
	s_sendmsg sendmsg(MSG_INTERRUPT)
	s_mov_b32 m0, ttmp2
.LBB14_474:                             ; =>This Inner Loop Header: Depth=1
	s_sethalt 5
	s_branch .LBB14_474
.LBB14_475:
	s_trap 2
	s_sendmsg_rtn_b32 s0, sendmsg(MSG_RTN_GET_DOORBELL)
	s_mov_b32 ttmp2, m0
	s_waitcnt lgkmcnt(0)
	s_and_b32 s0, s0, 0x3ff
	s_delay_alu instid0(SALU_CYCLE_1) | instskip(NEXT) | instid1(SALU_CYCLE_1)
	s_bitset1_b32 s0, 10
	s_mov_b32 m0, s0
	s_sendmsg sendmsg(MSG_INTERRUPT)
	s_mov_b32 m0, ttmp2
.LBB14_476:                             ; =>This Inner Loop Header: Depth=1
	s_sethalt 5
	s_branch .LBB14_476
.LBB14_477:
	s_trap 2
	s_sendmsg_rtn_b32 s0, sendmsg(MSG_RTN_GET_DOORBELL)
	s_mov_b32 ttmp2, m0
	s_waitcnt lgkmcnt(0)
	s_and_b32 s0, s0, 0x3ff
	s_delay_alu instid0(SALU_CYCLE_1) | instskip(NEXT) | instid1(SALU_CYCLE_1)
	s_bitset1_b32 s0, 10
	s_mov_b32 m0, s0
	s_sendmsg sendmsg(MSG_INTERRUPT)
	s_mov_b32 m0, ttmp2
.LBB14_478:                             ; =>This Inner Loop Header: Depth=1
	s_sethalt 5
	s_branch .LBB14_478
.LBB14_479:
	s_trap 2
	s_sendmsg_rtn_b32 s0, sendmsg(MSG_RTN_GET_DOORBELL)
	s_mov_b32 ttmp2, m0
	s_waitcnt lgkmcnt(0)
	s_and_b32 s0, s0, 0x3ff
	s_delay_alu instid0(SALU_CYCLE_1) | instskip(NEXT) | instid1(SALU_CYCLE_1)
	s_bitset1_b32 s0, 10
	s_mov_b32 m0, s0
	s_sendmsg sendmsg(MSG_INTERRUPT)
	s_mov_b32 m0, ttmp2
.LBB14_480:                             ; =>This Inner Loop Header: Depth=1
	s_sethalt 5
	s_branch .LBB14_480
.Lfunc_end14:
	.size	_ZN12_GLOBAL__N_17runRingIa7FuncSumIaE7ProtoLLLi0ELi4ELi0ELb0EEEviiP15ncclDevWorkColl, .Lfunc_end14-_ZN12_GLOBAL__N_17runRingIa7FuncSumIaE7ProtoLLLi0ELi4ELi0ELb0EEEviiP15ncclDevWorkColl
                                        ; -- End function
	.section	.AMDGPU.csdata,"",@progbits
; Function info:
; codeLenInByte = 14328
; NumSgprs: 34
; NumVgprs: 165
; ScratchSize: 0
; MemoryBound: 0
	.text
	.p2align	2                               ; -- Begin function _Z42ncclDevFunc_AllGather_RING_LL_Sum_i8_0_0_4v
	.type	_Z42ncclDevFunc_AllGather_RING_LL_Sum_i8_0_0_4v,@function
_Z42ncclDevFunc_AllGather_RING_LL_Sum_i8_0_0_4v: ; @_Z42ncclDevFunc_AllGather_RING_LL_Sum_i8_0_0_4v
; %bb.0:
	s_waitcnt vmcnt(0) expcnt(0) lgkmcnt(0)
	s_mov_b32 s0, s33
	s_mov_b32 s33, s32
	s_or_saveexec_b32 s1, -1
	scratch_store_b32 off, v40, s33         ; 4-byte Folded Spill
	s_mov_b32 exec_lo, s1
	v_writelane_b32 v40, s0, 6
	s_add_i32 s32, s32, 16
	v_writelane_b32 v40, s34, 0
	v_writelane_b32 v40, s35, 1
	;; [unrolled: 1-line block ×6, first 2 shown]
	s_cbranch_execnz .LBB15_13
; %bb.1:
	ds_load_b32 v0, v0
	s_waitcnt lgkmcnt(0)
	v_cmp_gt_i32_e32 vcc_lo, 1, v0
	s_cbranch_vccnz .LBB15_12
; %bb.2:
	v_and_b32_e32 v165, 0x3ff, v31
	s_mov_b32 s36, 0
	s_mov_b64 s[34:35], src_shared_base
.LBB15_3:                               ; =>This Inner Loop Header: Depth=1
	s_cbranch_execnz .LBB15_15
; %bb.4:                                ;   in Loop: Header=BB15_3 Depth=1
	ds_load_b32 v0, v0
	s_cmp_eq_u32 s36, 0
	s_cbranch_scc1 .LBB15_8
; %bb.5:                                ;   in Loop: Header=BB15_3 Depth=1
	s_cbranch_execnz .LBB15_19
; %bb.6:                                ;   in Loop: Header=BB15_3 Depth=1
	s_waitcnt lgkmcnt(0)
	ds_load_b32 v1, v0
	s_waitcnt lgkmcnt(0)
	v_xor_b32_e32 v1, v1, v0
	s_delay_alu instid0(VALU_DEP_1) | instskip(NEXT) | instid1(VALU_DEP_1)
	v_and_b32_e32 v1, 0xff0000, v1
	v_cmp_eq_u32_e32 vcc_lo, 0, v1
	s_cbranch_vccnz .LBB15_8
; %bb.7:                                ;   in Loop: Header=BB15_3 Depth=1
	s_waitcnt_vscnt null, 0x0
	s_barrier
	buffer_gl0_inv
	ds_load_b32 v0, v0
.LBB15_8:                               ;   in Loop: Header=BB15_3 Depth=1
	s_waitcnt lgkmcnt(0)
	v_lshrrev_b32_e32 v0, 11, v0
	s_mov_b32 s37, exec_lo
	s_delay_alu instid0(VALU_DEP_1) | instskip(NEXT) | instid1(VALU_DEP_1)
	v_and_b32_e32 v1, 0x1fe0, v0
	v_cmpx_lt_u32_e64 v165, v1
	s_cbranch_execz .LBB15_10
; %bb.9:                                ;   in Loop: Header=BB15_3 Depth=1
	v_dual_mov_b32 v166, v31 :: v_dual_mov_b32 v3, s35
	v_mov_b32_e32 v0, v165
	s_getpc_b64 s[0:1]
	s_add_u32 s0, s0, _ZN12_GLOBAL__N_17runRingIa7FuncSumIaE7ProtoLLLi0ELi4ELi0ELb0EEEviiP15ncclDevWorkColl@rel32@lo+4
	s_addc_u32 s1, s1, _ZN12_GLOBAL__N_17runRingIa7FuncSumIaE7ProtoLLLi0ELi4ELi0ELb0EEEviiP15ncclDevWorkColl@rel32@hi+12
	s_mov_b64 s[28:29], s[8:9]
	s_mov_b32 s34, s12
	s_swappc_b64 s[30:31], s[0:1]
	v_mov_b32_e32 v31, v166
	s_mov_b32 s12, s34
	s_mov_b64 s[8:9], s[28:29]
.LBB15_10:                              ;   in Loop: Header=BB15_3 Depth=1
	s_or_b32 exec_lo, exec_lo, s37
	s_cbranch_execnz .LBB15_17
; %bb.11:                               ;   in Loop: Header=BB15_3 Depth=1
	ds_load_b32 v0, v0
	s_add_i32 s36, s36, 1
	s_waitcnt lgkmcnt(0)
	v_cmp_lt_i32_e32 vcc_lo, s36, v0
	s_cbranch_vccnz .LBB15_3
.LBB15_12:
	v_readlane_b32 s30, v40, 4
	v_readlane_b32 s31, v40, 5
	;; [unrolled: 1-line block ×7, first 2 shown]
	s_or_saveexec_b32 s1, -1
	scratch_load_b32 v40, off, s33          ; 4-byte Folded Reload
	s_mov_b32 exec_lo, s1
	s_add_i32 s32, s32, -16
	s_mov_b32 s33, s0
	s_waitcnt vmcnt(0)
	s_setpc_b64 s[30:31]
.LBB15_13:
	s_trap 2
	s_sendmsg_rtn_b32 s0, sendmsg(MSG_RTN_GET_DOORBELL)
	s_mov_b32 ttmp2, m0
	s_waitcnt lgkmcnt(0)
	s_and_b32 s0, s0, 0x3ff
	s_delay_alu instid0(SALU_CYCLE_1) | instskip(NEXT) | instid1(SALU_CYCLE_1)
	s_bitset1_b32 s0, 10
	s_mov_b32 m0, s0
	s_sendmsg sendmsg(MSG_INTERRUPT)
	s_mov_b32 m0, ttmp2
.LBB15_14:                              ; =>This Inner Loop Header: Depth=1
	s_sethalt 5
	s_branch .LBB15_14
.LBB15_15:
	s_trap 2
	s_sendmsg_rtn_b32 s0, sendmsg(MSG_RTN_GET_DOORBELL)
	s_mov_b32 ttmp2, m0
	s_waitcnt lgkmcnt(0)
	s_and_b32 s0, s0, 0x3ff
	s_delay_alu instid0(SALU_CYCLE_1) | instskip(NEXT) | instid1(SALU_CYCLE_1)
	s_bitset1_b32 s0, 10
	s_mov_b32 m0, s0
	s_sendmsg sendmsg(MSG_INTERRUPT)
	s_mov_b32 m0, ttmp2
.LBB15_16:                              ; =>This Inner Loop Header: Depth=1
	s_sethalt 5
	s_branch .LBB15_16
.LBB15_17:
	s_trap 2
	s_sendmsg_rtn_b32 s0, sendmsg(MSG_RTN_GET_DOORBELL)
	s_mov_b32 ttmp2, m0
	s_waitcnt lgkmcnt(0)
	s_and_b32 s0, s0, 0x3ff
	s_delay_alu instid0(SALU_CYCLE_1) | instskip(NEXT) | instid1(SALU_CYCLE_1)
	s_bitset1_b32 s0, 10
	s_mov_b32 m0, s0
	s_sendmsg sendmsg(MSG_INTERRUPT)
	s_mov_b32 m0, ttmp2
.LBB15_18:                              ; =>This Inner Loop Header: Depth=1
	s_sethalt 5
	s_branch .LBB15_18
.LBB15_19:
	s_trap 2
	s_sendmsg_rtn_b32 s0, sendmsg(MSG_RTN_GET_DOORBELL)
	s_mov_b32 ttmp2, m0
	s_waitcnt lgkmcnt(0)
	s_and_b32 s0, s0, 0x3ff
	s_delay_alu instid0(SALU_CYCLE_1) | instskip(NEXT) | instid1(SALU_CYCLE_1)
	s_bitset1_b32 s0, 10
	s_mov_b32 m0, s0
	s_sendmsg sendmsg(MSG_INTERRUPT)
	s_mov_b32 m0, ttmp2
.LBB15_20:                              ; =>This Inner Loop Header: Depth=1
	s_sethalt 5
	s_branch .LBB15_20
.Lfunc_end15:
	.size	_Z42ncclDevFunc_AllGather_RING_LL_Sum_i8_0_0_4v, .Lfunc_end15-_Z42ncclDevFunc_AllGather_RING_LL_Sum_i8_0_0_4v
                                        ; -- End function
	.section	.AMDGPU.csdata,"",@progbits
; Function info:
; codeLenInByte = 636
; NumSgprs: 40
; NumVgprs: 167
; ScratchSize: 16
; MemoryBound: 0
	.text
	.p2align	2                               ; -- Begin function _ZN12_GLOBAL__N_17runRingIa7FuncSumIaE11ProtoSimpleILi2ELi2ELi0ELi4ELi0ELi0EELi0ELi4ELi0ELb0EEEviiP15ncclDevWorkColl
	.type	_ZN12_GLOBAL__N_17runRingIa7FuncSumIaE11ProtoSimpleILi2ELi2ELi0ELi4ELi0ELi0EELi0ELi4ELi0ELb0EEEviiP15ncclDevWorkColl,@function
_ZN12_GLOBAL__N_17runRingIa7FuncSumIaE11ProtoSimpleILi2ELi2ELi0ELi4ELi0ELi0EELi0ELi4ELi0ELb0EEEviiP15ncclDevWorkColl: ; @_ZN12_GLOBAL__N_17runRingIa7FuncSumIaE11ProtoSimpleILi2ELi2ELi0ELi4ELi0ELi0EELi0ELi4ELi0ELb0EEEviiP15ncclDevWorkColl
; %bb.0:
	s_waitcnt vmcnt(0) expcnt(0) lgkmcnt(0)
	s_mov_b32 s0, s33
	s_mov_b32 s33, s32
	s_or_saveexec_b32 s1, -1
	s_clause 0x1
	scratch_store_b32 off, v57, s33 offset:36
	; meta instruction
	scratch_store_b32 off, v58, s33 offset:40
	s_mov_b32 exec_lo, s1
	v_writelane_b32 v57, s0, 7
	s_add_i32 s32, s32, 48
	s_clause 0x8
	scratch_store_b32 off, v40, s33 offset:32
	; meta instruction
	scratch_store_b32 off, v41, s33 offset:28
	; meta instruction
	;; [unrolled: 2-line block ×8, first 2 shown]
	scratch_store_b32 off, v56, s33
	v_writelane_b32 v57, s34, 0
	v_writelane_b32 v57, s35, 1
	;; [unrolled: 1-line block ×7, first 2 shown]
	s_cbranch_execnz .LBB16_15
; %bb.1:
	s_clause 0x2
	flat_load_b32 v8, v[2:3]
	flat_load_b128 v[4:7], v[2:3] offset:72
	flat_load_b64 v[12:13], v[2:3] offset:88
	ds_load_b32 v9, v0
	ds_load_b64 v[18:19], v0
	s_mov_b32 s0, exec_lo
                                        ; implicit-def: $vgpr36_vgpr37
	s_waitcnt lgkmcnt(1)
	v_readfirstlane_b32 s18, v9
	s_waitcnt vmcnt(2)
	v_and_b32_e32 v11, 0xff, v8
	v_bfe_u32 v10, v8, 8, 8
	s_delay_alu instid0(VALU_DEP_2) | instskip(NEXT) | instid1(VALU_DEP_1)
	v_not_b32_e32 v8, v11
	v_add_nc_u32_e32 v16, v10, v8
	s_delay_alu instid0(VALU_DEP_1) | instskip(SKIP_3) | instid1(VALU_DEP_3)
	v_ashrrev_i32_e32 v17, 31, v16
	s_waitcnt vmcnt(1)
	v_mul_lo_u32 v20, v7, v16
	v_mad_u64_u32 v[14:15], null, v6, v16, 0
	v_mul_lo_u32 v16, v6, v17
	s_delay_alu instid0(VALU_DEP_1)
	v_add3_u32 v15, v15, v16, v20
                                        ; implicit-def: $vgpr16_vgpr17
	v_cmpx_ne_u32_e64 v11, v9
	s_xor_b32 s0, exec_lo, s0
	s_cbranch_execz .LBB16_7
; %bb.2:
	s_mov_b32 s1, exec_lo
                                        ; implicit-def: $vgpr36_vgpr37
                                        ; implicit-def: $vgpr16_vgpr17
	v_cmpx_ne_u32_e64 v10, v9
	s_xor_b32 s1, exec_lo, s1
	s_cbranch_execz .LBB16_4
; %bb.3:
	flat_load_b64 v[10:11], v[2:3] offset:96
	v_add_nc_u32_e32 v8, v9, v8
	s_delay_alu instid0(VALU_DEP_1) | instskip(SKIP_2) | instid1(VALU_DEP_3)
	v_ashrrev_i32_e32 v9, 31, v8
	v_mul_lo_u32 v20, v7, v8
	v_mad_u64_u32 v[16:17], null, v6, v8, v[4:5]
	v_mul_lo_u32 v9, v6, v9
	s_delay_alu instid0(VALU_DEP_1)
	v_add3_u32 v17, v20, v17, v9
	s_waitcnt vmcnt(0) lgkmcnt(0)
	v_lshrrev_b64 v[36:37], 21, v[10:11]
.LBB16_4:
	s_and_not1_saveexec_b32 s1, s1
	s_cbranch_execz .LBB16_6
; %bb.5:
	flat_load_b32 v6, v[2:3] offset:100
	v_add_co_u32 v16, vcc_lo, v14, v4
	v_add_co_ci_u32_e32 v17, vcc_lo, v15, v5, vcc_lo
	s_waitcnt vmcnt(0) lgkmcnt(0)
	v_lshrrev_b32_e32 v36, 10, v6
	v_dual_mov_b32 v6, v12 :: v_dual_mov_b32 v7, v13
.LBB16_6:
	s_or_b32 exec_lo, exec_lo, s1
.LBB16_7:
	s_and_not1_saveexec_b32 s0, s0
	s_cbranch_execz .LBB16_9
; %bb.8:
	flat_load_b64 v[36:37], v[2:3] offset:96
	v_dual_mov_b32 v16, 0 :: v_dual_mov_b32 v7, v5
	v_dual_mov_b32 v17, 0 :: v_dual_mov_b32 v6, v4
.LBB16_9:
	s_or_b32 exec_lo, exec_lo, s0
	flat_load_b128 v[8:11], v[2:3] offset:16
	s_waitcnt vmcnt(1)
	v_add_co_u32 v4, vcc_lo, v12, v4
	v_add_co_ci_u32_e32 v5, vcc_lo, v13, v5, vcc_lo
	s_mov_b32 s0, exec_lo
	s_delay_alu instid0(VALU_DEP_2) | instskip(NEXT) | instid1(VALU_DEP_2)
	v_add_co_u32 v66, vcc_lo, v4, v14
	v_add_co_ci_u32_e32 v67, vcc_lo, v5, v15, vcc_lo
	v_cmpx_ge_i32_e64 v0, v1
	s_xor_b32 s1, exec_lo, s0
	s_cbranch_execz .LBB16_44
; %bb.10:
	s_waitcnt lgkmcnt(1)
	flat_load_b32 v4, v[18:19]
	s_mov_b32 s2, exec_lo
	s_waitcnt vmcnt(0) lgkmcnt(0)
	v_ashrrev_i32_e32 v2, 31, v4
	v_mul_lo_u32 v5, v67, v4
	s_delay_alu instid0(VALU_DEP_2) | instskip(SKIP_1) | instid1(VALU_DEP_1)
	v_mul_lo_u32 v12, v66, v2
	v_mad_u64_u32 v[2:3], null, v66, v4, 0
	v_add3_u32 v3, v3, v12, v5
	s_delay_alu instid0(VALU_DEP_2) | instskip(NEXT) | instid1(VALU_DEP_2)
	v_add_co_u32 v4, vcc_lo, v8, v2
	v_add_co_ci_u32_e32 v5, vcc_lo, v9, v3, vcc_lo
	s_delay_alu instid0(VALU_DEP_1)
	v_cmpx_ne_u64_e64 v[10:11], v[4:5]
	s_cbranch_execz .LBB16_43
; %bb.11:
	v_sub_nc_u32_e32 v1, v0, v1
	v_add_co_u32 v15, vcc_lo, v10, v16
	v_add_co_ci_u32_e32 v18, vcc_lo, v11, v17, vcc_lo
	s_delay_alu instid0(VALU_DEP_3) | instskip(SKIP_2) | instid1(VALU_DEP_3)
	v_ashrrev_i32_e32 v0, 31, v1
	v_add_co_u32 v5, vcc_lo, v8, v16
	v_add_co_ci_u32_e32 v8, vcc_lo, v9, v17, vcc_lo
	v_lshrrev_b32_e32 v0, 27, v0
	s_delay_alu instid0(VALU_DEP_3) | instskip(NEXT) | instid1(VALU_DEP_3)
	v_add_co_u32 v16, vcc_lo, v5, v2
	v_add_co_ci_u32_e32 v17, vcc_lo, v8, v3, vcc_lo
	s_delay_alu instid0(VALU_DEP_3) | instskip(SKIP_1) | instid1(VALU_DEP_1)
	v_add_nc_u32_e32 v0, v1, v0
	s_mov_b32 s0, exec_lo
	v_and_b32_e32 v4, 0xffffffe0, v0
	s_delay_alu instid0(VALU_DEP_1) | instskip(SKIP_1) | instid1(VALU_DEP_2)
	v_sub_nc_u32_e32 v19, v1, v4
	v_mov_b32_e32 v1, 0
	v_cmpx_gt_i32_e32 1, v19
; %bb.12:
	v_or_b32_e32 v1, v15, v16
	s_delay_alu instid0(VALU_DEP_1) | instskip(NEXT) | instid1(VALU_DEP_1)
	v_and_b32_e32 v1, 15, v1
	v_cmp_ne_u32_e32 vcc_lo, 0, v1
	v_cndmask_b32_e64 v1, 0, 1, vcc_lo
; %bb.13:
	s_or_b32 exec_lo, exec_lo, s0
	;;#ASMSTART
	;;#ASMEND
	s_delay_alu instid0(VALU_DEP_1)
	v_cmp_ne_u32_e32 vcc_lo, 0, v1
	v_ashrrev_i32_e32 v20, 5, v0
	s_mov_b32 s3, 0
	s_cbranch_vccz .LBB16_17
; %bb.14:
	s_delay_alu instid0(VALU_DEP_1)
	v_dual_mov_b32 v4, 0 :: v_dual_mov_b32 v21, v20
	v_dual_mov_b32 v5, 0 :: v_dual_mov_b32 v14, v19
	s_mov_b32 s5, -1
	s_mov_b32 s0, 0
                                        ; implicit-def: $vgpr2_vgpr3
                                        ; implicit-def: $vgpr0_vgpr1
	s_and_saveexec_b32 s4, s5
	s_cbranch_execnz .LBB16_28
	s_branch .LBB16_37
.LBB16_15:
	s_trap 2
	s_sendmsg_rtn_b32 s0, sendmsg(MSG_RTN_GET_DOORBELL)
	s_mov_b32 ttmp2, m0
	s_waitcnt lgkmcnt(0)
	s_and_b32 s0, s0, 0x3ff
	s_delay_alu instid0(SALU_CYCLE_1) | instskip(NEXT) | instid1(SALU_CYCLE_1)
	s_bitset1_b32 s0, 10
	s_mov_b32 m0, s0
	s_sendmsg sendmsg(MSG_INTERRUPT)
	s_mov_b32 m0, ttmp2
.LBB16_16:                              ; =>This Inner Loop Header: Depth=1
	s_sethalt 5
	s_branch .LBB16_16
.LBB16_17:
	v_ashrrev_i32_e32 v0, 31, v7
	v_mov_b32_e32 v4, 0
	v_mov_b32_e32 v5, 0
	s_mov_b32 s5, 0
	s_mov_b32 s0, -1
	v_lshrrev_b32_e32 v0, 20, v0
	s_mov_b32 s4, exec_lo
                                        ; implicit-def: $vgpr2_vgpr3
                                        ; implicit-def: $vgpr14
                                        ; implicit-def: $vgpr21
	s_delay_alu instid0(VALU_DEP_1) | instskip(SKIP_1) | instid1(VALU_DEP_1)
	v_add_co_u32 v0, vcc_lo, v6, v0
	v_add_co_ci_u32_e32 v1, vcc_lo, 0, v7, vcc_lo
	v_ashrrev_i64 v[8:9], 12, v[0:1]
	v_ashrrev_i32_e32 v0, 31, v20
	s_delay_alu instid0(VALU_DEP_2) | instskip(NEXT) | instid1(VALU_DEP_2)
	v_sub_co_u32 v10, vcc_lo, v8, v20
	v_sub_co_ci_u32_e32 v11, vcc_lo, v9, v0, vcc_lo
                                        ; implicit-def: $vgpr0_vgpr1
	s_delay_alu instid0(VALU_DEP_1)
	v_cmpx_gt_i64_e32 1, v[10:11]
	s_cbranch_execz .LBB16_27
; %bb.18:
	v_lshlrev_b64 v[0:1], 12, v[8:9]
	v_mov_b32_e32 v4, 0
	v_mov_b32_e32 v5, 0
	s_mov_b32 s6, 0
	s_mov_b32 s3, exec_lo
                                        ; implicit-def: $vgpr2_vgpr3
                                        ; implicit-def: $vgpr14
                                        ; implicit-def: $vgpr21
	s_delay_alu instid0(VALU_DEP_3)
	v_cmpx_ne_u64_e64 v[6:7], v[0:1]
	s_cbranch_execz .LBB16_26
; %bb.19:
	v_sub_co_u32 v4, vcc_lo, v6, v0
	v_sub_co_ci_u32_e32 v5, vcc_lo, v7, v1, vcc_lo
	v_mov_b32_e32 v3, 0
	s_delay_alu instid0(VALU_DEP_2) | instskip(NEXT) | instid1(VALU_DEP_1)
	v_ashrrev_i32_e32 v2, 31, v5
	v_lshrrev_b32_e32 v2, 23, v2
	s_delay_alu instid0(VALU_DEP_1) | instskip(SKIP_1) | instid1(VALU_DEP_2)
	v_add_co_u32 v11, vcc_lo, v4, v2
	v_add_co_ci_u32_e32 v12, vcc_lo, 0, v5, vcc_lo
	v_and_b32_e32 v2, 0xfffffe00, v11
	s_delay_alu instid0(VALU_DEP_2) | instskip(NEXT) | instid1(VALU_DEP_2)
	v_ashrrev_i64 v[13:14], 9, v[11:12]
	v_sub_co_u32 v8, vcc_lo, v4, v2
	v_add_co_u32 v11, s0, v2, v0
	v_sub_co_ci_u32_e32 v9, vcc_lo, v5, v12, vcc_lo
	v_add_co_ci_u32_e64 v12, s0, v12, v1, s0
	s_mov_b32 s0, exec_lo
	s_delay_alu instid0(VALU_DEP_2)
	v_cmpx_lt_i64_e32 15, v[8:9]
; %bb.20:
	v_and_b32_e32 v2, 15, v6
	s_delay_alu instid0(VALU_DEP_1) | instskip(SKIP_2) | instid1(VALU_DEP_3)
	v_sub_co_u32 v6, vcc_lo, v8, v2
	v_subrev_co_ci_u32_e32 v7, vcc_lo, 0, v9, vcc_lo
	v_add_co_u32 v13, vcc_lo, v13, 1
	v_add_co_u32 v11, vcc_lo, v6, v11
	s_delay_alu instid0(VALU_DEP_3)
	v_add_co_ci_u32_e32 v12, vcc_lo, v7, v12, vcc_lo
	v_dual_mov_b32 v9, v3 :: v_dual_mov_b32 v8, v2
; %bb.21:
	s_or_b32 exec_lo, exec_lo, s0
	v_lshlrev_b32_e32 v2, 5, v10
	s_mov_b32 s6, -1
                                        ; implicit-def: $vgpr14
                                        ; implicit-def: $vgpr21
	s_delay_alu instid0(VALU_DEP_1) | instskip(NEXT) | instid1(VALU_DEP_1)
	v_sub_nc_u32_e32 v2, v19, v2
	v_ashrrev_i32_e32 v3, 31, v2
	s_delay_alu instid0(VALU_DEP_1) | instskip(NEXT) | instid1(VALU_DEP_1)
	v_lshrrev_b32_e32 v3, 27, v3
	v_add_nc_u32_e32 v3, v2, v3
	s_delay_alu instid0(VALU_DEP_1) | instskip(SKIP_1) | instid1(VALU_DEP_2)
	v_and_b32_e32 v6, 0xffffffe0, v3
	v_ashrrev_i32_e32 v22, 5, v3
	v_sub_nc_u32_e32 v10, v2, v6
                                        ; implicit-def: $vgpr6_vgpr7
	s_delay_alu instid0(VALU_DEP_1) | instskip(NEXT) | instid1(VALU_DEP_1)
	v_lshlrev_b32_e32 v2, 4, v10
	v_lshl_add_u32 v2, v22, 9, v2
	s_delay_alu instid0(VALU_DEP_1) | instskip(SKIP_1) | instid1(VALU_DEP_2)
	v_ashrrev_i32_e32 v3, 31, v2
	v_sub_co_u32 v4, vcc_lo, v4, v2
	v_sub_co_ci_u32_e32 v5, vcc_lo, v5, v3, vcc_lo
	s_delay_alu instid0(VALU_DEP_1)
	v_cmp_gt_i64_e32 vcc_lo, 16, v[4:5]
	v_mov_b32_e32 v4, 0
	v_mov_b32_e32 v5, 0
	s_and_saveexec_b32 s0, vcc_lo
	s_cbranch_execz .LBB16_25
; %bb.22:
	v_mov_b32_e32 v4, 0
	v_mov_b32_e32 v5, 0
	s_mov_b32 s6, exec_lo
                                        ; implicit-def: $vgpr14
                                        ; implicit-def: $vgpr21
	v_cmpx_ne_u64_e32 0, v[8:9]
; %bb.23:
	v_sub_nc_u32_e32 v4, v22, v13
	s_mov_b32 s5, exec_lo
	s_delay_alu instid0(VALU_DEP_1) | instskip(NEXT) | instid1(VALU_DEP_1)
	v_lshl_add_u32 v4, v4, 5, v10
	v_ashrrev_i32_e32 v5, 31, v4
	s_delay_alu instid0(VALU_DEP_1) | instskip(NEXT) | instid1(VALU_DEP_1)
	v_lshrrev_b32_e32 v5, 27, v5
	v_add_nc_u32_e32 v5, v4, v5
	s_delay_alu instid0(VALU_DEP_1) | instskip(SKIP_1) | instid1(VALU_DEP_2)
	v_and_b32_e32 v6, 0xffffffe0, v5
	v_ashrrev_i32_e32 v21, 5, v5
	v_sub_nc_u32_e32 v14, v4, v6
	v_dual_mov_b32 v4, v11 :: v_dual_mov_b32 v5, v12
; %bb.24:
	s_or_b32 exec_lo, exec_lo, s6
	v_dual_mov_b32 v6, v8 :: v_dual_mov_b32 v7, v9
	s_xor_b32 s6, exec_lo, -1
	s_and_b32 s5, s5, exec_lo
.LBB16_25:
	s_or_b32 exec_lo, exec_lo, s0
	s_delay_alu instid0(SALU_CYCLE_1)
	s_and_b32 s6, s6, exec_lo
	s_and_b32 s5, s5, exec_lo
.LBB16_26:
	s_or_b32 exec_lo, exec_lo, s3
	s_delay_alu instid0(SALU_CYCLE_1)
	s_xor_b32 s0, exec_lo, -1
	s_and_b32 s3, s6, exec_lo
	s_and_b32 s5, s5, exec_lo
.LBB16_27:
	s_or_b32 exec_lo, exec_lo, s4
	s_and_saveexec_b32 s4, s5
	s_cbranch_execz .LBB16_37
.LBB16_28:
	v_ashrrev_i32_e32 v8, 31, v7
	s_mov_b32 s5, exec_lo
	s_delay_alu instid0(VALU_DEP_1) | instskip(NEXT) | instid1(VALU_DEP_1)
	v_lshrrev_b32_e32 v8, 22, v8
	v_add_co_u32 v8, vcc_lo, v6, v8
	v_add_co_ci_u32_e32 v9, vcc_lo, 0, v7, vcc_lo
	s_delay_alu instid0(VALU_DEP_1) | instskip(SKIP_1) | instid1(VALU_DEP_2)
	v_ashrrev_i64 v[10:11], 10, v[8:9]
	v_ashrrev_i32_e32 v9, 31, v21
	v_sub_co_u32 v8, vcc_lo, v10, v21
	s_delay_alu instid0(VALU_DEP_2) | instskip(NEXT) | instid1(VALU_DEP_1)
	v_sub_co_ci_u32_e32 v9, vcc_lo, v11, v9, vcc_lo
	v_cmpx_gt_i64_e32 1, v[8:9]
	s_xor_b32 s5, exec_lo, s5
	s_cbranch_execz .LBB16_34
; %bb.29:
	v_lshlrev_b64 v[9:10], 10, v[10:11]
	s_mov_b32 s6, exec_lo
	s_delay_alu instid0(VALU_DEP_1)
	v_cmpx_ne_u64_e64 v[6:7], v[9:10]
	s_cbranch_execz .LBB16_33
; %bb.30:
	v_lshlrev_b32_e32 v8, 5, v8
	v_sub_co_u32 v6, vcc_lo, v6, v9
	v_sub_co_ci_u32_e32 v7, vcc_lo, v7, v10, vcc_lo
	s_delay_alu instid0(VALU_DEP_3) | instskip(NEXT) | instid1(VALU_DEP_1)
	v_sub_nc_u32_e32 v11, v14, v8
	v_ashrrev_i32_e32 v12, 31, v11
	s_delay_alu instid0(VALU_DEP_1)
	v_cmp_gt_i64_e32 vcc_lo, v[6:7], v[11:12]
	s_and_b32 exec_lo, exec_lo, vcc_lo
	s_cbranch_execz .LBB16_33
; %bb.31:
	v_add_co_u32 v4, vcc_lo, v9, v4
	v_add_co_ci_u32_e32 v5, vcc_lo, v10, v5, vcc_lo
	s_delay_alu instid0(VALU_DEP_2) | instskip(NEXT) | instid1(VALU_DEP_2)
	v_add_co_u32 v6, vcc_lo, v4, v11
	v_add_co_ci_u32_e32 v7, vcc_lo, v5, v12, vcc_lo
	s_delay_alu instid0(VALU_DEP_2) | instskip(NEXT) | instid1(VALU_DEP_2)
	v_add_co_u32 v4, vcc_lo, v6, v15
	v_add_co_ci_u32_e32 v5, vcc_lo, v7, v18, vcc_lo
	flat_load_u8 v8, v[4:5]
	v_add_co_u32 v4, vcc_lo, v6, v16
	v_add_co_ci_u32_e32 v5, vcc_lo, v7, v17, vcc_lo
	s_mov_b32 vcc_lo, exec_lo
	s_waitcnt vmcnt(0) lgkmcnt(0)
	flat_store_b8 v[4:5], v8 glc slc dlc
.LBB16_32:                              ; =>This Inner Loop Header: Depth=1
	s_cbranch_vccnz .LBB16_32
.LBB16_33:
	s_or_b32 exec_lo, exec_lo, s6
                                        ; implicit-def: $vgpr21
                                        ; implicit-def: $vgpr14
                                        ; implicit-def: $vgpr4_vgpr5
.LBB16_34:
	s_and_not1_saveexec_b32 s5, s5
	s_cbranch_execz .LBB16_37
; %bb.35:
	v_lshl_add_u32 v6, v21, 10, v14
	s_delay_alu instid0(VALU_DEP_1) | instskip(SKIP_1) | instid1(VALU_DEP_2)
	v_ashrrev_i32_e32 v7, 31, v6
	v_add_co_u32 v6, vcc_lo, v4, v6
	v_add_co_ci_u32_e32 v7, vcc_lo, v5, v7, vcc_lo
	s_delay_alu instid0(VALU_DEP_2) | instskip(NEXT) | instid1(VALU_DEP_2)
	v_add_co_u32 v4, vcc_lo, v6, v16
	v_add_co_ci_u32_e32 v5, vcc_lo, v7, v17, vcc_lo
	v_add_co_u32 v6, vcc_lo, v6, v15
	v_add_co_ci_u32_e32 v7, vcc_lo, v7, v18, vcc_lo
	s_mov_b32 vcc_lo, 0
.LBB16_36:                              ; =>This Inner Loop Header: Depth=1
	s_clause 0x1f
	flat_load_u8 v8, v[6:7] slc dlc
	flat_load_u8 v9, v[6:7] offset:32 slc dlc
	flat_load_u8 v10, v[6:7] offset:64 slc dlc
	;; [unrolled: 1-line block ×31, first 2 shown]
	s_waitcnt vmcnt(31) lgkmcnt(31)
	flat_store_b8 v[4:5], v8 glc slc dlc
	s_waitcnt vmcnt(30) lgkmcnt(31)
	flat_store_b8 v[4:5], v9 offset:32 glc slc dlc
	s_waitcnt vmcnt(29) lgkmcnt(31)
	flat_store_b8 v[4:5], v10 offset:64 glc slc dlc
	s_waitcnt vmcnt(28) lgkmcnt(31)
	flat_store_b8 v[4:5], v11 offset:96 glc slc dlc
	s_waitcnt vmcnt(27) lgkmcnt(31)
	flat_store_b8 v[4:5], v12 offset:128 glc slc dlc
	s_waitcnt vmcnt(26) lgkmcnt(31)
	flat_store_b8 v[4:5], v13 offset:160 glc slc dlc
	s_waitcnt vmcnt(25) lgkmcnt(31)
	flat_store_b8 v[4:5], v14 offset:192 glc slc dlc
	s_waitcnt vmcnt(24) lgkmcnt(31)
	flat_store_b8 v[4:5], v21 offset:224 glc slc dlc
	s_waitcnt vmcnt(23) lgkmcnt(31)
	flat_store_b8 v[4:5], v22 offset:256 glc slc dlc
	s_waitcnt vmcnt(22) lgkmcnt(31)
	flat_store_b8 v[4:5], v23 offset:288 glc slc dlc
	s_waitcnt vmcnt(21) lgkmcnt(31)
	flat_store_b8 v[4:5], v24 offset:320 glc slc dlc
	s_waitcnt vmcnt(20) lgkmcnt(31)
	flat_store_b8 v[4:5], v25 offset:352 glc slc dlc
	s_waitcnt vmcnt(19) lgkmcnt(31)
	flat_store_b8 v[4:5], v26 offset:384 glc slc dlc
	s_waitcnt vmcnt(18) lgkmcnt(31)
	flat_store_b8 v[4:5], v27 offset:416 glc slc dlc
	s_waitcnt vmcnt(17) lgkmcnt(31)
	flat_store_b8 v[4:5], v28 offset:448 glc slc dlc
	s_waitcnt vmcnt(16) lgkmcnt(31)
	flat_store_b8 v[4:5], v29 offset:480 glc slc dlc
	s_waitcnt vmcnt(15) lgkmcnt(31)
	flat_store_b8 v[4:5], v30 offset:512 glc slc dlc
	s_waitcnt vmcnt(14) lgkmcnt(31)
	flat_store_b8 v[4:5], v31 offset:544 glc slc dlc
	s_waitcnt vmcnt(13) lgkmcnt(31)
	flat_store_b8 v[4:5], v32 offset:576 glc slc dlc
	s_waitcnt vmcnt(12) lgkmcnt(31)
	flat_store_b8 v[4:5], v33 offset:608 glc slc dlc
	s_waitcnt vmcnt(11) lgkmcnt(31)
	flat_store_b8 v[4:5], v34 offset:640 glc slc dlc
	s_waitcnt vmcnt(10) lgkmcnt(31)
	flat_store_b8 v[4:5], v35 offset:672 glc slc dlc
	s_waitcnt vmcnt(9) lgkmcnt(31)
	flat_store_b8 v[4:5], v36 offset:704 glc slc dlc
	s_waitcnt vmcnt(8) lgkmcnt(31)
	flat_store_b8 v[4:5], v37 offset:736 glc slc dlc
	s_waitcnt vmcnt(7) lgkmcnt(31)
	flat_store_b8 v[4:5], v38 offset:768 glc slc dlc
	s_waitcnt vmcnt(6) lgkmcnt(31)
	flat_store_b8 v[4:5], v39 offset:800 glc slc dlc
	s_waitcnt vmcnt(5) lgkmcnt(31)
	flat_store_b8 v[4:5], v48 offset:832 glc slc dlc
	s_waitcnt vmcnt(4) lgkmcnt(31)
	flat_store_b8 v[4:5], v49 offset:864 glc slc dlc
	s_waitcnt vmcnt(3) lgkmcnt(31)
	flat_store_b8 v[4:5], v50 offset:896 glc slc dlc
	s_waitcnt vmcnt(2) lgkmcnt(31)
	flat_store_b8 v[4:5], v51 offset:928 glc slc dlc
	s_waitcnt vmcnt(1) lgkmcnt(31)
	flat_store_b8 v[4:5], v52 offset:960 glc slc dlc
	s_waitcnt vmcnt(0) lgkmcnt(31)
	flat_store_b8 v[4:5], v53 offset:992 glc slc dlc
	s_cbranch_vccz .LBB16_36
.LBB16_37:
	s_or_b32 exec_lo, exec_lo, s4
	s_and_saveexec_b32 s4, s3
	s_cbranch_execz .LBB16_40
; %bb.38:
	v_add_co_u32 v2, vcc_lo, v0, v2
	v_add_co_ci_u32_e32 v3, vcc_lo, v1, v3, vcc_lo
	s_delay_alu instid0(VALU_DEP_2) | instskip(NEXT) | instid1(VALU_DEP_2)
	v_add_co_u32 v0, vcc_lo, v2, v16
	v_add_co_ci_u32_e32 v1, vcc_lo, v3, v17, vcc_lo
	v_add_co_u32 v2, vcc_lo, v2, v15
	v_add_co_ci_u32_e32 v3, vcc_lo, v3, v18, vcc_lo
	s_mov_b32 vcc_lo, 0
.LBB16_39:                              ; =>This Inner Loop Header: Depth=1
	global_load_b128 v[4:7], v[2:3], off slc dlc
	s_waitcnt vmcnt(0)
	global_store_b128 v[0:1], v[4:7], off glc slc dlc
	s_cbranch_vccz .LBB16_39
.LBB16_40:
	s_or_b32 exec_lo, exec_lo, s4
	s_and_saveexec_b32 s3, s0
	s_delay_alu instid0(SALU_CYCLE_1)
	s_xor_b32 s3, exec_lo, s3
	s_cbranch_execz .LBB16_43
; %bb.41:
	v_lshlrev_b32_e32 v0, 4, v19
	s_delay_alu instid0(VALU_DEP_1) | instskip(NEXT) | instid1(VALU_DEP_1)
	v_lshl_add_u32 v2, v20, 12, v0
	v_ashrrev_i32_e32 v3, 31, v2
	v_add_co_u32 v0, vcc_lo, v16, v2
	s_delay_alu instid0(VALU_DEP_2)
	v_add_co_ci_u32_e32 v1, vcc_lo, v17, v3, vcc_lo
	v_add_co_u32 v2, vcc_lo, v15, v2
	v_add_co_ci_u32_e32 v3, vcc_lo, v18, v3, vcc_lo
	s_mov_b32 vcc_lo, 0
	s_set_inst_prefetch_distance 0x1
	.p2align	6
.LBB16_42:                              ; =>This Inner Loop Header: Depth=1
	s_clause 0x7
	global_load_b128 v[4:7], v[2:3], off slc dlc
	global_load_b128 v[8:11], v[2:3], off offset:512 slc dlc
	global_load_b128 v[12:15], v[2:3], off offset:1024 slc dlc
	;; [unrolled: 1-line block ×7, first 2 shown]
	s_waitcnt vmcnt(7)
	global_store_b128 v[0:1], v[4:7], off glc slc dlc
	s_waitcnt vmcnt(6)
	global_store_b128 v[0:1], v[8:11], off offset:512 glc slc dlc
	s_waitcnt vmcnt(5)
	global_store_b128 v[0:1], v[12:15], off offset:1024 glc slc dlc
	;; [unrolled: 2-line block ×7, first 2 shown]
	s_cbranch_vccz .LBB16_42
.LBB16_43:
	s_set_inst_prefetch_distance 0x2
	s_or_b32 exec_lo, exec_lo, s2
                                        ; implicit-def: $vgpr6_vgpr7
                                        ; implicit-def: $vgpr16_vgpr17
                                        ; implicit-def: $vgpr36_vgpr37
                                        ; implicit-def: $vgpr10_vgpr11
                                        ; implicit-def: $vgpr0
                                        ; implicit-def: $vgpr1
                                        ; implicit-def: $vgpr18_vgpr19
                                        ; implicit-def: $vgpr31
                                        ; implicit-def: $vgpr2_vgpr3
                                        ; implicit-def: $vgpr66
                                        ; implicit-def: $vgpr67
.LBB16_44:
	s_and_not1_saveexec_b32 s21, s1
	s_cbranch_execz .LBB16_1461
; %bb.45:
	s_cbranch_execnz .LBB16_1173
; %bb.46:
	ds_load_b64 v[4:5], v0
	s_mov_b32 s1, exec_lo
	s_waitcnt lgkmcnt(0)
	v_cmp_ne_u32_e32 vcc_lo, -1, v4
	v_cndmask_b32_e64 v50, 0, 1, vcc_lo
	v_cmp_ne_u32_e32 vcc_lo, -1, v5
	s_delay_alu instid0(VALU_DEP_2) | instskip(NEXT) | instid1(VALU_DEP_1)
	v_add_co_ci_u32_e64 v14, s0, 0, v50, vcc_lo
	v_lshlrev_b32_e32 v4, 1, v14
	s_delay_alu instid0(VALU_DEP_1)
	v_cmpx_le_i32_e64 v4, v1
	s_xor_b32 s19, exec_lo, s1
	s_cbranch_execz .LBB16_1458
; %bb.47:
	s_clause 0x2
	flat_load_b64 v[4:5], v[2:3] offset:104
	flat_load_u16 v13, v[2:3] offset:8
	flat_load_b32 v12, v[2:3] offset:4
	s_cbranch_execnz .LBB16_1175
; %bb.48:
	s_load_b32 s0, s[8:9], 0x0
	v_dual_mov_b32 v15, 0 :: v_dual_mov_b32 v30, 4
	s_waitcnt lgkmcnt(0)
	s_cmp_lt_u32 s12, s0
	s_cselect_b32 s0, 12, 18
	s_delay_alu instid0(SALU_CYCLE_1)
	s_add_u32 s0, s8, s0
	s_addc_u32 s1, s9, 0
	global_load_u16 v37, v15, s[0:1]
	ds_load_b32 v15, v0
	s_mov_b32 s1, exec_lo
	s_waitcnt lgkmcnt(0)
	v_readfirstlane_b32 s2, v15
	v_cmpx_ge_i32_e64 v0, v50
	s_cbranch_execz .LBB16_58
; %bb.49:
	v_cmp_le_u32_e64 s0, v14, v0
                                        ; implicit-def: $vgpr30
	s_delay_alu instid0(VALU_DEP_1) | instskip(NEXT) | instid1(SALU_CYCLE_1)
	s_and_saveexec_b32 s3, s0
	s_xor_b32 s0, exec_lo, s3
	s_cbranch_execz .LBB16_55
; %bb.50:
	v_cndmask_b32_e64 v15, 0, 1, vcc_lo
	s_mov_b32 s3, exec_lo
                                        ; implicit-def: $sgpr4
	s_delay_alu instid0(VALU_DEP_1) | instskip(NEXT) | instid1(VALU_DEP_1)
	v_sub_nc_u32_e32 v15, v1, v15
	v_cmpx_ge_u32_e64 v0, v15
	s_xor_b32 s3, exec_lo, s3
; %bb.51:
	s_mov_b32 s4, 16
                                        ; implicit-def: $vgpr14
; %bb.52:
	s_or_saveexec_b32 s3, s3
	v_mov_b32_e32 v30, s4
	s_xor_b32 exec_lo, exec_lo, s3
; %bb.53:
	v_sub_nc_u32_e32 v14, v1, v14
	s_delay_alu instid0(VALU_DEP_1) | instskip(SKIP_1) | instid1(VALU_DEP_1)
	v_cmp_ge_i32_e32 vcc_lo, v0, v14
	v_cndmask_b32_e64 v14, 0, 1, vcc_lo
	v_lshlrev_b32_e32 v30, 5, v14
; %bb.54:
	s_or_b32 exec_lo, exec_lo, s3
.LBB16_55:
	s_and_not1_saveexec_b32 s0, s0
; %bb.56:
	v_mov_b32_e32 v30, 8
; %bb.57:
	s_or_b32 exec_lo, exec_lo, s0
.LBB16_58:
	s_delay_alu instid0(SALU_CYCLE_1) | instskip(NEXT) | instid1(VALU_DEP_1)
	s_or_b32 exec_lo, exec_lo, s1
	v_and_b32_e32 v14, 36, v30
	v_mov_b32_e32 v28, -1
	s_delay_alu instid0(VALU_DEP_2)
	v_cmp_ne_u32_e32 vcc_lo, 0, v14
	s_and_saveexec_b32 s0, vcc_lo
	s_cbranch_execz .LBB16_61
; %bb.59:
	s_cbranch_execnz .LBB16_1177
; %bb.60:
	ds_load_b32 v28, v0
.LBB16_61:
	s_or_b32 exec_lo, exec_lo, s0
	v_and_b32_e32 v14, 24, v30
	s_mov_b32 s1, exec_lo
	s_delay_alu instid0(VALU_DEP_1)
	v_cmpx_ne_u32_e32 0, v14
	s_cbranch_execz .LBB16_64
; %bb.62:
	s_cbranch_execnz .LBB16_1179
; %bb.63:
	s_waitcnt lgkmcnt(0)
	ds_load_b32 v28, v0
.LBB16_64:
	s_or_b32 exec_lo, exec_lo, s1
	s_waitcnt vmcnt(1)
	v_lshrrev_b64 v[12:13], 31, v[12:13]
	v_mov_b32_e32 v22, 0
	v_mov_b32_e32 v23, 0
                                        ; implicit-def: $vgpr20_vgpr21
                                        ; implicit-def: $vgpr68
                                        ; implicit-def: $vgpr14_vgpr15
                                        ; implicit-def: $vgpr26_vgpr27
                                        ; implicit-def: $vgpr34_vgpr35
                                        ; implicit-def: $vgpr24_vgpr25
	s_delay_alu instid0(VALU_DEP_3) | instskip(NEXT) | instid1(VALU_DEP_2)
	v_and_b32_e32 v38, 3, v12
	v_dual_mov_b32 v12, v22 :: v_dual_mov_b32 v13, v23
	s_and_saveexec_b32 s0, vcc_lo
	s_cbranch_execz .LBB16_77
; %bb.65:
	s_cbranch_execnz .LBB16_1181
; %bb.66:
	ds_load_b64 v[12:13], v0
	s_waitcnt lgkmcnt(1)
	v_ashrrev_i32_e32 v29, 31, v28
	v_and_b32_e32 v20, 0xffff, v38
	s_mov_b32 s1, exec_lo
	s_delay_alu instid0(VALU_DEP_2) | instskip(SKIP_1) | instid1(VALU_DEP_1)
	v_lshlrev_b64 v[14:15], 3, v[28:29]
	s_waitcnt lgkmcnt(0)
	v_add_co_u32 v12, vcc_lo, v12, v14
	s_delay_alu instid0(VALU_DEP_2)
	v_add_co_ci_u32_e32 v13, vcc_lo, v13, v15, vcc_lo
	flat_load_b64 v[12:13], v[12:13]
	s_waitcnt vmcnt(0) lgkmcnt(0)
	v_mad_u64_u32 v[14:15], null, 0xa8, v20, v[12:13]
                                        ; implicit-def: $vgpr20_vgpr21
	flat_load_b32 v12, v[14:15] offset:640
	v_add_co_u32 v22, vcc_lo, 0x1f8, v14
	v_add_co_ci_u32_e32 v23, vcc_lo, 0, v15, vcc_lo
	s_waitcnt vmcnt(0) lgkmcnt(0)
	v_cmpx_eq_u32_e32 1, v12
	s_cbranch_execz .LBB16_69
; %bb.67:
	flat_load_b64 v[20:21], v[22:23] offset:144
	s_waitcnt vmcnt(0) lgkmcnt(0)
	flat_load_b64 v[12:13], v[20:21]
	s_cbranch_execnz .LBB16_1189
; %bb.68:
	s_waitcnt vmcnt(0) lgkmcnt(0)
	ds_store_b64 v0, v[12:13]
	flat_load_b64 v[12:13], v[20:21] offset:8
	v_or_b32_e32 v30, 0x2000, v30
	s_waitcnt vmcnt(0) lgkmcnt(0)
	ds_store_b64 v0, v[12:13]
	flat_load_b64 v[12:13], v[20:21] offset:16
	s_waitcnt vmcnt(0) lgkmcnt(0)
	ds_store_b64 v0, v[12:13]
.LBB16_69:
	s_or_b32 exec_lo, exec_lo, s1
	flat_load_b64 v[12:13], v[22:23] offset:104
	v_and_b32_e32 v24, 32, v30
	s_waitcnt vmcnt(0) lgkmcnt(0)
	v_add_co_u32 v12, vcc_lo, v12, 3
	v_add_co_ci_u32_e32 v15, vcc_lo, 0, v13, vcc_lo
	s_delay_alu instid0(VALU_DEP_3) | instskip(NEXT) | instid1(VALU_DEP_3)
	v_cmp_ne_u32_e32 vcc_lo, 0, v24
	v_and_b32_e32 v14, -4, v12
                                        ; implicit-def: $vgpr24_vgpr25
	s_and_saveexec_b32 s1, vcc_lo
	s_cbranch_execz .LBB16_71
; %bb.70:
	flat_load_b64 v[24:25], v[22:23] offset:56
	s_waitcnt vmcnt(0) lgkmcnt(0)
	s_waitcnt_vscnt null, 0x0
	flat_store_b64 v[24:25], v[14:15]
.LBB16_71:
	s_or_b32 exec_lo, exec_lo, s1
	v_and_b32_e32 v26, 4, v30
	v_mov_b32_e32 v12, 0
	v_mov_b32_e32 v13, 0
                                        ; implicit-def: $vgpr68
                                        ; implicit-def: $vgpr34_vgpr35
	s_delay_alu instid0(VALU_DEP_3)
	v_cmp_ne_u32_e32 vcc_lo, 0, v26
                                        ; implicit-def: $vgpr26_vgpr27
	s_and_saveexec_b32 s1, vcc_lo
	s_cbranch_execz .LBB16_76
; %bb.72:
	v_and_b32_e32 v12, 0x800, v30
	s_mov_b32 s3, exec_lo
	s_delay_alu instid0(VALU_DEP_1)
	v_cmpx_eq_u32_e32 0, v12
	s_cbranch_execz .LBB16_75
; %bb.73:
	s_cbranch_execnz .LBB16_1191
; %bb.74:
	ds_store_b64 v0, v[22:23]
.LBB16_75:
	s_or_b32 exec_lo, exec_lo, s3
	flat_load_b64 v[24:25], v[22:23] offset:48
	v_or_b32_e32 v29, 0x100, v30
	s_waitcnt vmcnt(0) lgkmcnt(0)
	flat_load_b64 v[34:35], v[24:25] glc
	s_clause 0x2
	flat_load_b64 v[12:13], v[22:23] offset:96
	flat_load_b32 v68, v[22:23] offset:72
	flat_load_b64 v[26:27], v[22:23] offset:16
	s_waitcnt vmcnt(2) lgkmcnt(2)
	v_cmp_eq_u64_e32 vcc_lo, 0, v[12:13]
	v_cndmask_b32_e32 v30, v29, v30, vcc_lo
.LBB16_76:
	s_or_b32 exec_lo, exec_lo, s1
.LBB16_77:
	s_delay_alu instid0(SALU_CYCLE_1) | instskip(NEXT) | instid1(VALU_DEP_1)
	s_or_b32 exec_lo, exec_lo, s0
	v_and_b32_e32 v29, 24, v30
	s_mov_b32 s0, exec_lo
                                        ; implicit-def: $vgpr32_vgpr33
	s_delay_alu instid0(VALU_DEP_1)
	v_cmpx_ne_u32_e32 0, v29
	s_cbranch_execz .LBB16_87
; %bb.78:
	s_cbranch_execnz .LBB16_1183
; %bb.79:
	ds_load_b64 v[12:13], v0
	s_waitcnt lgkmcnt(1)
	v_ashrrev_i32_e32 v29, 31, v28
	s_mov_b32 s1, exec_lo
                                        ; implicit-def: $vgpr32_vgpr33
	s_delay_alu instid0(VALU_DEP_1) | instskip(SKIP_2) | instid1(VALU_DEP_2)
	v_lshlrev_b64 v[14:15], 3, v[28:29]
	v_or_b32_e32 v28, 0x100, v30
	s_waitcnt lgkmcnt(0)
	v_add_co_u32 v12, vcc_lo, v12, v14
	s_delay_alu instid0(VALU_DEP_3)
	v_add_co_ci_u32_e32 v13, vcc_lo, v13, v15, vcc_lo
	v_and_b32_e32 v14, 0xffff, v38
	flat_load_b64 v[12:13], v[12:13]
	s_waitcnt vmcnt(0) lgkmcnt(0)
	v_mad_u64_u32 v[22:23], null, 0xa8, v14, v[12:13]
	flat_load_b128 v[12:15], v[22:23] offset:96
	s_waitcnt vmcnt(0) lgkmcnt(0)
	v_cmp_eq_u64_e32 vcc_lo, 0, v[12:13]
	v_cndmask_b32_e32 v30, v28, v30, vcc_lo
	s_delay_alu instid0(VALU_DEP_1) | instskip(NEXT) | instid1(VALU_DEP_1)
	v_and_b32_e32 v28, 16, v30
	v_cmpx_ne_u32_e32 0, v28
; %bb.80:
	s_clause 0x2
	flat_load_b64 v[32:33], v[22:23] offset:120
	flat_load_b64 v[24:25], v[22:23] offset:48
	;; [unrolled: 1-line block ×3, first 2 shown]
; %bb.81:
	s_or_b32 exec_lo, exec_lo, s1
	v_and_b32_e32 v28, 8, v30
	s_mov_b32 s1, exec_lo
	s_delay_alu instid0(VALU_DEP_1)
	v_cmpx_ne_u32_e32 0, v28
	s_cbranch_execz .LBB16_86
; %bb.82:
	s_waitcnt vmcnt(1) lgkmcnt(1)
	v_and_b32_e32 v24, 0x800, v30
	s_mov_b32 s3, exec_lo
	s_delay_alu instid0(VALU_DEP_1)
	v_cmpx_eq_u32_e32 0, v24
	s_cbranch_execz .LBB16_85
; %bb.83:
	s_cbranch_execnz .LBB16_1193
; %bb.84:
	ds_store_b64 v0, v[22:23]
.LBB16_85:
	s_or_b32 exec_lo, exec_lo, s3
	flat_load_b64 v[24:25], v[22:23] offset:56
	s_waitcnt vmcnt(0) lgkmcnt(0)
	flat_load_b64 v[34:35], v[24:25] glc
	s_clause 0x1
	flat_load_b32 v68, v[22:23] offset:72
	flat_load_b64 v[26:27], v[22:23] offset:16
.LBB16_86:
	s_or_b32 exec_lo, exec_lo, s1
	v_add_co_u32 v14, vcc_lo, v14, 3
	v_add_co_ci_u32_e32 v15, vcc_lo, 0, v15, vcc_lo
	s_delay_alu instid0(VALU_DEP_2)
	v_and_b32_e32 v14, -4, v14
.LBB16_87:
	s_or_b32 exec_lo, exec_lo, s0
	v_cmp_eq_u32_e64 s0, 0, v0
	s_delay_alu instid0(VALU_DEP_1)
	s_and_saveexec_b32 s1, s0
	s_cbranch_execz .LBB16_90
; %bb.88:
	s_waitcnt lgkmcnt(0)
	flat_load_b64 v[28:29], v[2:3] offset:32
	v_dual_mov_b32 v38, v10 :: v_dual_mov_b32 v39, v11
	v_dual_mov_b32 v48, v8 :: v_dual_mov_b32 v49, v9
	ds_store_2addr_b64 v0, v[38:39], v[48:49] offset1:1
	s_cbranch_execnz .LBB16_1185
; %bb.89:
	s_waitcnt vmcnt(0) lgkmcnt(1)
	ds_store_b64 v0, v[28:29]
	ds_store_b64 v0, v[4:5]
.LBB16_90:
	s_or_b32 exec_lo, exec_lo, s1
	s_waitcnt vmcnt(0) lgkmcnt(0)
	v_dual_mov_b32 v28, 0 :: v_dual_and_b32 v69, 0xffff, v37
	v_mov_b32_e32 v29, 0
	s_mov_b32 s20, exec_lo
	v_cmpx_ne_u64_e32 0, v[6:7]
	s_cbranch_execz .LBB16_1167
; %bb.91:
	flat_load_b32 v2, v[2:3] offset:4
	v_and_b32_e32 v3, 31, v31
	v_mov_b32_e32 v37, 0
	s_mov_b32 s22, 0
	s_delay_alu instid0(VALU_DEP_2)
	v_cmp_eq_u32_e64 s1, 0, v3
	s_cbranch_execnz .LBB16_1187
; %bb.92:
	v_cvt_f64_u32_e32 v[3:4], 0
	v_dual_mov_b32 v48, 0 :: v_dual_lshlrev_b32 v5, 9, v36
	v_lshrrev_b32_e32 v82, 5, v1
	v_dual_mov_b32 v49, 0 :: v_dual_and_b32 v98, 0xffffffe0, v1
	s_delay_alu instid0(VALU_DEP_3) | instskip(SKIP_1) | instid1(VALU_DEP_4)
	v_and_b32_e32 v70, 0x3ffffe00, v5
	v_ashrrev_i32_e32 v5, 31, v0
	v_lshlrev_b32_e32 v84, 9, v82
	s_delay_alu instid0(VALU_DEP_4)
	v_subrev_nc_u32_e32 v101, 32, v98
	s_waitcnt vmcnt(0) lgkmcnt(0)
	v_and_b32_e32 v2, 1, v2
	v_cvt_f64_u32_e32 v[28:29], v70
	v_lshrrev_b32_e32 v5, 27, v5
	v_add_nc_u32_e32 v86, 0xfffffe00, v84
	v_ashrrev_i32_e32 v112, 31, v101
	s_ashr_i32 s3, s2, 31
	v_cmp_eq_u32_e32 vcc_lo, 32, v1
	v_add_nc_u32_e32 v5, v0, v5
	v_ashrrev_i32_e32 v97, 31, v86
	s_lshr_b32 s3, s3, 25
	v_cmp_eq_u64_e64 s7, 0, v[32:33]
	s_add_i32 s2, s2, s3
	v_ashrrev_i32_e32 v71, 5, v5
	v_cmp_ne_u64_e64 s10, 0, v[32:33]
	s_ashr_i32 s23, s2, 7
	v_ashrrev_i32_e32 v80, 31, v68
	v_cmp_ne_u32_e64 s2, 32, v1
	v_cmp_ne_u32_e64 s3, v69, v1
	s_cmp_gt_i32 s18, 2
	v_mov_b32_e32 v119, 1
	s_cselect_b32 s24, -1, 0
	s_add_i32 s26, s18, -2
	s_xor_b32 s27, vcc_lo, -1
	v_ldexp_f64 v[3:4], v[3:4], 32
	s_delay_alu instid0(VALU_DEP_1) | instskip(SKIP_2) | instid1(VALU_DEP_2)
	v_add_f64 v[3:4], v[3:4], v[28:29]
	v_and_b32_e32 v28, 0xffffffe0, v5
	v_lshlrev_b32_e32 v5, 11, v71
	v_sub_nc_u32_e32 v81, v0, v28
	v_lshl_add_u32 v28, v82, 11, 0xfffff800
	s_delay_alu instid0(VALU_DEP_2) | instskip(NEXT) | instid1(VALU_DEP_2)
	v_cmp_gt_i32_e64 s4, 1, v81
	v_ashrrev_i32_e32 v29, 31, v28
	v_add_co_u32 v87, s6, 0x800, v28
	v_lshl_add_u32 v28, v82, 10, 0xfffffc00
	v_cmp_le_i32_e64 s5, v81, v50
	s_delay_alu instid0(VALU_DEP_4) | instskip(SKIP_1) | instid1(VALU_DEP_1)
	v_add_co_ci_u32_e64 v96, s6, 0, v29, s6
	v_add_co_u32 v99, s6, 0x200, v86
	v_add_co_ci_u32_e64 v100, s6, 0, v97, s6
	v_add_co_u32 v102, s6, 0x400, v28
	v_cmp_lt_i32_e64 s11, v81, v50
	v_max_f64 v[38:39], v[3:4], v[3:4]
	v_ashrrev_i32_e32 v3, 31, v28
	v_mov_b32_e32 v28, v48
	v_lshl_add_u32 v83, v81, 4, v5
	v_mov_b32_e32 v29, v49
	s_delay_alu instid0(VALU_DEP_4) | instskip(SKIP_2) | instid1(VALU_DEP_1)
	v_add_co_ci_u32_e64 v103, s6, 0, v3, s6
	v_lshl_add_u32 v3, v82, 12, 0xfffff000
	v_add_co_u32 v114, s6, v101, 32
	v_add_co_ci_u32_e64 v115, s6, 0, v112, s6
	s_delay_alu instid0(VALU_DEP_3) | instskip(SKIP_3) | instid1(VALU_DEP_4)
	v_ashrrev_i32_e32 v4, 31, v3
	v_add_nc_u32_e32 v113, v83, v5
	v_add_co_u32 v117, s6, 0x1000, v3
	v_ashrrev_i32_e32 v85, 31, v83
	v_add_co_ci_u32_e64 v118, s6, 0, v4, s6
	v_cmp_eq_u32_e64 s6, 1, v2
	v_ashrrev_i32_e32 v116, 31, v113
	s_delay_alu instid0(VALU_DEP_2)
	s_xor_b32 s25, s6, -1
.LBB16_93:                              ; =>This Loop Header: Depth=1
                                        ;     Child Loop BB16_96 Depth 2
                                        ;       Child Loop BB16_105 Depth 3
                                        ;       Child Loop BB16_132 Depth 3
	;; [unrolled: 1-line block ×5, first 2 shown]
                                        ;         Child Loop BB16_187 Depth 4
                                        ;       Child Loop BB16_198 Depth 3
                                        ;       Child Loop BB16_204 Depth 3
                                        ;         Child Loop BB16_205 Depth 4
                                        ;       Child Loop BB16_219 Depth 3
                                        ;       Child Loop BB16_225 Depth 3
	;; [unrolled: 1-line block ×6, first 2 shown]
                                        ;     Child Loop BB16_300 Depth 2
                                        ;       Child Loop BB16_306 Depth 3
                                        ;       Child Loop BB16_333 Depth 3
	;; [unrolled: 1-line block ×3, first 2 shown]
                                        ;     Child Loop BB16_383 Depth 2
                                        ;       Child Loop BB16_392 Depth 3
                                        ;       Child Loop BB16_419 Depth 3
	;; [unrolled: 1-line block ×9, first 2 shown]
                                        ;     Child Loop BB16_546 Depth 2
                                        ;       Child Loop BB16_552 Depth 3
                                        ;       Child Loop BB16_579 Depth 3
	;; [unrolled: 1-line block ×3, first 2 shown]
                                        ;     Child Loop BB16_628 Depth 2
                                        ;       Child Loop BB16_630 Depth 3
                                        ;         Child Loop BB16_639 Depth 4
                                        ;         Child Loop BB16_671 Depth 4
	;; [unrolled: 1-line block ×5, first 2 shown]
                                        ;           Child Loop BB16_726 Depth 5
                                        ;         Child Loop BB16_737 Depth 4
                                        ;         Child Loop BB16_743 Depth 4
                                        ;           Child Loop BB16_744 Depth 5
                                        ;         Child Loop BB16_758 Depth 4
                                        ;         Child Loop BB16_764 Depth 4
	;; [unrolled: 1-line block ×6, first 2 shown]
                                        ;       Child Loop BB16_839 Depth 3
                                        ;         Child Loop BB16_845 Depth 4
                                        ;         Child Loop BB16_877 Depth 4
	;; [unrolled: 1-line block ×3, first 2 shown]
                                        ;     Child Loop BB16_927 Depth 2
                                        ;       Child Loop BB16_936 Depth 3
                                        ;       Child Loop BB16_963 Depth 3
	;; [unrolled: 1-line block ×9, first 2 shown]
                                        ;     Child Loop BB16_1088 Depth 2
                                        ;       Child Loop BB16_1094 Depth 3
                                        ;       Child Loop BB16_1121 Depth 3
                                        ;       Child Loop BB16_1148 Depth 3
	flat_load_b32 v36, v[18:19]
	v_sub_co_u32 v4, vcc_lo, v6, v48
	v_sub_co_ci_u32_e32 v2, vcc_lo, v7, v49, vcc_lo
	v_add_co_u32 v50, vcc_lo, v48, v16
	s_delay_alu instid0(VALU_DEP_3) | instskip(NEXT) | instid1(VALU_DEP_3)
	v_cvt_f64_u32_e32 v[4:5], v4
	v_cvt_f64_u32_e32 v[2:3], v2
	v_add_co_ci_u32_e32 v51, vcc_lo, v49, v17, vcc_lo
	s_mov_b32 s13, exec_lo
	s_delay_alu instid0(VALU_DEP_2) | instskip(NEXT) | instid1(VALU_DEP_1)
	v_ldexp_f64 v[2:3], v[2:3], 32
	v_add_f64 v[2:3], v[2:3], v[4:5]
	s_delay_alu instid0(VALU_DEP_1) | instskip(NEXT) | instid1(VALU_DEP_1)
	v_min_f64 v[2:3], v[38:39], v[2:3]
	v_cvt_i32_f64_e32 v52, v[2:3]
	s_delay_alu instid0(VALU_DEP_1) | instskip(SKIP_1) | instid1(VALU_DEP_2)
	v_max_i32_e32 v128, 0, v52
	v_cmp_lt_i32_e64 s12, 0, v52
	v_add_nc_u32_e32 v2, 31, v128
	s_delay_alu instid0(VALU_DEP_1) | instskip(NEXT) | instid1(VALU_DEP_1)
	v_ashrrev_i32_e32 v3, 31, v2
	v_lshrrev_b32_e32 v3, 27, v3
	s_waitcnt vmcnt(0) lgkmcnt(0)
	v_ashrrev_i32_e32 v4, 31, v36
	v_mul_lo_u32 v5, v67, v36
	v_mad_u64_u32 v[54:55], null, v66, v36, v[50:51]
	v_add_nc_u32_e32 v36, v2, v3
	s_delay_alu instid0(VALU_DEP_4) | instskip(SKIP_2) | instid1(VALU_DEP_4)
	v_mul_lo_u32 v4, v66, v4
	v_add_co_u32 v2, vcc_lo, v10, v50
	v_add_co_ci_u32_e32 v3, vcc_lo, v11, v51, vcc_lo
	v_ashrrev_i32_e32 v36, 5, v36
	s_delay_alu instid0(VALU_DEP_4) | instskip(SKIP_1) | instid1(VALU_DEP_3)
	v_add3_u32 v55, v5, v55, v4
	v_add_co_u32 v4, vcc_lo, v8, v54
	v_lshlrev_b32_e32 v36, 4, v36
	s_delay_alu instid0(VALU_DEP_3) | instskip(NEXT) | instid1(VALU_DEP_2)
	v_add_co_ci_u32_e32 v5, vcc_lo, v9, v55, vcc_lo
	v_max_i32_e32 v129, s23, v36
	s_delay_alu instid0(VALU_DEP_2)
	v_cmpx_ne_u64_e64 v[2:3], v[4:5]
	s_xor_b32 s28, exec_lo, s13
                                        ; implicit-def: $vgpr58 : SGPR spill to VGPR lane
	s_cbranch_execz .LBB16_380
; %bb.94:                               ;   in Loop: Header=BB16_93 Depth=1
	v_mov_b32_e32 v2, 0
	v_mov_b32_e32 v52, v129
	;; [unrolled: 1-line block ×3, first 2 shown]
	s_mov_b32 vcc_hi, 0
	s_and_saveexec_b32 s29, s12
	s_cbranch_execz .LBB16_298
; %bb.95:                               ;   in Loop: Header=BB16_93 Depth=1
	v_mov_b32_e32 v130, 0
	v_mov_b32_e32 v52, v129
	s_mov_b32 s15, 1
	s_mov_b32 s14, -1
.LBB16_96:                              ;   Parent Loop BB16_93 Depth=1
                                        ; =>  This Loop Header: Depth=2
                                        ;       Child Loop BB16_105 Depth 3
                                        ;       Child Loop BB16_132 Depth 3
	;; [unrolled: 1-line block ×5, first 2 shown]
                                        ;         Child Loop BB16_187 Depth 4
                                        ;       Child Loop BB16_198 Depth 3
                                        ;       Child Loop BB16_204 Depth 3
                                        ;         Child Loop BB16_205 Depth 4
                                        ;       Child Loop BB16_219 Depth 3
                                        ;       Child Loop BB16_225 Depth 3
	;; [unrolled: 1-line block ×6, first 2 shown]
	s_and_saveexec_b32 s16, s0
	s_cbranch_execz .LBB16_99
; %bb.97:                               ;   in Loop: Header=BB16_96 Depth=2
	s_cbranch_execnz .LBB16_1226
; %bb.98:                               ;   in Loop: Header=BB16_96 Depth=2
	ds_load_2addr_b64 v[2:5], v0 offset1:1
	ds_load_b64 v[64:65], v0
	v_ashrrev_i32_e32 v36, 31, v130
	s_waitcnt lgkmcnt(1)
	v_add_co_u32 v2, vcc_lo, v2, v50
	v_add_co_ci_u32_e32 v3, vcc_lo, v3, v51, vcc_lo
	v_add_co_u32 v4, vcc_lo, v4, v54
	v_add_co_ci_u32_e32 v5, vcc_lo, v5, v55, vcc_lo
	s_waitcnt lgkmcnt(0)
	v_add_co_u32 v53, vcc_lo, v64, v54
	v_add_co_ci_u32_e32 v131, vcc_lo, v65, v55, vcc_lo
	v_add_co_u32 v2, vcc_lo, v2, v130
	v_add_co_ci_u32_e32 v3, vcc_lo, v3, v36, vcc_lo
	s_delay_alu instid0(VALU_DEP_4) | instskip(NEXT) | instid1(VALU_DEP_4)
	v_add_co_u32 v53, vcc_lo, v53, v130
	v_add_co_ci_u32_e32 v131, vcc_lo, v131, v36, vcc_lo
	v_cmp_ne_u64_e32 vcc_lo, 0, v[64:65]
	v_add_co_u32 v4, s13, v4, v130
	s_delay_alu instid0(VALU_DEP_1) | instskip(NEXT) | instid1(VALU_DEP_4)
	v_add_co_ci_u32_e64 v5, s13, v5, v36, s13
	v_dual_cndmask_b32 v65, 0, v131 :: v_dual_cndmask_b32 v64, 0, v53
	ds_store_b64 v0, v[2:3]
	ds_store_b64 v0, v[4:5]
	;; [unrolled: 1-line block ×3, first 2 shown]
.LBB16_99:                              ;   in Loop: Header=BB16_96 Depth=2
	s_or_b32 exec_lo, exec_lo, s16
	v_and_b32_e32 v2, 8, v30
	s_mov_b32 s16, -1
	s_mov_b32 s13, exec_lo
	s_delay_alu instid0(VALU_DEP_1)
	v_cmpx_ne_u32_e32 0, v2
	s_cbranch_execz .LBB16_113
; %bb.100:                              ;   in Loop: Header=BB16_96 Depth=2
	v_add_co_u32 v4, vcc_lo, v34, 8
	v_add_co_ci_u32_e32 v5, vcc_lo, 0, v35, vcc_lo
	v_add_co_u32 v2, vcc_lo, v14, 2
	v_add_co_ci_u32_e32 v3, vcc_lo, 0, v15, vcc_lo
	s_delay_alu instid0(VALU_DEP_1)
	v_cmp_lt_u64_e32 vcc_lo, v[4:5], v[2:3]
	v_mov_b32_e32 v4, 1
	s_and_saveexec_b32 s16, vcc_lo
	s_cbranch_execz .LBB16_112
; %bb.101:                              ;   in Loop: Header=BB16_96 Depth=2
	v_mov_b32_e32 v4, 0
	s_mov_b32 s17, 0
                                        ; implicit-def: $sgpr30
	s_branch .LBB16_105
.LBB16_102:                             ;   in Loop: Header=BB16_105 Depth=3
	s_or_b32 exec_lo, exec_lo, s36
	v_mov_b32_e32 v5, 0
	s_or_not1_b32 s35, s35, exec_lo
.LBB16_103:                             ;   in Loop: Header=BB16_105 Depth=3
	s_or_b32 exec_lo, exec_lo, s34
	s_delay_alu instid0(VALU_DEP_1) | instskip(SKIP_2) | instid1(SALU_CYCLE_1)
	v_mov_b32_e32 v4, v5
	s_and_not1_b32 vcc_lo, s30, exec_lo
	s_and_b32 s30, s35, exec_lo
	s_or_b32 s30, vcc_lo, s30
.LBB16_104:                             ;   in Loop: Header=BB16_105 Depth=3
	s_or_b32 exec_lo, exec_lo, s31
	s_waitcnt vmcnt(0) lgkmcnt(0)
	v_add_co_u32 v64, vcc_lo, v34, 8
	v_add_co_ci_u32_e32 v65, vcc_lo, 0, v35, vcc_lo
	s_xor_b32 s31, s30, -1
	s_delay_alu instid0(VALU_DEP_1) | instskip(SKIP_1) | instid1(SALU_CYCLE_1)
	v_cmp_ge_u64_e32 vcc_lo, v[64:65], v[2:3]
	s_or_b32 vcc_lo, s31, vcc_lo
	s_and_b32 vcc_lo, exec_lo, vcc_lo
	s_delay_alu instid0(SALU_CYCLE_1) | instskip(NEXT) | instid1(SALU_CYCLE_1)
	s_or_b32 s17, vcc_lo, s17
	s_and_not1_b32 exec_lo, exec_lo, s17
	s_cbranch_execz .LBB16_111
.LBB16_105:                             ;   Parent Loop BB16_93 Depth=1
                                        ;     Parent Loop BB16_96 Depth=2
                                        ; =>    This Inner Loop Header: Depth=3
	s_sleep 1
	flat_load_b64 v[34:35], v[24:25] glc
	v_and_b32_e32 v5, 64, v30
	s_and_not1_b32 s30, s30, exec_lo
	s_mov_b32 s31, exec_lo
	s_delay_alu instid0(VALU_DEP_1)
	v_cmpx_eq_u32_e32 0, v5
	s_cbranch_execz .LBB16_104
; %bb.106:                              ;   in Loop: Header=BB16_105 Depth=3
	v_add_nc_u32_e32 v5, 1, v4
	s_mov_b32 s35, -1
	s_mov_b32 s34, exec_lo
	v_cmpx_lt_i32_e32 0x270e, v4
	s_cbranch_execz .LBB16_103
; %bb.107:                              ;   in Loop: Header=BB16_105 Depth=3
	s_cbranch_execnz .LBB16_1238
; %bb.108:                              ;   in Loop: Header=BB16_105 Depth=3
	ds_load_b64 v[4:5], v0
	s_mov_b32 s36, exec_lo
	s_waitcnt vmcnt(0) lgkmcnt(0)
	s_waitcnt_vscnt null, 0x0
	flat_load_b32 v4, v[4:5] glc
	s_waitcnt vmcnt(0) lgkmcnt(0)
	buffer_gl1_inv
	buffer_gl0_inv
	v_cmpx_ne_u32_e32 0, v4
	s_cbranch_execz .LBB16_102
; %bb.109:                              ;   in Loop: Header=BB16_105 Depth=3
	ds_store_b32 v0, v4
	s_cbranch_execnz .LBB16_1291
; %bb.110:                              ;   in Loop: Header=BB16_105 Depth=3
	v_or_b32_e32 v30, 64, v30
	s_xor_b32 s35, exec_lo, -1
	s_branch .LBB16_102
.LBB16_111:                             ;   in Loop: Header=BB16_96 Depth=2
	s_or_b32 exec_lo, exec_lo, s17
	v_and_b32_e32 v4, 8, v30
.LBB16_112:                             ;   in Loop: Header=BB16_96 Depth=2
	s_or_b32 exec_lo, exec_lo, s16
	s_delay_alu instid0(VALU_DEP_1)
	v_cmp_eq_u32_e32 vcc_lo, 0, v4
	;;#ASMSTART
	s_wakeup
	;;#ASMEND
	s_or_not1_b32 s16, vcc_lo, exec_lo
.LBB16_113:                             ;   in Loop: Header=BB16_96 Depth=2
	s_or_b32 exec_lo, exec_lo, s13
	v_sub_nc_u32_e32 v2, v128, v130
	s_xor_b32 s13, s16, -1
	s_delay_alu instid0(VALU_DEP_1)
	v_min_i32_e32 v52, v52, v2
	s_and_saveexec_b32 s16, s13
	s_cbranch_execz .LBB16_123
; %bb.114:                              ;   in Loop: Header=BB16_96 Depth=2
	v_and_b32_e32 v2, 0x100, v30
	v_and_b32_e32 v36, 7, v14
	s_mov_b32 s13, -1
	s_delay_alu instid0(VALU_DEP_2)
	v_cmp_ne_u32_e32 vcc_lo, 0, v2
                                        ; implicit-def: $vgpr2_vgpr3
	s_and_saveexec_b32 s17, vcc_lo
	s_cbranch_execz .LBB16_118
; %bb.115:                              ;   in Loop: Header=BB16_96 Depth=2
	v_mad_u64_u32 v[4:5], null, v36, 24, v[12:13]
	v_ashrrev_i32_e32 v53, 31, v52
	flat_load_b32 v2, v[4:5]
	flat_store_b64 v[4:5], v[52:53] offset:8
	s_waitcnt vmcnt(0) lgkmcnt(1)
	v_cmp_ne_u32_e32 vcc_lo, 1, v2
	v_cmp_eq_u32_e64 s13, 1, v2
                                        ; implicit-def: $vgpr2_vgpr3
	s_delay_alu instid0(VALU_DEP_1)
	s_and_saveexec_b32 s30, s13
	s_cbranch_execz .LBB16_117
; %bb.116:                              ;   in Loop: Header=BB16_96 Depth=2
	flat_load_b32 v2, v[4:5] offset:4 glc
	s_waitcnt vmcnt(0) lgkmcnt(0)
	v_ashrrev_i32_e32 v3, 31, v2
.LBB16_117:                             ;   in Loop: Header=BB16_96 Depth=2
	s_or_b32 exec_lo, exec_lo, s30
	s_delay_alu instid0(SALU_CYCLE_1)
	s_or_not1_b32 s13, vcc_lo, exec_lo
.LBB16_118:                             ;   in Loop: Header=BB16_96 Depth=2
	s_or_b32 exec_lo, exec_lo, s17
	s_and_saveexec_b32 s17, s13
; %bb.119:                              ;   in Loop: Header=BB16_96 Depth=2
	v_mad_i64_i32 v[2:3], null, v36, v68, 0
; %bb.120:                              ;   in Loop: Header=BB16_96 Depth=2
	s_or_b32 exec_lo, exec_lo, s17
	s_delay_alu instid0(VALU_DEP_1) | instskip(SKIP_1) | instid1(VALU_DEP_3)
	v_add_co_u32 v2, vcc_lo, v26, v2
	v_and_b32_e32 v4, 0x2000, v30
	v_add_co_ci_u32_e32 v3, vcc_lo, v27, v3, vcc_lo
	s_mov_b32 s13, exec_lo
	ds_store_b64 v0, v[2:3] offset:792
	v_cmpx_ne_u32_e32 0, v4
	s_cbranch_execz .LBB16_122
; %bb.121:                              ;   in Loop: Header=BB16_96 Depth=2
	ds_load_b64 v[2:3], v0 offset:584
	s_waitcnt lgkmcnt(0)
	v_add_co_u32 v2, vcc_lo, v2, 1
	v_add_co_ci_u32_e32 v3, vcc_lo, 0, v3, vcc_lo
	ds_store_b64 v0, v[2:3] offset:584
.LBB16_122:                             ;   in Loop: Header=BB16_96 Depth=2
	s_or_b32 exec_lo, exec_lo, s13
	v_add_co_u32 v14, vcc_lo, v14, 2
	v_add_co_ci_u32_e32 v15, vcc_lo, 0, v15, vcc_lo
.LBB16_123:                             ;   in Loop: Header=BB16_96 Depth=2
	s_or_b32 exec_lo, exec_lo, s16
	s_and_saveexec_b32 s13, s2
	s_cbranch_execz .LBB16_145
; %bb.124:                              ;   in Loop: Header=BB16_96 Depth=2
	s_and_saveexec_b32 s16, s3
	s_delay_alu instid0(SALU_CYCLE_1)
	s_xor_b32 s16, exec_lo, s16
	s_cbranch_execz .LBB16_142
; %bb.125:                              ;   in Loop: Header=BB16_96 Depth=2
	s_and_saveexec_b32 s17, s1
	s_cbranch_execz .LBB16_141
; %bb.126:                              ;   in Loop: Header=BB16_96 Depth=2
	s_mov_b32 s31, exec_lo
	s_mov_b32 s30, exec_lo
	v_mbcnt_lo_u32_b32 v2, s31, 0
	s_waitcnt lgkmcnt(0)
	s_waitcnt_vscnt null, 0x0
	buffer_gl1_inv
	buffer_gl0_inv
	v_cmpx_eq_u32_e32 0, v2
	s_cbranch_execz .LBB16_128
; %bb.127:                              ;   in Loop: Header=BB16_96 Depth=2
	s_bcnt1_i32_b32 vcc_lo, s31
	s_delay_alu instid0(SALU_CYCLE_1)
	v_mov_b32_e32 v36, vcc_lo
	ds_add_u64 v0, v[36:37]
	s_cbranch_execnz .LBB16_1309
.LBB16_128:                             ;   in Loop: Header=BB16_96 Depth=2
	s_or_b32 exec_lo, exec_lo, s30
	s_cbranch_execnz .LBB16_1295
; %bb.129:                              ;   in Loop: Header=BB16_96 Depth=2
	ds_load_b64 v[2:3], v0
	v_add_co_u32 v28, vcc_lo, v28, v82
	v_add_co_ci_u32_e32 v29, vcc_lo, 0, v29, vcc_lo
	s_mov_b32 s30, exec_lo
	s_waitcnt lgkmcnt(0)
	s_delay_alu instid0(VALU_DEP_1)
	v_cmpx_lt_u64_e64 v[2:3], v[28:29]
	s_cbranch_execz .LBB16_140
; %bb.130:                              ;   in Loop: Header=BB16_96 Depth=2
	s_mov_b32 s31, 0
	s_mov_b32 s36, 0
                                        ; implicit-def: $sgpr34
                                        ; implicit-def: $sgpr35
	s_branch .LBB16_132
.LBB16_131:                             ;   in Loop: Header=BB16_132 Depth=3
	s_or_b32 exec_lo, exec_lo, s38
	s_delay_alu instid0(SALU_CYCLE_1) | instskip(NEXT) | instid1(SALU_CYCLE_1)
	s_and_b32 vcc_lo, exec_lo, vcc_lo
	s_or_b32 s31, vcc_lo, s31
	s_and_not1_b32 vcc_lo, s34, exec_lo
	s_and_b32 s34, s35, exec_lo
	s_delay_alu instid0(SALU_CYCLE_1)
	s_or_b32 s34, vcc_lo, s34
	s_and_not1_b32 exec_lo, exec_lo, s31
	s_cbranch_execz .LBB16_138
.LBB16_132:                             ;   Parent Loop BB16_93 Depth=1
                                        ;     Parent Loop BB16_96 Depth=2
                                        ; =>    This Inner Loop Header: Depth=3
	s_add_i32 s36, s36, 1
                                        ; implicit-def: $sgpr38
	s_delay_alu instid0(SALU_CYCLE_1) | instskip(SKIP_1) | instid1(SALU_CYCLE_1)
	s_cmpk_lg_i32 s36, 0x2710
	s_cselect_b32 s37, -1, 0
	s_and_b32 vcc_lo, exec_lo, s37
	s_cbranch_vccz .LBB16_136
.LBB16_133:                             ;   in Loop: Header=BB16_132 Depth=3
	s_and_not1_b32 s35, s35, exec_lo
	s_and_b32 s38, s38, exec_lo
	s_mov_b32 vcc_lo, -1
	s_or_b32 s35, s35, s38
	s_and_saveexec_b32 s38, s37
	s_cbranch_execz .LBB16_131
; %bb.134:                              ;   in Loop: Header=BB16_132 Depth=3
	s_sleep 1
	s_cbranch_execnz .LBB16_1359
; %bb.135:                              ;   in Loop: Header=BB16_132 Depth=3
	ds_load_b64 v[2:3], v0
	s_and_not1_b32 s35, s35, exec_lo
	s_waitcnt lgkmcnt(0)
	v_cmp_ge_u64_e32 vcc_lo, v[2:3], v[28:29]
	s_or_not1_b32 vcc_lo, vcc_lo, exec_lo
	s_branch .LBB16_131
.LBB16_136:                             ;   in Loop: Header=BB16_132 Depth=3
	s_cbranch_execnz .LBB16_1369
; %bb.137:                              ;   in Loop: Header=BB16_132 Depth=3
	ds_load_b64 v[2:3], v0
	s_and_not1_b32 s37, s37, exec_lo
	s_mov_b32 s36, 0
	s_mov_b32 s38, -1
	s_waitcnt lgkmcnt(0)
	flat_load_b32 v2, v[2:3] glc
	s_waitcnt vmcnt(0) lgkmcnt(0)
	buffer_gl1_inv
	buffer_gl0_inv
	v_cmp_eq_u32_e32 vcc_lo, 0, v2
	s_and_b32 vcc_lo, vcc_lo, exec_lo
	s_delay_alu instid0(SALU_CYCLE_1)
	s_or_b32 s37, s37, vcc_lo
	s_branch .LBB16_133
.LBB16_138:                             ;   in Loop: Header=BB16_96 Depth=2
	s_or_b32 exec_lo, exec_lo, s31
	s_and_saveexec_b32 vcc_lo, s34
	s_delay_alu instid0(SALU_CYCLE_1)
	s_xor_b32 vcc_lo, exec_lo, vcc_lo
	s_cbranch_execz .LBB16_140
; %bb.139:                              ;   in Loop: Header=BB16_96 Depth=2
	ds_store_b32 v0, v119
	s_cbranch_execnz .LBB16_1564
.LBB16_140:                             ;   in Loop: Header=BB16_96 Depth=2
	s_or_b32 exec_lo, exec_lo, s30
	;;#ASMSTART
	s_wakeup
	;;#ASMEND
.LBB16_141:                             ;   in Loop: Header=BB16_96 Depth=2
	s_or_b32 exec_lo, exec_lo, s17
.LBB16_142:                             ;   in Loop: Header=BB16_96 Depth=2
	s_and_not1_saveexec_b32 s16, s16
	s_cbranch_execz .LBB16_144
; %bb.143:                              ;   in Loop: Header=BB16_96 Depth=2
	s_waitcnt lgkmcnt(0)
	s_waitcnt_vscnt null, 0x0
	buffer_gl1_inv
	buffer_gl0_inv
	s_barrier
.LBB16_144:                             ;   in Loop: Header=BB16_96 Depth=2
	s_or_b32 exec_lo, exec_lo, s16
.LBB16_145:                             ;   in Loop: Header=BB16_96 Depth=2
	s_delay_alu instid0(SALU_CYCLE_1)
	s_or_b32 exec_lo, exec_lo, s13
	s_cbranch_execnz .LBB16_1222
; %bb.146:                              ;   in Loop: Header=BB16_96 Depth=2
	ds_load_b32 v2, v0
	v_and_b32_e32 v3, 0x4000, v30
	v_writelane_b32 v58, s15, 0
	s_delay_alu instid0(VALU_DEP_2) | instskip(SKIP_2) | instid1(SALU_CYCLE_1)
	v_cmp_ne_u32_e32 vcc_lo, 0, v3
	v_writelane_b32 v58, s14, 1
	s_and_b32 s14, s27, vcc_lo
	s_and_saveexec_b32 s13, s14
	s_cbranch_execz .LBB16_168
; %bb.147:                              ;   in Loop: Header=BB16_96 Depth=2
	s_and_saveexec_b32 s14, s3
	s_delay_alu instid0(SALU_CYCLE_1)
	s_xor_b32 s14, exec_lo, s14
	s_cbranch_execz .LBB16_165
; %bb.148:                              ;   in Loop: Header=BB16_96 Depth=2
	s_and_saveexec_b32 s15, s1
	s_cbranch_execz .LBB16_164
; %bb.149:                              ;   in Loop: Header=BB16_96 Depth=2
	s_mov_b32 s17, exec_lo
	s_mov_b32 s16, exec_lo
	v_mbcnt_lo_u32_b32 v3, s17, 0
	s_waitcnt lgkmcnt(0)
	s_waitcnt_vscnt null, 0x0
	buffer_gl1_inv
	buffer_gl0_inv
	v_cmpx_eq_u32_e32 0, v3
	s_cbranch_execz .LBB16_151
; %bb.150:                              ;   in Loop: Header=BB16_96 Depth=2
	s_bcnt1_i32_b32 s17, s17
	s_delay_alu instid0(SALU_CYCLE_1)
	v_mov_b32_e32 v36, s17
	ds_add_u64 v0, v[36:37]
	s_cbranch_execnz .LBB16_1353
.LBB16_151:                             ;   in Loop: Header=BB16_96 Depth=2
	s_or_b32 exec_lo, exec_lo, s16
	s_cbranch_execnz .LBB16_1331
; %bb.152:                              ;   in Loop: Header=BB16_96 Depth=2
	ds_load_b64 v[3:4], v0
	v_add_co_u32 v28, vcc_lo, v28, v82
	v_add_co_ci_u32_e32 v29, vcc_lo, 0, v29, vcc_lo
	s_mov_b32 s16, exec_lo
	s_waitcnt lgkmcnt(0)
	s_delay_alu instid0(VALU_DEP_1)
	v_cmpx_lt_u64_e64 v[3:4], v[28:29]
	s_cbranch_execz .LBB16_163
; %bb.153:                              ;   in Loop: Header=BB16_96 Depth=2
	s_mov_b32 s17, 0
	s_mov_b32 s34, 0
                                        ; implicit-def: $sgpr30
                                        ; implicit-def: $sgpr31
	s_branch .LBB16_155
.LBB16_154:                             ;   in Loop: Header=BB16_155 Depth=3
	s_or_b32 exec_lo, exec_lo, s36
	s_delay_alu instid0(SALU_CYCLE_1) | instskip(NEXT) | instid1(SALU_CYCLE_1)
	s_and_b32 vcc_lo, exec_lo, vcc_lo
	s_or_b32 s17, vcc_lo, s17
	s_and_not1_b32 vcc_lo, s30, exec_lo
	s_and_b32 s30, s31, exec_lo
	s_delay_alu instid0(SALU_CYCLE_1)
	s_or_b32 s30, vcc_lo, s30
	s_and_not1_b32 exec_lo, exec_lo, s17
	s_cbranch_execz .LBB16_161
.LBB16_155:                             ;   Parent Loop BB16_93 Depth=1
                                        ;     Parent Loop BB16_96 Depth=2
                                        ; =>    This Inner Loop Header: Depth=3
	s_add_i32 s34, s34, 1
                                        ; implicit-def: $sgpr36
	s_delay_alu instid0(SALU_CYCLE_1) | instskip(SKIP_1) | instid1(SALU_CYCLE_1)
	s_cmpk_lg_i32 s34, 0x2710
	s_cselect_b32 s35, -1, 0
	s_and_b32 vcc_lo, exec_lo, s35
	s_cbranch_vccz .LBB16_159
.LBB16_156:                             ;   in Loop: Header=BB16_155 Depth=3
	s_and_not1_b32 s31, s31, exec_lo
	s_and_b32 s36, s36, exec_lo
	s_mov_b32 vcc_lo, -1
	s_or_b32 s31, s31, s36
	s_and_saveexec_b32 s36, s35
	s_cbranch_execz .LBB16_154
; %bb.157:                              ;   in Loop: Header=BB16_155 Depth=3
	s_sleep 1
	s_cbranch_execnz .LBB16_1405
; %bb.158:                              ;   in Loop: Header=BB16_155 Depth=3
	ds_load_b64 v[3:4], v0
	s_and_not1_b32 s31, s31, exec_lo
	s_waitcnt lgkmcnt(0)
	v_cmp_ge_u64_e32 vcc_lo, v[3:4], v[28:29]
	s_or_not1_b32 vcc_lo, vcc_lo, exec_lo
	s_branch .LBB16_154
.LBB16_159:                             ;   in Loop: Header=BB16_155 Depth=3
	s_cbranch_execnz .LBB16_1425
; %bb.160:                              ;   in Loop: Header=BB16_155 Depth=3
	ds_load_b64 v[3:4], v0
	s_and_not1_b32 s35, s35, exec_lo
	s_mov_b32 s34, 0
	s_mov_b32 s36, -1
	s_waitcnt lgkmcnt(0)
	flat_load_b32 v3, v[3:4] glc
	s_waitcnt vmcnt(0) lgkmcnt(0)
	buffer_gl1_inv
	buffer_gl0_inv
	v_cmp_eq_u32_e32 vcc_lo, 0, v3
	s_and_b32 vcc_lo, vcc_lo, exec_lo
	s_delay_alu instid0(SALU_CYCLE_1)
	s_or_b32 s35, s35, vcc_lo
	s_branch .LBB16_156
.LBB16_161:                             ;   in Loop: Header=BB16_96 Depth=2
	s_or_b32 exec_lo, exec_lo, s17
	s_and_saveexec_b32 s17, s30
	s_delay_alu instid0(SALU_CYCLE_1)
	s_xor_b32 s17, exec_lo, s17
	s_cbranch_execz .LBB16_163
; %bb.162:                              ;   in Loop: Header=BB16_96 Depth=2
	ds_store_b32 v0, v119
	s_cbranch_execnz .LBB16_1578
.LBB16_163:                             ;   in Loop: Header=BB16_96 Depth=2
	s_or_b32 exec_lo, exec_lo, s16
	;;#ASMSTART
	s_wakeup
	;;#ASMEND
.LBB16_164:                             ;   in Loop: Header=BB16_96 Depth=2
	s_or_b32 exec_lo, exec_lo, s15
.LBB16_165:                             ;   in Loop: Header=BB16_96 Depth=2
	s_and_not1_saveexec_b32 s14, s14
	s_cbranch_execz .LBB16_167
; %bb.166:                              ;   in Loop: Header=BB16_96 Depth=2
	s_waitcnt lgkmcnt(0)
	s_waitcnt_vscnt null, 0x0
	buffer_gl1_inv
	buffer_gl0_inv
	s_barrier
.LBB16_167:                             ;   in Loop: Header=BB16_96 Depth=2
	s_or_b32 exec_lo, exec_lo, s14
.LBB16_168:                             ;   in Loop: Header=BB16_96 Depth=2
	s_delay_alu instid0(SALU_CYCLE_1)
	s_or_b32 exec_lo, exec_lo, s13
	s_cbranch_execnz .LBB16_1240
; %bb.169:                              ;   in Loop: Header=BB16_96 Depth=2
	ds_load_b64 v[3:4], v0
	v_mov_b32_e32 v53, 0
	s_waitcnt lgkmcnt(0)
	v_cmp_eq_u64_e32 vcc_lo, 0, v[3:4]
	s_or_b32 s13, vcc_lo, vcc_lo
	s_delay_alu instid0(SALU_CYCLE_1)
	s_and_b32 vcc_lo, exec_lo, s13
	s_cbranch_vccnz .LBB16_244
; %bb.170:                              ;   in Loop: Header=BB16_96 Depth=2
	v_cmp_eq_u32_e32 vcc_lo, 0, v2
	s_cbranch_execnz .LBB16_1293
; %bb.171:                              ;   in Loop: Header=BB16_96 Depth=2
	ds_load_b64 v[2:3], v0
	v_cndmask_b32_e32 v53, 0, v52, vcc_lo
	s_waitcnt lgkmcnt(0)
	v_cmp_ne_u64_e64 s13, 0, v[2:3]
	s_delay_alu instid0(VALU_DEP_1)
	s_and_b32 vcc_lo, exec_lo, s13
	s_cbranch_vccz .LBB16_209
; %bb.172:                              ;   in Loop: Header=BB16_96 Depth=2
	s_mov_b32 s13, -1
	s_and_saveexec_b32 s14, s4
	s_cbranch_execz .LBB16_174
; %bb.173:                              ;   in Loop: Header=BB16_96 Depth=2
	ds_load_b32 v2, v0 offset:720
	s_waitcnt lgkmcnt(0)
	v_and_b32_e32 v2, 15, v2
	s_delay_alu instid0(VALU_DEP_1)
	v_cmp_eq_u32_e32 vcc_lo, 0, v2
	s_or_not1_b32 s13, vcc_lo, exec_lo
.LBB16_174:                             ;   in Loop: Header=BB16_96 Depth=2
	s_or_b32 exec_lo, exec_lo, s14
	s_and_saveexec_b32 s14, s5
	s_cbranch_execz .LBB16_176
; %bb.175:                              ;   in Loop: Header=BB16_96 Depth=2
	ds_load_b32 v2, v0 offset:784
	s_waitcnt lgkmcnt(0)
	v_and_b32_e32 v2, 15, v2
	s_delay_alu instid0(VALU_DEP_1) | instskip(SKIP_3) | instid1(SALU_CYCLE_1)
	v_cmp_eq_u32_e32 vcc_lo, 0, v2
	s_and_b32 s15, s13, vcc_lo
	s_and_not1_b32 s13, s13, exec_lo
	s_and_b32 s15, s15, exec_lo
	s_or_b32 s13, s13, s15
.LBB16_176:                             ;   in Loop: Header=BB16_96 Depth=2
	s_or_b32 exec_lo, exec_lo, s14
	s_xor_b32 s13, s13, -1
	v_dual_mov_b32 v36, 0 :: v_dual_mov_b32 v131, v53
	v_cndmask_b32_e64 v2, 0, 1, s13
	;;#ASMSTART
	;;#ASMEND
	s_delay_alu instid0(VALU_DEP_1)
	v_cmp_ne_u32_e32 vcc_lo, 0, v2
	v_mov_b32_e32 v132, v0
	v_mov_b32_e32 v2, v71
	s_mov_b32 s13, -1
	s_cbranch_vccnz .LBB16_194
; %bb.177:                              ;   in Loop: Header=BB16_96 Depth=2
	v_ashrrev_i32_e32 v2, 31, v53
	s_mov_b32 s14, exec_lo
	s_delay_alu instid0(VALU_DEP_1) | instskip(NEXT) | instid1(VALU_DEP_1)
	v_lshrrev_b32_e32 v2, 21, v2
	v_add_nc_u32_e32 v2, v53, v2
	s_delay_alu instid0(VALU_DEP_1) | instskip(NEXT) | instid1(VALU_DEP_1)
	v_ashrrev_i32_e32 v36, 11, v2
	v_sub_nc_u32_e32 v134, v36, v71
	s_delay_alu instid0(VALU_DEP_1)
	v_cmpx_lt_i32_e32 0, v134
	s_cbranch_execz .LBB16_182
; %bb.178:                              ;   in Loop: Header=BB16_96 Depth=2
	s_cbranch_execnz .LBB16_1470
; %bb.179:                              ;   in Loop: Header=BB16_96 Depth=2
	ds_load_b64 v[2:3], v0
	ds_load_b128 v[144:147], v0
	s_mov_b32 s15, 0
	s_waitcnt lgkmcnt(1)
	v_add_co_u32 v2, vcc_lo, v2, v83
	v_add_co_ci_u32_e32 v3, vcc_lo, v3, v85, vcc_lo
	s_waitcnt lgkmcnt(0)
	v_add_co_u32 v4, vcc_lo, v144, v83
	v_add_co_ci_u32_e32 v5, vcc_lo, v145, v85, vcc_lo
	v_add_co_u32 v64, vcc_lo, v146, v83
	v_add_co_ci_u32_e32 v65, vcc_lo, v147, v85, vcc_lo
	s_set_inst_prefetch_distance 0x1
.LBB16_180:                             ;   Parent Loop BB16_93 Depth=1
                                        ;     Parent Loop BB16_96 Depth=2
                                        ; =>    This Inner Loop Header: Depth=3
	s_clause 0x3
	global_load_b128 v[144:147], v[2:3], off slc dlc
	global_load_b128 v[148:151], v[2:3], off offset:512 slc dlc
	global_load_b128 v[160:163], v[2:3], off offset:1024 slc dlc
	;; [unrolled: 1-line block ×3, first 2 shown]
	v_sub_nc_u32_e32 v134, v134, v82
	v_add_co_u32 v2, vcc_lo, v2, v87
	v_add_co_ci_u32_e32 v3, vcc_lo, v3, v96, vcc_lo
	s_delay_alu instid0(VALU_DEP_3)
	v_cmp_gt_i32_e32 vcc_lo, 1, v134
	s_waitcnt vmcnt(3)
	global_store_b128 v[4:5], v[144:147], off glc slc dlc
	s_waitcnt vmcnt(2)
	global_store_b128 v[4:5], v[148:151], off offset:512 glc slc dlc
	s_waitcnt vmcnt(1)
	global_store_b128 v[4:5], v[160:163], off offset:1024 glc slc dlc
	;; [unrolled: 2-line block ×3, first 2 shown]
	s_clause 0x3
	global_store_b128 v[64:65], v[144:147], off glc slc dlc
	global_store_b128 v[64:65], v[148:151], off offset:512 glc slc dlc
	global_store_b128 v[64:65], v[160:163], off offset:1024 glc slc dlc
	;; [unrolled: 1-line block ×3, first 2 shown]
	v_add_co_u32 v4, s13, v4, v87
	s_delay_alu instid0(VALU_DEP_1) | instskip(SKIP_1) | instid1(VALU_DEP_1)
	v_add_co_ci_u32_e64 v5, s13, v5, v96, s13
	v_add_co_u32 v64, s13, v64, v87
	v_add_co_ci_u32_e64 v65, s13, v65, v96, s13
	s_or_b32 s15, vcc_lo, s15
	s_delay_alu instid0(SALU_CYCLE_1)
	s_and_not1_b32 exec_lo, exec_lo, s15
	s_cbranch_execnz .LBB16_180
; %bb.181:                              ;   in Loop: Header=BB16_96 Depth=2
	s_set_inst_prefetch_distance 0x2
	s_or_b32 exec_lo, exec_lo, s15
.LBB16_182:                             ;   in Loop: Header=BB16_96 Depth=2
	s_delay_alu instid0(SALU_CYCLE_1) | instskip(SKIP_3) | instid1(VALU_DEP_1)
	s_or_b32 exec_lo, exec_lo, s14
	v_dual_mov_b32 v36, 0 :: v_dual_lshlrev_b32 v133, 11, v36
	s_mov_b32 s13, 0
	s_mov_b32 s16, exec_lo
                                        ; implicit-def: $vgpr131
                                        ; implicit-def: $vgpr132
                                        ; implicit-def: $vgpr2
	v_cmpx_ne_u32_e64 v53, v133
	s_cbranch_execz .LBB16_193
; %bb.183:                              ;   in Loop: Header=BB16_96 Depth=2
	v_lshlrev_b32_e32 v2, 5, v134
	v_sub_nc_u32_e32 v4, v53, v133
	s_mov_b32 s17, exec_lo
	s_delay_alu instid0(VALU_DEP_2) | instskip(NEXT) | instid1(VALU_DEP_2)
	v_sub_nc_u32_e32 v2, v81, v2
	v_ashrrev_i32_e32 v5, 31, v4
	s_delay_alu instid0(VALU_DEP_2) | instskip(NEXT) | instid1(VALU_DEP_2)
	v_ashrrev_i32_e32 v3, 31, v2
	v_lshrrev_b32_e32 v5, 23, v5
	s_delay_alu instid0(VALU_DEP_2) | instskip(NEXT) | instid1(VALU_DEP_2)
	v_lshrrev_b32_e32 v3, 27, v3
	v_add_nc_u32_e32 v5, v4, v5
	s_delay_alu instid0(VALU_DEP_2) | instskip(NEXT) | instid1(VALU_DEP_2)
	v_add_nc_u32_e32 v3, v2, v3
	v_and_b32_e32 v134, 0xfffffe00, v5
	v_ashrrev_i32_e32 v5, 9, v5
	s_delay_alu instid0(VALU_DEP_3) | instskip(NEXT) | instid1(VALU_DEP_3)
	v_and_b32_e32 v36, 0xffffffe0, v3
	v_sub_nc_u32_e32 v144, v4, v134
	v_ashrrev_i32_e32 v3, 5, v3
	s_delay_alu instid0(VALU_DEP_3) | instskip(NEXT) | instid1(VALU_DEP_3)
	v_sub_nc_u32_e32 v135, v2, v36
	v_cmp_lt_i32_e64 s13, 15, v144
	s_delay_alu instid0(VALU_DEP_2) | instskip(NEXT) | instid1(VALU_DEP_2)
	v_lshlrev_b32_e32 v2, 4, v135
	v_add_co_ci_u32_e64 v5, vcc_lo, 0, v5, s13
	s_delay_alu instid0(VALU_DEP_2) | instskip(NEXT) | instid1(VALU_DEP_2)
	v_lshl_add_u32 v2, v3, 9, v2
	v_sub_nc_u32_e32 v145, v5, v3
	s_delay_alu instid0(VALU_DEP_2) | instskip(NEXT) | instid1(VALU_DEP_1)
	v_sub_nc_u32_e32 v36, v4, v2
	v_cmpx_lt_i32_e32 15, v36
	s_cbranch_execz .LBB16_190
; %bb.184:                              ;   in Loop: Header=BB16_96 Depth=2
	s_cbranch_execnz .LBB16_1524
; %bb.185:                              ;   in Loop: Header=BB16_96 Depth=2
	ds_load_b64 v[3:4], v0
	ds_load_b128 v[146:149], v0
	v_add_nc_u32_e32 v2, v2, v133
	s_mov_b32 s30, 0
	s_delay_alu instid0(VALU_DEP_1) | instskip(SKIP_2) | instid1(VALU_DEP_2)
	v_ashrrev_i32_e32 v5, 31, v2
	s_waitcnt lgkmcnt(1)
	v_add_co_u32 v64, vcc_lo, v3, v2
	v_add_co_ci_u32_e32 v65, vcc_lo, v4, v5, vcc_lo
	s_waitcnt lgkmcnt(0)
	v_add_co_u32 v131, vcc_lo, v146, v2
	v_add_co_ci_u32_e32 v132, vcc_lo, v147, v5, vcc_lo
	v_add_co_u32 v146, vcc_lo, v148, v2
	v_add_co_ci_u32_e32 v147, vcc_lo, v149, v5, vcc_lo
.LBB16_186:                             ;   Parent Loop BB16_93 Depth=1
                                        ;     Parent Loop BB16_96 Depth=2
                                        ; =>    This Loop Header: Depth=3
                                        ;         Child Loop BB16_187 Depth 4
	global_load_b128 v[2:5], v[64:65], off slc dlc
	s_mov_b64 s[14:15], 0
	s_mov_b32 s31, -1
.LBB16_187:                             ;   Parent Loop BB16_93 Depth=1
                                        ;     Parent Loop BB16_96 Depth=2
                                        ;       Parent Loop BB16_186 Depth=3
                                        ; =>      This Inner Loop Header: Depth=4
	s_cmp_eq_u32 s14, 0
	v_cndmask_b32_e64 v150, 0, 1, s31
	s_cselect_b32 vcc_lo, -1, 0
	s_cmp_eq_u32 s14, 1
	s_mov_b32 s31, 0
	s_cselect_b32 s14, -1, 0
	s_delay_alu instid0(SALU_CYCLE_1) | instskip(SKIP_1) | instid1(VALU_DEP_2)
	v_cndmask_b32_e64 v148, v131, v146, s14
	v_cndmask_b32_e64 v149, v132, v147, s14
	v_add_co_u32 v151, s15, 0x200, v148
	s_delay_alu instid0(VALU_DEP_1) | instskip(SKIP_1) | instid1(VALU_DEP_3)
	v_add_co_ci_u32_e64 v160, s15, 0, v149, s15
	v_cmp_ne_u32_e64 s15, 1, v150
	v_cndmask_b32_e64 v146, v146, v151, s14
	v_cndmask_b32_e32 v131, v131, v151, vcc_lo
	s_delay_alu instid0(VALU_DEP_4)
	v_cndmask_b32_e64 v147, v147, v160, s14
	v_cndmask_b32_e32 v132, v132, v160, vcc_lo
	s_and_b32 vcc_lo, exec_lo, s15
	s_mov_b64 s[14:15], 1
	s_waitcnt vmcnt(0)
	global_store_b128 v[148:149], v[2:5], off glc slc dlc
	s_cbranch_vccz .LBB16_187
; %bb.188:                              ;   in Loop: Header=BB16_186 Depth=3
	v_add_co_u32 v131, vcc_lo, v131, v86
	v_sub_nc_u32_e32 v36, v36, v84
	v_add_co_ci_u32_e32 v132, vcc_lo, v132, v97, vcc_lo
	v_add_co_u32 v146, vcc_lo, v146, v86
	v_add_co_ci_u32_e32 v147, vcc_lo, v147, v97, vcc_lo
	s_delay_alu instid0(VALU_DEP_4) | instskip(SKIP_1) | instid1(VALU_DEP_1)
	v_cmp_gt_i32_e32 vcc_lo, 16, v36
	v_add_co_u32 v64, s14, v99, v64
	v_add_co_ci_u32_e64 v65, s14, v100, v65, s14
	v_sub_nc_u32_e32 v145, v145, v82
	s_or_b32 s30, vcc_lo, s30
	s_delay_alu instid0(SALU_CYCLE_1)
	s_and_not1_b32 exec_lo, exec_lo, s30
	s_cbranch_execnz .LBB16_186
; %bb.189:                              ;   in Loop: Header=BB16_96 Depth=2
	s_or_b32 exec_lo, exec_lo, s30
.LBB16_190:                             ;   in Loop: Header=BB16_96 Depth=2
	s_delay_alu instid0(SALU_CYCLE_1) | instskip(SKIP_3) | instid1(VALU_DEP_1)
	s_or_b32 exec_lo, exec_lo, s17
	v_dual_mov_b32 v36, 0 :: v_dual_and_b32 v3, 15, v53
	s_mov_b32 s14, 0
	s_mov_b32 s15, exec_lo
                                        ; implicit-def: $vgpr132
                                        ; implicit-def: $vgpr2
	v_cndmask_b32_e64 v131, v144, v3, s13
	s_delay_alu instid0(VALU_DEP_1)
	v_cmpx_ne_u32_e32 0, v131
	s_cbranch_execz .LBB16_192
; %bb.191:                              ;   in Loop: Header=BB16_96 Depth=2
	v_cmp_lt_i32_e32 vcc_lo, 0, v145
	v_sub_nc_u32_e32 v3, v144, v3
	s_mov_b32 s14, exec_lo
	v_cndmask_b32_e32 v2, 0, v82, vcc_lo
	s_delay_alu instid0(VALU_DEP_2) | instskip(NEXT) | instid1(VALU_DEP_2)
	v_cndmask_b32_e64 v3, 0, v3, s13
	v_sub_nc_u32_e32 v2, v2, v145
	s_delay_alu instid0(VALU_DEP_2) | instskip(NEXT) | instid1(VALU_DEP_2)
	v_add3_u32 v36, v134, v133, v3
	v_lshl_add_u32 v132, v2, 5, v135
	s_delay_alu instid0(VALU_DEP_1) | instskip(NEXT) | instid1(VALU_DEP_1)
	v_ashrrev_i32_e32 v2, 31, v132
	v_lshrrev_b32_e32 v2, 27, v2
	s_delay_alu instid0(VALU_DEP_1) | instskip(NEXT) | instid1(VALU_DEP_1)
	v_add_nc_u32_e32 v2, v132, v2
	v_ashrrev_i32_e32 v2, 5, v2
.LBB16_192:                             ;   in Loop: Header=BB16_96 Depth=2
	s_or_b32 exec_lo, exec_lo, s15
	s_delay_alu instid0(SALU_CYCLE_1)
	s_and_b32 s13, s14, exec_lo
.LBB16_193:                             ;   in Loop: Header=BB16_96 Depth=2
	s_or_b32 exec_lo, exec_lo, s16
.LBB16_194:                             ;   in Loop: Header=BB16_96 Depth=2
	s_and_saveexec_b32 s15, s13
	s_cbranch_execz .LBB16_208
; %bb.195:                              ;   in Loop: Header=BB16_96 Depth=2
	v_ashrrev_i32_e32 v3, 31, v131
	s_mov_b32 s13, exec_lo
	s_delay_alu instid0(VALU_DEP_1) | instskip(NEXT) | instid1(VALU_DEP_1)
	v_lshrrev_b32_e32 v3, 22, v3
	v_add_nc_u32_e32 v3, v131, v3
	s_delay_alu instid0(VALU_DEP_1) | instskip(NEXT) | instid1(VALU_DEP_1)
	v_ashrrev_i32_e32 v134, 10, v3
	v_sub_nc_u32_e32 v133, v134, v2
	s_delay_alu instid0(VALU_DEP_1)
	v_cmpx_lt_i32_e32 0, v133
	s_cbranch_execz .LBB16_200
; %bb.196:                              ;   in Loop: Header=BB16_96 Depth=2
	s_cbranch_execnz .LBB16_1447
; %bb.197:                              ;   in Loop: Header=BB16_96 Depth=2
	v_ashrrev_i32_e32 v3, 31, v132
	v_lshlrev_b32_e32 v2, 10, v2
	s_mov_b32 s14, 0
	ds_load_b128 v[144:147], v0
	v_lshrrev_b32_e32 v3, 27, v3
	s_delay_alu instid0(VALU_DEP_1) | instskip(SKIP_2) | instid1(VALU_DEP_1)
	v_add_nc_u32_e32 v5, v132, v3
	ds_load_b64 v[3:4], v0
	v_and_b32_e32 v5, 0xffffffe0, v5
	v_sub_nc_u32_e32 v5, v132, v5
	s_delay_alu instid0(VALU_DEP_1) | instskip(NEXT) | instid1(VALU_DEP_1)
	v_add3_u32 v64, v36, v5, v2
	v_ashrrev_i32_e32 v65, 31, v64
	s_waitcnt lgkmcnt(0)
	v_add_co_u32 v135, vcc_lo, 0x3e0, v3
	v_add_co_ci_u32_e32 v148, vcc_lo, 0, v4, vcc_lo
	v_add_co_u32 v2, vcc_lo, v144, v64
	v_add_co_ci_u32_e32 v3, vcc_lo, v145, v65, vcc_lo
	;; [unrolled: 2-line block ×4, first 2 shown]
.LBB16_198:                             ;   Parent Loop BB16_93 Depth=1
                                        ;     Parent Loop BB16_96 Depth=2
                                        ; =>    This Inner Loop Header: Depth=3
	s_delay_alu instid0(VALU_DEP_2) | instskip(NEXT) | instid1(VALU_DEP_2)
	v_add_co_u32 v144, vcc_lo, 0xfffffc20, v64
	v_add_co_ci_u32_e32 v145, vcc_lo, -1, v65, vcc_lo
	v_sub_nc_u32_e32 v133, v133, v82
	flat_load_u8 v135, v[144:145] slc dlc
	v_add_co_u32 v144, vcc_lo, 0xfffffc40, v64
	v_add_co_ci_u32_e32 v145, vcc_lo, -1, v65, vcc_lo
	flat_load_u8 v146, v[144:145] slc dlc
	v_add_co_u32 v144, vcc_lo, 0xfffffc60, v64
	v_add_co_ci_u32_e32 v145, vcc_lo, -1, v65, vcc_lo
	;; [unrolled: 3-line block ×30, first 2 shown]
	flat_load_u8 v144, v[144:145] slc dlc
	flat_load_u8 v145, v[64:65] slc dlc
	s_waitcnt vmcnt(31) lgkmcnt(31)
	flat_store_b8 v[2:3], v135 glc slc dlc
	s_waitcnt vmcnt(30) lgkmcnt(31)
	flat_store_b8 v[2:3], v146 offset:32 glc slc dlc
	s_waitcnt vmcnt(29) lgkmcnt(31)
	flat_store_b8 v[2:3], v147 offset:64 glc slc dlc
	;; [unrolled: 2-line block ×31, first 2 shown]
	s_clause 0x1f
	flat_store_b8 v[4:5], v135 glc slc dlc
	flat_store_b8 v[4:5], v146 offset:32 glc slc dlc
	flat_store_b8 v[4:5], v147 offset:64 glc slc dlc
	;; [unrolled: 1-line block ×31, first 2 shown]
	v_add_co_u32 v2, vcc_lo, v2, v102
	v_add_co_ci_u32_e32 v3, vcc_lo, v3, v103, vcc_lo
	v_add_co_u32 v4, vcc_lo, v4, v102
	v_add_co_ci_u32_e32 v5, vcc_lo, v5, v103, vcc_lo
	;; [unrolled: 2-line block ×3, first 2 shown]
	v_cmp_gt_i32_e32 vcc_lo, 1, v133
	s_or_b32 s14, vcc_lo, s14
	s_delay_alu instid0(SALU_CYCLE_1)
	s_and_not1_b32 exec_lo, exec_lo, s14
	s_cbranch_execnz .LBB16_198
; %bb.199:                              ;   in Loop: Header=BB16_96 Depth=2
	s_or_b32 exec_lo, exec_lo, s14
.LBB16_200:                             ;   in Loop: Header=BB16_96 Depth=2
	s_delay_alu instid0(SALU_CYCLE_1) | instskip(SKIP_2) | instid1(VALU_DEP_1)
	s_or_b32 exec_lo, exec_lo, s13
	v_lshlrev_b32_e32 v2, 10, v134
	s_mov_b32 s30, exec_lo
	v_cmpx_ne_u32_e64 v131, v2
	s_cbranch_execz .LBB16_207
; %bb.201:                              ;   in Loop: Header=BB16_96 Depth=2
	v_ashrrev_i32_e32 v3, 31, v132
	v_lshlrev_b32_e32 v4, 5, v133
	s_delay_alu instid0(VALU_DEP_2) | instskip(NEXT) | instid1(VALU_DEP_1)
	v_lshrrev_b32_e32 v3, 27, v3
	v_add_nc_u32_e32 v3, v132, v3
	s_delay_alu instid0(VALU_DEP_1) | instskip(NEXT) | instid1(VALU_DEP_1)
	v_and_b32_e32 v3, 0xffffffe0, v3
	v_sub_nc_u32_e32 v3, v132, v3
	s_delay_alu instid0(VALU_DEP_1) | instskip(NEXT) | instid1(VALU_DEP_1)
	v_sub_nc_u32_e32 v3, v3, v4
	v_add_nc_u32_e32 v2, v2, v3
	s_delay_alu instid0(VALU_DEP_1) | instskip(NEXT) | instid1(VALU_DEP_1)
	v_sub_nc_u32_e32 v4, v131, v2
	v_cmp_lt_i32_e32 vcc_lo, 0, v4
	s_and_b32 exec_lo, exec_lo, vcc_lo
	s_cbranch_execz .LBB16_207
; %bb.202:                              ;   in Loop: Header=BB16_96 Depth=2
	s_cbranch_execnz .LBB16_1516
; %bb.203:                              ;   in Loop: Header=BB16_96 Depth=2
	ds_load_b64 v[64:65], v0
	ds_load_b128 v[131:134], v0
	v_add_nc_u32_e32 v135, v2, v36
	s_mov_b32 s31, 0
	s_delay_alu instid0(VALU_DEP_1) | instskip(SKIP_2) | instid1(VALU_DEP_2)
	v_ashrrev_i32_e32 v144, 31, v135
	s_waitcnt lgkmcnt(1)
	v_add_co_u32 v2, vcc_lo, v64, v135
	v_add_co_ci_u32_e32 v3, vcc_lo, v65, v144, vcc_lo
	s_waitcnt lgkmcnt(0)
	v_add_co_u32 v5, vcc_lo, v131, v135
	v_add_co_ci_u32_e32 v36, vcc_lo, v132, v144, vcc_lo
	v_add_co_u32 v64, vcc_lo, v133, v135
	v_add_co_ci_u32_e32 v65, vcc_lo, v134, v144, vcc_lo
	s_set_inst_prefetch_distance 0x1
.LBB16_204:                             ;   Parent Loop BB16_93 Depth=1
                                        ;     Parent Loop BB16_96 Depth=2
                                        ; =>    This Loop Header: Depth=3
                                        ;         Child Loop BB16_205 Depth 4
	flat_load_u8 v131, v[2:3] slc dlc
	s_mov_b64 s[16:17], 0
	s_mov_b32 s34, -1
.LBB16_205:                             ;   Parent Loop BB16_93 Depth=1
                                        ;     Parent Loop BB16_96 Depth=2
                                        ;       Parent Loop BB16_204 Depth=3
                                        ; =>      This Inner Loop Header: Depth=4
	s_cmp_eq_u32 s16, 1
	s_cselect_b32 vcc_lo, -1, 0
	s_cmp_eq_u32 s16, 0
	v_dual_cndmask_b32 v133, v36, v65 :: v_dual_cndmask_b32 v132, v5, v64
	s_mov_b64 s[16:17], 1
	s_delay_alu instid0(VALU_DEP_1) | instskip(NEXT) | instid1(VALU_DEP_1)
	v_add_co_u32 v134, s13, v132, 32
	v_add_co_ci_u32_e64 v135, s13, 0, v133, s13
	s_cselect_b32 s13, -1, 0
	s_and_b32 s14, exec_lo, s34
	s_delay_alu instid0(VALU_DEP_1)
	v_dual_cndmask_b32 v64, v64, v134 :: v_dual_cndmask_b32 v65, v65, v135
	v_cndmask_b32_e64 v36, v36, v135, s13
	v_cndmask_b32_e64 v5, v5, v134, s13
	s_mov_b32 s34, 0
	s_mov_b32 vcc_lo, s14
	s_waitcnt vmcnt(0) lgkmcnt(0)
	flat_store_b8 v[132:133], v131 glc slc dlc
	s_cbranch_vccnz .LBB16_205
; %bb.206:                              ;   in Loop: Header=BB16_204 Depth=3
	v_add_co_u32 v5, vcc_lo, v5, v101
	v_sub_nc_u32_e32 v4, v4, v98
	v_add_co_ci_u32_e32 v36, vcc_lo, v36, v112, vcc_lo
	v_add_co_u32 v64, vcc_lo, v64, v101
	v_add_co_ci_u32_e32 v65, vcc_lo, v65, v112, vcc_lo
	s_delay_alu instid0(VALU_DEP_4) | instskip(SKIP_1) | instid1(VALU_DEP_1)
	v_cmp_gt_i32_e32 vcc_lo, 1, v4
	v_add_co_u32 v2, s13, v114, v2
	v_add_co_ci_u32_e64 v3, s13, v115, v3, s13
	s_or_b32 s31, vcc_lo, s31
	s_delay_alu instid0(SALU_CYCLE_1)
	s_and_not1_b32 exec_lo, exec_lo, s31
	s_cbranch_execnz .LBB16_204
.LBB16_207:                             ;   in Loop: Header=BB16_96 Depth=2
	s_set_inst_prefetch_distance 0x2
	s_or_b32 exec_lo, exec_lo, s30
.LBB16_208:                             ;   in Loop: Header=BB16_96 Depth=2
	s_delay_alu instid0(SALU_CYCLE_1)
	s_or_b32 exec_lo, exec_lo, s15
	s_mov_b32 s13, 0
	s_branch .LBB16_210
.LBB16_209:                             ;   in Loop: Header=BB16_96 Depth=2
	s_mov_b32 s13, -1
.LBB16_210:                             ;   in Loop: Header=BB16_96 Depth=2
	s_delay_alu instid0(SALU_CYCLE_1)
	s_and_b32 vcc_lo, exec_lo, s13
	s_cbranch_vccz .LBB16_244
; %bb.211:                              ;   in Loop: Header=BB16_96 Depth=2
	s_mov_b32 s13, -1
	s_and_saveexec_b32 s14, s4
	s_cbranch_execz .LBB16_213
; %bb.212:                              ;   in Loop: Header=BB16_96 Depth=2
	ds_load_b32 v2, v0 offset:720
	s_waitcnt lgkmcnt(0)
	v_and_b32_e32 v2, 15, v2
	s_delay_alu instid0(VALU_DEP_1)
	v_cmp_eq_u32_e32 vcc_lo, 0, v2
	s_or_not1_b32 s13, vcc_lo, exec_lo
.LBB16_213:                             ;   in Loop: Header=BB16_96 Depth=2
	s_or_b32 exec_lo, exec_lo, s14
	s_and_saveexec_b32 s14, s4
	s_cbranch_execz .LBB16_215
; %bb.214:                              ;   in Loop: Header=BB16_96 Depth=2
	ds_load_b32 v2, v0 offset:784
	s_waitcnt lgkmcnt(0)
	v_and_b32_e32 v2, 15, v2
	s_delay_alu instid0(VALU_DEP_1) | instskip(SKIP_3) | instid1(SALU_CYCLE_1)
	v_cmp_eq_u32_e32 vcc_lo, 0, v2
	s_and_b32 s15, s13, vcc_lo
	s_and_not1_b32 s13, s13, exec_lo
	s_and_b32 s15, s15, exec_lo
	s_or_b32 s13, s13, s15
.LBB16_215:                             ;   in Loop: Header=BB16_96 Depth=2
	s_or_b32 exec_lo, exec_lo, s14
	s_xor_b32 s13, s13, -1
	v_dual_mov_b32 v36, 0 :: v_dual_mov_b32 v65, v0
	v_cndmask_b32_e64 v2, 0, 1, s13
	;;#ASMSTART
	;;#ASMEND
	s_delay_alu instid0(VALU_DEP_1)
	v_cmp_ne_u32_e32 vcc_lo, 0, v2
	v_dual_mov_b32 v64, v53 :: v_dual_mov_b32 v133, v71
	s_mov_b32 s13, -1
	s_cbranch_vccnz .LBB16_231
; %bb.216:                              ;   in Loop: Header=BB16_96 Depth=2
	v_ashrrev_i32_e32 v2, 31, v53
	s_mov_b32 s13, exec_lo
	s_delay_alu instid0(VALU_DEP_1) | instskip(NEXT) | instid1(VALU_DEP_1)
	v_lshrrev_b32_e32 v2, 20, v2
	v_add_nc_u32_e32 v2, v53, v2
	s_delay_alu instid0(VALU_DEP_1) | instskip(NEXT) | instid1(VALU_DEP_1)
	v_ashrrev_i32_e32 v36, 12, v2
	v_sub_nc_u32_e32 v131, v36, v71
	s_delay_alu instid0(VALU_DEP_1)
	v_cmpx_lt_i32_e32 0, v131
	s_cbranch_execz .LBB16_221
; %bb.217:                              ;   in Loop: Header=BB16_96 Depth=2
	s_cbranch_execnz .LBB16_1492
; %bb.218:                              ;   in Loop: Header=BB16_96 Depth=2
	ds_load_b64 v[2:3], v0
	s_mov_b32 s14, 0
	s_waitcnt lgkmcnt(0)
	v_dual_mov_b32 v5, v3 :: v_dual_mov_b32 v4, v2
.LBB16_219:                             ;   Parent Loop BB16_93 Depth=1
                                        ;     Parent Loop BB16_96 Depth=2
                                        ; =>    This Inner Loop Header: Depth=3
	s_delay_alu instid0(VALU_DEP_1) | instskip(NEXT) | instid1(VALU_DEP_2)
	v_add_co_u32 v64, vcc_lo, v113, v4
	v_add_co_ci_u32_e32 v65, vcc_lo, v116, v5, vcc_lo
	v_sub_nc_u32_e32 v131, v131, v82
	s_clause 0x7
	global_load_b128 v[132:135], v[64:65], off slc dlc
	global_load_b128 v[144:147], v[64:65], off offset:512 slc dlc
	global_load_b128 v[148:151], v[64:65], off offset:1024 slc dlc
	;; [unrolled: 1-line block ×7, first 2 shown]
	v_add_co_u32 v64, vcc_lo, v113, v2
	v_add_co_ci_u32_e32 v65, vcc_lo, v116, v3, vcc_lo
	v_add_co_u32 v4, vcc_lo, v4, v117
	v_add_co_ci_u32_e32 v5, vcc_lo, v5, v118, vcc_lo
	;; [unrolled: 2-line block ×3, first 2 shown]
	v_cmp_gt_i32_e32 vcc_lo, 1, v131
	s_waitcnt vmcnt(7)
	global_store_b128 v[64:65], v[132:135], off glc slc dlc
	s_waitcnt vmcnt(6)
	global_store_b128 v[64:65], v[144:147], off offset:512 glc slc dlc
	s_waitcnt vmcnt(5)
	global_store_b128 v[64:65], v[148:151], off offset:1024 glc slc dlc
	;; [unrolled: 2-line block ×7, first 2 shown]
	s_or_b32 s14, vcc_lo, s14
	s_delay_alu instid0(SALU_CYCLE_1)
	s_and_not1_b32 exec_lo, exec_lo, s14
	s_cbranch_execnz .LBB16_219
; %bb.220:                              ;   in Loop: Header=BB16_96 Depth=2
	s_or_b32 exec_lo, exec_lo, s14
.LBB16_221:                             ;   in Loop: Header=BB16_96 Depth=2
	s_delay_alu instid0(SALU_CYCLE_1) | instskip(SKIP_4) | instid1(VALU_DEP_2)
	s_or_b32 exec_lo, exec_lo, s13
	v_lshlrev_b32_e32 v4, 12, v36
	v_mov_b32_e32 v36, 0
	s_mov_b32 s13, 0
	s_mov_b32 s15, exec_lo
                                        ; implicit-def: $vgpr64
                                        ; implicit-def: $vgpr65
                                        ; implicit-def: $vgpr133
	v_cmpx_ne_u32_e64 v53, v4
	s_cbranch_execz .LBB16_230
; %bb.222:                              ;   in Loop: Header=BB16_96 Depth=2
	v_lshlrev_b32_e32 v2, 5, v131
	v_sub_nc_u32_e32 v36, v53, v4
	s_mov_b32 s16, exec_lo
	s_delay_alu instid0(VALU_DEP_2) | instskip(NEXT) | instid1(VALU_DEP_2)
	v_sub_nc_u32_e32 v2, v81, v2
	v_ashrrev_i32_e32 v5, 31, v36
	s_delay_alu instid0(VALU_DEP_2) | instskip(NEXT) | instid1(VALU_DEP_2)
	v_ashrrev_i32_e32 v3, 31, v2
	v_lshrrev_b32_e32 v5, 23, v5
	s_delay_alu instid0(VALU_DEP_2) | instskip(NEXT) | instid1(VALU_DEP_2)
	v_lshrrev_b32_e32 v3, 27, v3
	v_add_nc_u32_e32 v65, v36, v5
	s_delay_alu instid0(VALU_DEP_2) | instskip(NEXT) | instid1(VALU_DEP_2)
	v_add_nc_u32_e32 v3, v2, v3
	v_and_b32_e32 v5, 0xfffffe00, v65
	v_ashrrev_i32_e32 v65, 9, v65
	s_delay_alu instid0(VALU_DEP_3) | instskip(NEXT) | instid1(VALU_DEP_3)
	v_and_b32_e32 v64, 0xffffffe0, v3
	v_sub_nc_u32_e32 v132, v36, v5
	s_delay_alu instid0(VALU_DEP_2) | instskip(SKIP_1) | instid1(VALU_DEP_3)
	v_sub_nc_u32_e32 v131, v2, v64
	v_ashrrev_i32_e32 v2, 5, v3
	v_cmp_lt_i32_e32 vcc_lo, 15, v132
	s_delay_alu instid0(VALU_DEP_3) | instskip(NEXT) | instid1(VALU_DEP_1)
	v_lshlrev_b32_e32 v3, 4, v131
	v_lshl_add_u32 v64, v2, 9, v3
	v_add_co_ci_u32_e64 v3, s13, 0, v65, vcc_lo
	s_delay_alu instid0(VALU_DEP_2) | instskip(NEXT) | instid1(VALU_DEP_2)
	v_sub_nc_u32_e32 v36, v36, v64
	v_sub_nc_u32_e32 v134, v3, v2
	s_delay_alu instid0(VALU_DEP_2)
	v_cmpx_lt_i32_e32 15, v36
	s_cbranch_execz .LBB16_227
; %bb.223:                              ;   in Loop: Header=BB16_96 Depth=2
	s_cbranch_execnz .LBB16_1542
; %bb.224:                              ;   in Loop: Header=BB16_96 Depth=2
	ds_load_b64 v[2:3], v0
	v_add_nc_u32_e32 v64, v64, v4
	s_mov_b32 s17, 0
	s_delay_alu instid0(VALU_DEP_1)
	v_ashrrev_i32_e32 v65, 31, v64
.LBB16_225:                             ;   Parent Loop BB16_93 Depth=1
                                        ;     Parent Loop BB16_96 Depth=2
                                        ; =>    This Inner Loop Header: Depth=3
	s_waitcnt lgkmcnt(0)
	v_add_co_u32 v148, s13, v2, v64
	s_delay_alu instid0(VALU_DEP_1)
	v_add_co_ci_u32_e64 v149, s13, v3, v65, s13
	v_sub_nc_u32_e32 v36, v36, v84
	v_add_co_u32 v64, s14, v64, v99
	global_load_b128 v[144:147], v[148:149], off slc dlc
	v_sub_nc_u32_e32 v134, v134, v82
	v_cmp_gt_i32_e64 s13, 16, v36
	v_add_co_ci_u32_e64 v65, s14, v65, v100, s14
	s_delay_alu instid0(VALU_DEP_2)
	s_or_b32 s17, s13, s17
	s_waitcnt vmcnt(0)
	global_store_b128 v[148:149], v[144:147], off glc slc dlc
	s_and_not1_b32 exec_lo, exec_lo, s17
	s_cbranch_execnz .LBB16_225
; %bb.226:                              ;   in Loop: Header=BB16_96 Depth=2
	s_or_b32 exec_lo, exec_lo, s17
.LBB16_227:                             ;   in Loop: Header=BB16_96 Depth=2
	s_delay_alu instid0(SALU_CYCLE_1) | instskip(SKIP_4) | instid1(VALU_DEP_2)
	s_or_b32 exec_lo, exec_lo, s16
	v_and_b32_e32 v2, 15, v53
	v_mov_b32_e32 v36, 0
	s_mov_b32 s14, 0
	s_mov_b32 s16, exec_lo
                                        ; implicit-def: $vgpr65
                                        ; implicit-def: $vgpr133
	v_cndmask_b32_e32 v64, v132, v2, vcc_lo
	s_delay_alu instid0(VALU_DEP_1)
	v_cmpx_ne_u32_e32 0, v64
; %bb.228:                              ;   in Loop: Header=BB16_96 Depth=2
	v_cmp_lt_i32_e64 s13, 0, v134
	v_sub_nc_u32_e32 v2, v132, v2
	s_mov_b32 s14, exec_lo
	s_delay_alu instid0(VALU_DEP_2) | instskip(NEXT) | instid1(VALU_DEP_1)
	v_cndmask_b32_e64 v3, 0, v82, s13
	v_sub_nc_u32_e32 v3, v3, v134
	s_delay_alu instid0(VALU_DEP_1) | instskip(NEXT) | instid1(VALU_DEP_1)
	v_lshl_add_u32 v65, v3, 5, v131
	v_ashrrev_i32_e32 v3, 31, v65
	s_delay_alu instid0(VALU_DEP_1) | instskip(NEXT) | instid1(VALU_DEP_1)
	v_lshrrev_b32_e32 v3, 27, v3
	v_dual_cndmask_b32 v2, 0, v2 :: v_dual_add_nc_u32 v3, v65, v3
	s_delay_alu instid0(VALU_DEP_1) | instskip(NEXT) | instid1(VALU_DEP_2)
	v_add3_u32 v36, v5, v4, v2
	v_ashrrev_i32_e32 v133, 5, v3
; %bb.229:                              ;   in Loop: Header=BB16_96 Depth=2
	s_or_b32 exec_lo, exec_lo, s16
	s_delay_alu instid0(SALU_CYCLE_1)
	s_and_b32 s13, s14, exec_lo
.LBB16_230:                             ;   in Loop: Header=BB16_96 Depth=2
	s_or_b32 exec_lo, exec_lo, s15
.LBB16_231:                             ;   in Loop: Header=BB16_96 Depth=2
	s_and_saveexec_b32 s14, s13
	s_cbranch_execz .LBB16_243
; %bb.232:                              ;   in Loop: Header=BB16_96 Depth=2
	v_ashrrev_i32_e32 v2, 31, v64
	s_mov_b32 s13, exec_lo
	s_delay_alu instid0(VALU_DEP_1) | instskip(NEXT) | instid1(VALU_DEP_1)
	v_lshrrev_b32_e32 v2, 22, v2
	v_add_nc_u32_e32 v2, v64, v2
	s_delay_alu instid0(VALU_DEP_1) | instskip(NEXT) | instid1(VALU_DEP_1)
	v_ashrrev_i32_e32 v132, 10, v2
	v_sub_nc_u32_e32 v131, v132, v133
	s_delay_alu instid0(VALU_DEP_1)
	v_cmpx_lt_i32_e32 0, v131
	s_cbranch_execz .LBB16_237
; %bb.233:                              ;   in Loop: Header=BB16_96 Depth=2
	s_cbranch_execnz .LBB16_1480
; %bb.234:                              ;   in Loop: Header=BB16_96 Depth=2
	v_ashrrev_i32_e32 v2, 31, v65
	s_mov_b32 s15, 0
	s_delay_alu instid0(VALU_DEP_1) | instskip(NEXT) | instid1(VALU_DEP_1)
	v_lshrrev_b32_e32 v2, 27, v2
	v_add_nc_u32_e32 v4, v65, v2
	ds_load_b64 v[2:3], v0
	v_lshlrev_b32_e32 v5, 10, v133
	v_and_b32_e32 v4, 0xffffffe0, v4
	s_delay_alu instid0(VALU_DEP_1) | instskip(NEXT) | instid1(VALU_DEP_1)
	v_sub_nc_u32_e32 v4, v65, v4
	v_add3_u32 v133, v36, v4, v5
	s_delay_alu instid0(VALU_DEP_1)
	v_ashrrev_i32_e32 v134, 31, v133
	s_waitcnt lgkmcnt(0)
	v_dual_mov_b32 v5, v3 :: v_dual_mov_b32 v4, v2
.LBB16_235:                             ;   Parent Loop BB16_93 Depth=1
                                        ;     Parent Loop BB16_96 Depth=2
                                        ; =>    This Inner Loop Header: Depth=3
	s_delay_alu instid0(VALU_DEP_1) | instskip(NEXT) | instid1(VALU_DEP_2)
	v_add_co_u32 v144, vcc_lo, v133, v4
	v_add_co_ci_u32_e32 v145, vcc_lo, v134, v5, vcc_lo
	v_sub_nc_u32_e32 v131, v131, v82
	s_clause 0x1f
	flat_load_u8 v135, v[144:145] slc dlc
	flat_load_u8 v146, v[144:145] offset:32 slc dlc
	flat_load_u8 v147, v[144:145] offset:64 slc dlc
	;; [unrolled: 1-line block ×31, first 2 shown]
	v_add_co_u32 v144, vcc_lo, v133, v2
	v_add_co_ci_u32_e32 v145, vcc_lo, v134, v3, vcc_lo
	v_add_co_u32 v4, vcc_lo, v4, v102
	v_add_co_ci_u32_e32 v5, vcc_lo, v5, v103, vcc_lo
	v_add_co_u32 v2, vcc_lo, v2, v102
	v_add_co_ci_u32_e32 v3, vcc_lo, v3, v103, vcc_lo
	v_cmp_gt_i32_e32 vcc_lo, 1, v131
	s_waitcnt vmcnt(31) lgkmcnt(31)
	flat_store_b8 v[144:145], v135 glc slc dlc
	s_waitcnt vmcnt(30) lgkmcnt(31)
	flat_store_b8 v[144:145], v146 offset:32 glc slc dlc
	s_waitcnt vmcnt(29) lgkmcnt(31)
	flat_store_b8 v[144:145], v147 offset:64 glc slc dlc
	;; [unrolled: 2-line block ×31, first 2 shown]
	s_or_b32 s15, vcc_lo, s15
	s_delay_alu instid0(SALU_CYCLE_1)
	s_and_not1_b32 exec_lo, exec_lo, s15
	s_cbranch_execnz .LBB16_235
; %bb.236:                              ;   in Loop: Header=BB16_96 Depth=2
	s_or_b32 exec_lo, exec_lo, s15
.LBB16_237:                             ;   in Loop: Header=BB16_96 Depth=2
	s_delay_alu instid0(SALU_CYCLE_1) | instskip(SKIP_2) | instid1(VALU_DEP_1)
	s_or_b32 exec_lo, exec_lo, s13
	v_lshlrev_b32_e32 v2, 10, v132
	s_mov_b32 s15, exec_lo
	v_cmpx_ne_u32_e64 v64, v2
	s_cbranch_execz .LBB16_242
; %bb.238:                              ;   in Loop: Header=BB16_96 Depth=2
	v_ashrrev_i32_e32 v3, 31, v65
	v_lshlrev_b32_e32 v4, 5, v131
	s_delay_alu instid0(VALU_DEP_2) | instskip(NEXT) | instid1(VALU_DEP_1)
	v_lshrrev_b32_e32 v3, 27, v3
	v_add_nc_u32_e32 v3, v65, v3
	s_delay_alu instid0(VALU_DEP_1) | instskip(NEXT) | instid1(VALU_DEP_1)
	v_and_b32_e32 v3, 0xffffffe0, v3
	v_sub_nc_u32_e32 v3, v65, v3
	s_delay_alu instid0(VALU_DEP_1) | instskip(NEXT) | instid1(VALU_DEP_1)
	v_sub_nc_u32_e32 v3, v3, v4
	v_add_nc_u32_e32 v5, v2, v3
	s_delay_alu instid0(VALU_DEP_1) | instskip(NEXT) | instid1(VALU_DEP_1)
	v_sub_nc_u32_e32 v4, v64, v5
	v_cmp_lt_i32_e32 vcc_lo, 0, v4
	s_and_b32 exec_lo, exec_lo, vcc_lo
	s_cbranch_execz .LBB16_242
; %bb.239:                              ;   in Loop: Header=BB16_96 Depth=2
	s_cbranch_execnz .LBB16_1534
; %bb.240:                              ;   in Loop: Header=BB16_96 Depth=2
	ds_load_b64 v[2:3], v0
	v_add_nc_u32_e32 v5, v5, v36
	s_mov_b32 s16, 0
	s_delay_alu instid0(VALU_DEP_1)
	v_ashrrev_i32_e32 v36, 31, v5
.LBB16_241:                             ;   Parent Loop BB16_93 Depth=1
                                        ;     Parent Loop BB16_96 Depth=2
                                        ; =>    This Inner Loop Header: Depth=3
	s_waitcnt lgkmcnt(0)
	v_add_co_u32 v64, vcc_lo, v2, v5
	s_delay_alu instid0(VALU_DEP_2)
	v_add_co_ci_u32_e32 v65, vcc_lo, v3, v36, vcc_lo
	v_sub_nc_u32_e32 v4, v4, v98
	v_add_co_u32 v5, s13, v5, v114
	flat_load_u8 v131, v[64:65] slc dlc
	v_add_co_ci_u32_e64 v36, s13, v36, v115, s13
	v_cmp_gt_i32_e32 vcc_lo, 1, v4
	s_or_b32 s16, vcc_lo, s16
	s_waitcnt vmcnt(0) lgkmcnt(0)
	flat_store_b8 v[64:65], v131 glc slc dlc
	s_and_not1_b32 exec_lo, exec_lo, s16
	s_cbranch_execnz .LBB16_241
.LBB16_242:                             ;   in Loop: Header=BB16_96 Depth=2
	s_or_b32 exec_lo, exec_lo, s15
.LBB16_243:                             ;   in Loop: Header=BB16_96 Depth=2
	s_delay_alu instid0(SALU_CYCLE_1)
	s_or_b32 exec_lo, exec_lo, s14
.LBB16_244:                             ;   in Loop: Header=BB16_96 Depth=2
	s_and_saveexec_b32 s13, s2
	s_cbranch_execz .LBB16_266
; %bb.245:                              ;   in Loop: Header=BB16_96 Depth=2
	s_and_saveexec_b32 s14, s3
	s_delay_alu instid0(SALU_CYCLE_1)
	s_xor_b32 s14, exec_lo, s14
	s_cbranch_execz .LBB16_263
; %bb.246:                              ;   in Loop: Header=BB16_96 Depth=2
	s_and_saveexec_b32 s15, s1
	s_cbranch_execz .LBB16_262
; %bb.247:                              ;   in Loop: Header=BB16_96 Depth=2
	s_mov_b32 s17, exec_lo
	s_mov_b32 s16, exec_lo
	v_mbcnt_lo_u32_b32 v2, s17, 0
	s_waitcnt lgkmcnt(0)
	s_waitcnt_vscnt null, 0x0
	buffer_gl1_inv
	buffer_gl0_inv
	v_cmpx_eq_u32_e32 0, v2
	s_cbranch_execz .LBB16_249
; %bb.248:                              ;   in Loop: Header=BB16_96 Depth=2
	s_bcnt1_i32_b32 s17, s17
	s_delay_alu instid0(SALU_CYCLE_1)
	v_mov_b32_e32 v36, s17
	ds_add_u64 v0, v[36:37]
	s_cbranch_execnz .LBB16_1427
.LBB16_249:                             ;   in Loop: Header=BB16_96 Depth=2
	s_or_b32 exec_lo, exec_lo, s16
	s_cbranch_execnz .LBB16_1391
; %bb.250:                              ;   in Loop: Header=BB16_96 Depth=2
	ds_load_b64 v[2:3], v0
	v_add_co_u32 v28, vcc_lo, v28, v82
	v_add_co_ci_u32_e32 v29, vcc_lo, 0, v29, vcc_lo
	s_mov_b32 s16, exec_lo
	s_waitcnt lgkmcnt(0)
	s_delay_alu instid0(VALU_DEP_1)
	v_cmpx_lt_u64_e64 v[2:3], v[28:29]
	s_cbranch_execz .LBB16_261
; %bb.251:                              ;   in Loop: Header=BB16_96 Depth=2
	s_mov_b32 s17, 0
	s_mov_b32 s34, 0
                                        ; implicit-def: $sgpr30
                                        ; implicit-def: $sgpr31
	s_branch .LBB16_253
.LBB16_252:                             ;   in Loop: Header=BB16_253 Depth=3
	s_or_b32 exec_lo, exec_lo, s36
	s_delay_alu instid0(SALU_CYCLE_1) | instskip(NEXT) | instid1(SALU_CYCLE_1)
	s_and_b32 vcc_lo, exec_lo, vcc_lo
	s_or_b32 s17, vcc_lo, s17
	s_and_not1_b32 vcc_lo, s30, exec_lo
	s_and_b32 s30, s31, exec_lo
	s_delay_alu instid0(SALU_CYCLE_1)
	s_or_b32 s30, vcc_lo, s30
	s_and_not1_b32 exec_lo, exec_lo, s17
	s_cbranch_execz .LBB16_259
.LBB16_253:                             ;   Parent Loop BB16_93 Depth=1
                                        ;     Parent Loop BB16_96 Depth=2
                                        ; =>    This Inner Loop Header: Depth=3
	s_add_i32 s34, s34, 1
                                        ; implicit-def: $sgpr36
	s_delay_alu instid0(SALU_CYCLE_1) | instskip(SKIP_1) | instid1(SALU_CYCLE_1)
	s_cmpk_lg_i32 s34, 0x2710
	s_cselect_b32 s35, -1, 0
	s_and_b32 vcc_lo, exec_lo, s35
	s_cbranch_vccz .LBB16_257
.LBB16_254:                             ;   in Loop: Header=BB16_253 Depth=3
	s_and_not1_b32 s31, s31, exec_lo
	s_and_b32 s36, s36, exec_lo
	s_mov_b32 vcc_lo, -1
	s_or_b32 s31, s31, s36
	s_and_saveexec_b32 s36, s35
	s_cbranch_execz .LBB16_252
; %bb.255:                              ;   in Loop: Header=BB16_253 Depth=3
	s_sleep 1
	s_cbranch_execnz .LBB16_1498
; %bb.256:                              ;   in Loop: Header=BB16_253 Depth=3
	ds_load_b64 v[2:3], v0
	s_and_not1_b32 s31, s31, exec_lo
	s_waitcnt lgkmcnt(0)
	v_cmp_ge_u64_e32 vcc_lo, v[2:3], v[28:29]
	s_or_not1_b32 vcc_lo, vcc_lo, exec_lo
	s_branch .LBB16_252
.LBB16_257:                             ;   in Loop: Header=BB16_253 Depth=3
	s_cbranch_execnz .LBB16_1512
; %bb.258:                              ;   in Loop: Header=BB16_253 Depth=3
	ds_load_b64 v[2:3], v0
	s_and_not1_b32 s35, s35, exec_lo
	s_mov_b32 s34, 0
	s_mov_b32 s36, -1
	s_waitcnt lgkmcnt(0)
	flat_load_b32 v2, v[2:3] glc
	s_waitcnt vmcnt(0) lgkmcnt(0)
	buffer_gl1_inv
	buffer_gl0_inv
	v_cmp_eq_u32_e32 vcc_lo, 0, v2
	s_and_b32 vcc_lo, vcc_lo, exec_lo
	s_delay_alu instid0(SALU_CYCLE_1)
	s_or_b32 s35, s35, vcc_lo
	s_branch .LBB16_254
.LBB16_259:                             ;   in Loop: Header=BB16_96 Depth=2
	s_or_b32 exec_lo, exec_lo, s17
	s_and_saveexec_b32 s17, s30
	s_delay_alu instid0(SALU_CYCLE_1)
	s_xor_b32 s17, exec_lo, s17
	s_cbranch_execz .LBB16_261
; %bb.260:                              ;   in Loop: Header=BB16_96 Depth=2
	ds_store_b32 v0, v119
	s_cbranch_execnz .LBB16_1596
.LBB16_261:                             ;   in Loop: Header=BB16_96 Depth=2
	s_or_b32 exec_lo, exec_lo, s16
	;;#ASMSTART
	s_wakeup
	;;#ASMEND
.LBB16_262:                             ;   in Loop: Header=BB16_96 Depth=2
	s_or_b32 exec_lo, exec_lo, s15
.LBB16_263:                             ;   in Loop: Header=BB16_96 Depth=2
	s_and_not1_saveexec_b32 s14, s14
	s_cbranch_execz .LBB16_265
; %bb.264:                              ;   in Loop: Header=BB16_96 Depth=2
	s_waitcnt lgkmcnt(0)
	s_waitcnt_vscnt null, 0x0
	buffer_gl1_inv
	buffer_gl0_inv
	s_barrier
.LBB16_265:                             ;   in Loop: Header=BB16_96 Depth=2
	s_or_b32 exec_lo, exec_lo, s14
.LBB16_266:                             ;   in Loop: Header=BB16_96 Depth=2
	s_delay_alu instid0(SALU_CYCLE_1) | instskip(SKIP_1) | instid1(SALU_CYCLE_1)
	s_or_b32 exec_lo, exec_lo, s13
                                        ; implicit-def: $vgpr2
	s_and_saveexec_b32 s13, s6
	s_xor_b32 s14, exec_lo, s13
	s_cbranch_execz .LBB16_270
; %bb.267:                              ;   in Loop: Header=BB16_96 Depth=2
	v_and_b32_e32 v2, 16, v30
	v_cmp_lt_i32_e32 vcc_lo, 0, v53
	s_delay_alu instid0(VALU_DEP_2) | instskip(SKIP_1) | instid1(VALU_DEP_2)
	v_cmp_ne_u32_e64 s13, 0, v2
	v_and_b32_e32 v2, 16, v30
	s_and_b32 s15, s13, vcc_lo
	s_delay_alu instid0(SALU_CYCLE_1)
	s_and_saveexec_b32 s13, s15
	s_cbranch_execz .LBB16_269
; %bb.268:                              ;   in Loop: Header=BB16_96 Depth=2
	v_mov_b32_e32 v2, 1
	s_waitcnt lgkmcnt(0)
	s_waitcnt_vscnt null, 0x0
	buffer_gl1_inv
	buffer_gl0_inv
.LBB16_269:                             ;   in Loop: Header=BB16_96 Depth=2
	s_or_b32 exec_lo, exec_lo, s13
.LBB16_270:                             ;   in Loop: Header=BB16_96 Depth=2
	s_and_not1_saveexec_b32 s13, s14
	s_cbranch_execz .LBB16_292
; %bb.271:                              ;   in Loop: Header=BB16_96 Depth=2
	s_and_saveexec_b32 s14, s3
	s_delay_alu instid0(SALU_CYCLE_1)
	s_xor_b32 s14, exec_lo, s14
	s_cbranch_execz .LBB16_289
; %bb.272:                              ;   in Loop: Header=BB16_96 Depth=2
	s_and_saveexec_b32 s15, s1
	s_cbranch_execz .LBB16_288
; %bb.273:                              ;   in Loop: Header=BB16_96 Depth=2
	s_mov_b32 s17, exec_lo
	s_mov_b32 s16, exec_lo
	v_mbcnt_lo_u32_b32 v2, s17, 0
	;;#ASMSTART
	s_waitcnt lgkmcnt(0) vmcnt(0)
	;;#ASMEND
	s_delay_alu instid0(VALU_DEP_1)
	v_cmpx_eq_u32_e32 0, v2
	s_cbranch_execz .LBB16_275
; %bb.274:                              ;   in Loop: Header=BB16_96 Depth=2
	s_bcnt1_i32_b32 s17, s17
	s_delay_alu instid0(SALU_CYCLE_1)
	v_mov_b32_e32 v36, s17
	ds_add_u64 v0, v[36:37]
	s_cbranch_execnz .LBB16_1437
.LBB16_275:                             ;   in Loop: Header=BB16_96 Depth=2
	s_or_b32 exec_lo, exec_lo, s16
	s_cbranch_execnz .LBB16_1399
; %bb.276:                              ;   in Loop: Header=BB16_96 Depth=2
	ds_load_b64 v[2:3], v0
	v_add_co_u32 v28, vcc_lo, v28, v82
	v_add_co_ci_u32_e32 v29, vcc_lo, 0, v29, vcc_lo
	s_mov_b32 s16, exec_lo
	s_waitcnt lgkmcnt(0)
	s_delay_alu instid0(VALU_DEP_1)
	v_cmpx_lt_u64_e64 v[2:3], v[28:29]
	s_cbranch_execz .LBB16_287
; %bb.277:                              ;   in Loop: Header=BB16_96 Depth=2
	s_mov_b32 s17, 0
	s_mov_b32 s34, 0
                                        ; implicit-def: $sgpr30
                                        ; implicit-def: $sgpr31
	s_branch .LBB16_279
.LBB16_278:                             ;   in Loop: Header=BB16_279 Depth=3
	s_or_b32 exec_lo, exec_lo, s36
	s_delay_alu instid0(SALU_CYCLE_1) | instskip(NEXT) | instid1(SALU_CYCLE_1)
	s_and_b32 vcc_lo, exec_lo, vcc_lo
	s_or_b32 s17, vcc_lo, s17
	s_and_not1_b32 vcc_lo, s30, exec_lo
	s_and_b32 s30, s31, exec_lo
	s_delay_alu instid0(SALU_CYCLE_1)
	s_or_b32 s30, vcc_lo, s30
	s_and_not1_b32 exec_lo, exec_lo, s17
	s_cbranch_execz .LBB16_285
.LBB16_279:                             ;   Parent Loop BB16_93 Depth=1
                                        ;     Parent Loop BB16_96 Depth=2
                                        ; =>    This Inner Loop Header: Depth=3
	s_add_i32 s34, s34, 1
                                        ; implicit-def: $sgpr36
	s_delay_alu instid0(SALU_CYCLE_1) | instskip(SKIP_1) | instid1(SALU_CYCLE_1)
	s_cmpk_lg_i32 s34, 0x2710
	s_cselect_b32 s35, -1, 0
	s_and_b32 vcc_lo, exec_lo, s35
	s_cbranch_vccz .LBB16_283
.LBB16_280:                             ;   in Loop: Header=BB16_279 Depth=3
	s_and_not1_b32 s31, s31, exec_lo
	s_and_b32 s36, s36, exec_lo
	s_mov_b32 vcc_lo, -1
	s_or_b32 s31, s31, s36
	s_and_saveexec_b32 s36, s35
	s_cbranch_execz .LBB16_278
; %bb.281:                              ;   in Loop: Header=BB16_279 Depth=3
	s_sleep 1
	s_cbranch_execnz .LBB16_1504
; %bb.282:                              ;   in Loop: Header=BB16_279 Depth=3
	ds_load_b64 v[2:3], v0
	s_and_not1_b32 s31, s31, exec_lo
	s_waitcnt lgkmcnt(0)
	v_cmp_ge_u64_e32 vcc_lo, v[2:3], v[28:29]
	s_or_not1_b32 vcc_lo, vcc_lo, exec_lo
	s_branch .LBB16_278
.LBB16_283:                             ;   in Loop: Header=BB16_279 Depth=3
	s_cbranch_execnz .LBB16_1520
; %bb.284:                              ;   in Loop: Header=BB16_279 Depth=3
	ds_load_b64 v[2:3], v0
	s_and_not1_b32 s35, s35, exec_lo
	s_mov_b32 s34, 0
	s_mov_b32 s36, -1
	s_waitcnt lgkmcnt(0)
	s_waitcnt_vscnt null, 0x0
	flat_load_b32 v2, v[2:3] glc
	s_waitcnt vmcnt(0) lgkmcnt(0)
	buffer_gl1_inv
	buffer_gl0_inv
	v_cmp_eq_u32_e32 vcc_lo, 0, v2
	s_and_b32 vcc_lo, vcc_lo, exec_lo
	s_delay_alu instid0(SALU_CYCLE_1)
	s_or_b32 s35, s35, vcc_lo
	s_branch .LBB16_280
.LBB16_285:                             ;   in Loop: Header=BB16_96 Depth=2
	s_or_b32 exec_lo, exec_lo, s17
	s_and_saveexec_b32 s17, s30
	s_delay_alu instid0(SALU_CYCLE_1)
	s_xor_b32 s17, exec_lo, s17
	s_cbranch_execz .LBB16_287
; %bb.286:                              ;   in Loop: Header=BB16_96 Depth=2
	ds_store_b32 v0, v119
	s_cbranch_execnz .LBB16_1598
.LBB16_287:                             ;   in Loop: Header=BB16_96 Depth=2
	s_or_b32 exec_lo, exec_lo, s16
	;;#ASMSTART
	s_wakeup
	;;#ASMEND
.LBB16_288:                             ;   in Loop: Header=BB16_96 Depth=2
	s_or_b32 exec_lo, exec_lo, s15
.LBB16_289:                             ;   in Loop: Header=BB16_96 Depth=2
	s_and_not1_saveexec_b32 s14, s14
	s_cbranch_execz .LBB16_291
; %bb.290:                              ;   in Loop: Header=BB16_96 Depth=2
	;;#ASMSTART
	s_waitcnt lgkmcnt(0) vmcnt(0)
	;;#ASMEND
	s_waitcnt lgkmcnt(0)
	s_waitcnt_vscnt null, 0x0
	s_barrier
.LBB16_291:                             ;   in Loop: Header=BB16_96 Depth=2
	s_or_b32 exec_lo, exec_lo, s14
	v_and_b32_e32 v2, 16, v30
.LBB16_292:                             ;   in Loop: Header=BB16_96 Depth=2
	s_or_b32 exec_lo, exec_lo, s13
	s_delay_alu instid0(SALU_CYCLE_1) | instskip(NEXT) | instid1(VALU_DEP_1)
	s_mov_b32 s13, exec_lo
	v_cmpx_ne_u32_e32 0, v2
	s_cbranch_execz .LBB16_296
; %bb.293:                              ;   in Loop: Header=BB16_96 Depth=2
	s_and_saveexec_b32 s14, s10
	s_cbranch_execz .LBB16_295
; %bb.294:                              ;   in Loop: Header=BB16_96 Depth=2
	s_waitcnt lgkmcnt(0)
	s_waitcnt_vscnt null, 0x0
	flat_store_b32 v[32:33], v119
.LBB16_295:                             ;   in Loop: Header=BB16_96 Depth=2
	s_or_b32 exec_lo, exec_lo, s14
	v_add_co_u32 v14, vcc_lo, v14, 2
	v_add_co_ci_u32_e32 v15, vcc_lo, 0, v15, vcc_lo
	s_waitcnt lgkmcnt(0)
	s_waitcnt_vscnt null, 0x0
	flat_store_b64 v[24:25], v[14:15]
.LBB16_296:                             ;   in Loop: Header=BB16_96 Depth=2
	s_or_b32 exec_lo, exec_lo, s13
	v_add_nc_u32_e32 v130, v52, v130
	v_readlane_b32 s13, v58, 1
	s_mov_b32 s15, 2
	s_delay_alu instid0(VALU_DEP_2) | instskip(NEXT) | instid1(VALU_DEP_2)
	v_cmp_ge_i32_e32 vcc_lo, v130, v128
	s_xor_b32 s13, s13, -1
	s_delay_alu instid0(SALU_CYCLE_1) | instskip(NEXT) | instid1(SALU_CYCLE_1)
	s_or_b32 s13, s13, vcc_lo
	s_and_b32 s14, exec_lo, s13
	v_readlane_b32 s13, v58, 0
	s_or_b32 vcc_hi, s14, vcc_hi
	s_mov_b32 s14, 0
	s_delay_alu instid0(VALU_DEP_1)
	v_mov_b32_e32 v2, s13
	s_and_not1_b32 exec_lo, exec_lo, vcc_hi
	s_cbranch_execnz .LBB16_96
; %bb.297:                              ;   in Loop: Header=BB16_93 Depth=1
	s_or_b32 exec_lo, exec_lo, vcc_hi
.LBB16_298:                             ;   in Loop: Header=BB16_93 Depth=1
	s_delay_alu instid0(SALU_CYCLE_1) | instskip(NEXT) | instid1(SALU_CYCLE_1)
	s_or_b32 exec_lo, exec_lo, s29
	s_mov_b32 s14, exec_lo
	v_cmpx_gt_i32_e32 2, v2
	s_cbranch_execz .LBB16_379
; %bb.299:                              ;   in Loop: Header=BB16_93 Depth=1
	v_cmp_eq_u32_e64 s13, 0, v2
	s_mov_b32 s15, 0
.LBB16_300:                             ;   Parent Loop BB16_93 Depth=1
                                        ; =>  This Loop Header: Depth=2
                                        ;       Child Loop BB16_306 Depth 3
                                        ;       Child Loop BB16_333 Depth 3
	;; [unrolled: 1-line block ×3, first 2 shown]
	v_and_b32_e32 v2, 8, v30
	s_mov_b32 s17, -1
	s_mov_b32 s16, exec_lo
	s_delay_alu instid0(VALU_DEP_1)
	v_cmpx_ne_u32_e32 0, v2
	s_cbranch_execz .LBB16_314
; %bb.301:                              ;   in Loop: Header=BB16_300 Depth=2
	v_add_co_u32 v4, vcc_lo, v34, 8
	v_add_co_ci_u32_e32 v5, vcc_lo, 0, v35, vcc_lo
	v_add_co_u32 v2, vcc_lo, v14, 2
	v_add_co_ci_u32_e32 v3, vcc_lo, 0, v15, vcc_lo
	s_delay_alu instid0(VALU_DEP_1)
	v_cmp_lt_u64_e32 vcc_lo, v[4:5], v[2:3]
	v_mov_b32_e32 v4, 1
	s_and_saveexec_b32 s17, vcc_lo
	s_cbranch_execz .LBB16_313
; %bb.302:                              ;   in Loop: Header=BB16_300 Depth=2
	v_mov_b32_e32 v4, 0
	s_mov_b32 s29, 0
                                        ; implicit-def: $vcc_hi
	s_branch .LBB16_306
.LBB16_303:                             ;   in Loop: Header=BB16_306 Depth=3
	s_or_b32 exec_lo, exec_lo, s35
	v_mov_b32_e32 v5, 0
	s_or_not1_b32 s34, s34, exec_lo
.LBB16_304:                             ;   in Loop: Header=BB16_306 Depth=3
	s_or_b32 exec_lo, exec_lo, s31
	s_delay_alu instid0(VALU_DEP_1) | instskip(SKIP_2) | instid1(SALU_CYCLE_1)
	v_mov_b32_e32 v4, v5
	s_and_not1_b32 vcc_lo, vcc_hi, exec_lo
	s_and_b32 vcc_hi, s34, exec_lo
	s_or_b32 vcc_hi, vcc_lo, vcc_hi
.LBB16_305:                             ;   in Loop: Header=BB16_306 Depth=3
	s_or_b32 exec_lo, exec_lo, s30
	s_waitcnt vmcnt(0) lgkmcnt(0)
	v_add_co_u32 v53, vcc_lo, v34, 8
	v_add_co_ci_u32_e32 v54, vcc_lo, 0, v35, vcc_lo
	s_delay_alu instid0(VALU_DEP_1) | instskip(SKIP_1) | instid1(SALU_CYCLE_1)
	v_cmp_ge_u64_e32 vcc_lo, v[53:54], v[2:3]
	s_xor_b32 s30, vcc_hi, -1
	s_or_b32 vcc_lo, s30, vcc_lo
	s_delay_alu instid0(SALU_CYCLE_1) | instskip(NEXT) | instid1(SALU_CYCLE_1)
	s_and_b32 vcc_lo, exec_lo, vcc_lo
	s_or_b32 s29, vcc_lo, s29
	s_delay_alu instid0(SALU_CYCLE_1)
	s_and_not1_b32 exec_lo, exec_lo, s29
	s_cbranch_execz .LBB16_312
.LBB16_306:                             ;   Parent Loop BB16_93 Depth=1
                                        ;     Parent Loop BB16_300 Depth=2
                                        ; =>    This Inner Loop Header: Depth=3
	s_sleep 1
	flat_load_b64 v[34:35], v[24:25] glc
	v_and_b32_e32 v5, 64, v30
	s_and_not1_b32 vcc_hi, vcc_hi, exec_lo
	s_mov_b32 s30, exec_lo
	s_delay_alu instid0(VALU_DEP_1)
	v_cmpx_eq_u32_e32 0, v5
	s_cbranch_execz .LBB16_305
; %bb.307:                              ;   in Loop: Header=BB16_306 Depth=3
	v_add_nc_u32_e32 v5, 1, v4
	s_mov_b32 s34, -1
	s_mov_b32 s31, exec_lo
	v_cmpx_lt_i32_e32 0x270e, v4
	s_cbranch_execz .LBB16_304
; %bb.308:                              ;   in Loop: Header=BB16_306 Depth=3
	s_cbranch_execnz .LBB16_1234
; %bb.309:                              ;   in Loop: Header=BB16_306 Depth=3
	ds_load_b64 v[4:5], v0
	s_mov_b32 s35, exec_lo
	s_waitcnt vmcnt(0) lgkmcnt(0)
	s_waitcnt_vscnt null, 0x0
	flat_load_b32 v4, v[4:5] glc
	s_waitcnt vmcnt(0) lgkmcnt(0)
	buffer_gl1_inv
	buffer_gl0_inv
	v_cmpx_ne_u32_e32 0, v4
	s_cbranch_execz .LBB16_303
; %bb.310:                              ;   in Loop: Header=BB16_306 Depth=3
	ds_store_b32 v0, v4
	s_cbranch_execnz .LBB16_1287
; %bb.311:                              ;   in Loop: Header=BB16_306 Depth=3
	v_or_b32_e32 v30, 64, v30
	s_xor_b32 s34, exec_lo, -1
	s_branch .LBB16_303
.LBB16_312:                             ;   in Loop: Header=BB16_300 Depth=2
	s_or_b32 exec_lo, exec_lo, s29
	v_and_b32_e32 v4, 8, v30
.LBB16_313:                             ;   in Loop: Header=BB16_300 Depth=2
	s_or_b32 exec_lo, exec_lo, s17
	s_delay_alu instid0(VALU_DEP_1)
	v_cmp_eq_u32_e32 vcc_lo, 0, v4
	;;#ASMSTART
	s_wakeup
	;;#ASMEND
	s_or_not1_b32 s17, vcc_lo, exec_lo
.LBB16_314:                             ;   in Loop: Header=BB16_300 Depth=2
	s_or_b32 exec_lo, exec_lo, s16
	v_sub_nc_u32_e32 v2, v128, v130
	s_xor_b32 s13, s13, -1
	s_delay_alu instid0(SALU_CYCLE_1) | instskip(NEXT) | instid1(SALU_CYCLE_1)
	s_and_b32 s13, exec_lo, s13
	s_or_b32 s15, s13, s15
	s_delay_alu instid0(VALU_DEP_1) | instskip(SKIP_1) | instid1(SALU_CYCLE_1)
	v_min_i32_e32 v52, v52, v2
	s_xor_b32 s13, s17, -1
	s_and_saveexec_b32 s16, s13
	s_cbranch_execz .LBB16_324
; %bb.315:                              ;   in Loop: Header=BB16_300 Depth=2
	v_and_b32_e32 v2, 0x100, v30
	v_and_b32_e32 v36, 7, v14
	s_mov_b32 s13, -1
	s_delay_alu instid0(VALU_DEP_2)
	v_cmp_ne_u32_e32 vcc_lo, 0, v2
                                        ; implicit-def: $vgpr2_vgpr3
	s_and_saveexec_b32 s17, vcc_lo
	s_cbranch_execz .LBB16_319
; %bb.316:                              ;   in Loop: Header=BB16_300 Depth=2
	v_mad_u64_u32 v[4:5], null, v36, 24, v[12:13]
	v_ashrrev_i32_e32 v53, 31, v52
	flat_load_b32 v2, v[4:5]
	flat_store_b64 v[4:5], v[52:53] offset:8
	s_waitcnt vmcnt(0) lgkmcnt(1)
	v_cmp_ne_u32_e32 vcc_lo, 1, v2
	v_cmp_eq_u32_e64 s13, 1, v2
                                        ; implicit-def: $vgpr2_vgpr3
	s_delay_alu instid0(VALU_DEP_1)
	s_and_saveexec_b32 s29, s13
	s_cbranch_execz .LBB16_318
; %bb.317:                              ;   in Loop: Header=BB16_300 Depth=2
	flat_load_b32 v2, v[4:5] offset:4 glc
	s_waitcnt vmcnt(0) lgkmcnt(0)
	v_ashrrev_i32_e32 v3, 31, v2
.LBB16_318:                             ;   in Loop: Header=BB16_300 Depth=2
	s_or_b32 exec_lo, exec_lo, s29
	s_delay_alu instid0(SALU_CYCLE_1)
	s_or_not1_b32 s13, vcc_lo, exec_lo
.LBB16_319:                             ;   in Loop: Header=BB16_300 Depth=2
	s_or_b32 exec_lo, exec_lo, s17
	s_and_saveexec_b32 s17, s13
; %bb.320:                              ;   in Loop: Header=BB16_300 Depth=2
	v_mad_i64_i32 v[2:3], null, v36, v68, 0
; %bb.321:                              ;   in Loop: Header=BB16_300 Depth=2
	s_or_b32 exec_lo, exec_lo, s17
	s_delay_alu instid0(VALU_DEP_1) | instskip(SKIP_1) | instid1(VALU_DEP_3)
	v_add_co_u32 v2, vcc_lo, v26, v2
	v_and_b32_e32 v4, 0x2000, v30
	v_add_co_ci_u32_e32 v3, vcc_lo, v27, v3, vcc_lo
	s_mov_b32 s13, exec_lo
	ds_store_b64 v0, v[2:3] offset:792
	v_cmpx_ne_u32_e32 0, v4
	s_cbranch_execz .LBB16_323
; %bb.322:                              ;   in Loop: Header=BB16_300 Depth=2
	ds_load_b64 v[2:3], v0 offset:584
	s_waitcnt lgkmcnt(0)
	v_add_co_u32 v2, vcc_lo, v2, 1
	v_add_co_ci_u32_e32 v3, vcc_lo, 0, v3, vcc_lo
	ds_store_b64 v0, v[2:3] offset:584
.LBB16_323:                             ;   in Loop: Header=BB16_300 Depth=2
	s_or_b32 exec_lo, exec_lo, s13
	v_add_co_u32 v14, vcc_lo, v14, 2
	v_add_co_ci_u32_e32 v15, vcc_lo, 0, v15, vcc_lo
.LBB16_324:                             ;   in Loop: Header=BB16_300 Depth=2
	s_or_b32 exec_lo, exec_lo, s16
	s_and_saveexec_b32 s13, s2
	s_cbranch_execz .LBB16_346
; %bb.325:                              ;   in Loop: Header=BB16_300 Depth=2
	s_and_saveexec_b32 s16, s3
	s_delay_alu instid0(SALU_CYCLE_1)
	s_xor_b32 s16, exec_lo, s16
	s_cbranch_execz .LBB16_343
; %bb.326:                              ;   in Loop: Header=BB16_300 Depth=2
	s_and_saveexec_b32 s17, s1
	s_cbranch_execz .LBB16_342
; %bb.327:                              ;   in Loop: Header=BB16_300 Depth=2
	s_mov_b32 vcc_hi, exec_lo
	s_mov_b32 s29, exec_lo
	v_mbcnt_lo_u32_b32 v2, vcc_hi, 0
	s_waitcnt lgkmcnt(0)
	s_waitcnt_vscnt null, 0x0
	buffer_gl1_inv
	buffer_gl0_inv
	v_cmpx_eq_u32_e32 0, v2
	s_cbranch_execz .LBB16_329
; %bb.328:                              ;   in Loop: Header=BB16_300 Depth=2
	s_bcnt1_i32_b32 vcc_lo, vcc_hi
	s_delay_alu instid0(SALU_CYCLE_1)
	v_mov_b32_e32 v36, vcc_lo
	ds_add_u64 v0, v[36:37]
	s_cbranch_execnz .LBB16_1301
.LBB16_329:                             ;   in Loop: Header=BB16_300 Depth=2
	s_or_b32 exec_lo, exec_lo, s29
	s_cbranch_execnz .LBB16_1289
; %bb.330:                              ;   in Loop: Header=BB16_300 Depth=2
	ds_load_b64 v[2:3], v0
	v_add_co_u32 v28, vcc_lo, v28, v82
	v_add_co_ci_u32_e32 v29, vcc_lo, 0, v29, vcc_lo
	s_mov_b32 s29, exec_lo
	s_waitcnt lgkmcnt(0)
	s_delay_alu instid0(VALU_DEP_1)
	v_cmpx_lt_u64_e64 v[2:3], v[28:29]
	s_cbranch_execz .LBB16_341
; %bb.331:                              ;   in Loop: Header=BB16_300 Depth=2
	s_mov_b32 vcc_hi, 0
	s_mov_b32 s34, 0
                                        ; implicit-def: $sgpr30
                                        ; implicit-def: $sgpr31
	s_branch .LBB16_333
.LBB16_332:                             ;   in Loop: Header=BB16_333 Depth=3
	s_or_b32 exec_lo, exec_lo, s36
	s_delay_alu instid0(SALU_CYCLE_1) | instskip(NEXT) | instid1(SALU_CYCLE_1)
	s_and_b32 vcc_lo, exec_lo, vcc_lo
	s_or_b32 vcc_hi, vcc_lo, vcc_hi
	s_and_not1_b32 vcc_lo, s30, exec_lo
	s_and_b32 s30, s31, exec_lo
	s_delay_alu instid0(SALU_CYCLE_1)
	s_or_b32 s30, vcc_lo, s30
	s_and_not1_b32 exec_lo, exec_lo, vcc_hi
	s_cbranch_execz .LBB16_339
.LBB16_333:                             ;   Parent Loop BB16_93 Depth=1
                                        ;     Parent Loop BB16_300 Depth=2
                                        ; =>    This Inner Loop Header: Depth=3
	s_add_i32 s34, s34, 1
                                        ; implicit-def: $sgpr36
	s_delay_alu instid0(SALU_CYCLE_1) | instskip(SKIP_1) | instid1(SALU_CYCLE_1)
	s_cmpk_lg_i32 s34, 0x2710
	s_cselect_b32 s35, -1, 0
	s_and_b32 vcc_lo, exec_lo, s35
	s_cbranch_vccz .LBB16_337
.LBB16_334:                             ;   in Loop: Header=BB16_333 Depth=3
	s_and_not1_b32 s31, s31, exec_lo
	s_and_b32 s36, s36, exec_lo
	s_mov_b32 vcc_lo, -1
	s_or_b32 s31, s31, s36
	s_and_saveexec_b32 s36, s35
	s_cbranch_execz .LBB16_332
; %bb.335:                              ;   in Loop: Header=BB16_333 Depth=3
	s_sleep 1
	s_cbranch_execnz .LBB16_1351
; %bb.336:                              ;   in Loop: Header=BB16_333 Depth=3
	ds_load_b64 v[2:3], v0
	s_and_not1_b32 s31, s31, exec_lo
	s_waitcnt lgkmcnt(0)
	v_cmp_ge_u64_e32 vcc_lo, v[2:3], v[28:29]
	s_or_not1_b32 vcc_lo, vcc_lo, exec_lo
	s_branch .LBB16_332
.LBB16_337:                             ;   in Loop: Header=BB16_333 Depth=3
	s_cbranch_execnz .LBB16_1365
; %bb.338:                              ;   in Loop: Header=BB16_333 Depth=3
	ds_load_b64 v[2:3], v0
	s_and_not1_b32 s35, s35, exec_lo
	s_mov_b32 s34, 0
	s_mov_b32 s36, -1
	s_waitcnt lgkmcnt(0)
	flat_load_b32 v2, v[2:3] glc
	s_waitcnt vmcnt(0) lgkmcnt(0)
	buffer_gl1_inv
	buffer_gl0_inv
	v_cmp_eq_u32_e32 vcc_lo, 0, v2
	s_and_b32 vcc_lo, vcc_lo, exec_lo
	s_delay_alu instid0(SALU_CYCLE_1)
	s_or_b32 s35, s35, vcc_lo
	s_branch .LBB16_334
.LBB16_339:                             ;   in Loop: Header=BB16_300 Depth=2
	s_or_b32 exec_lo, exec_lo, vcc_hi
	s_and_saveexec_b32 vcc_lo, s30
	s_delay_alu instid0(SALU_CYCLE_1)
	s_xor_b32 vcc_lo, exec_lo, vcc_lo
	s_cbranch_execz .LBB16_341
; %bb.340:                              ;   in Loop: Header=BB16_300 Depth=2
	ds_store_b32 v0, v119
	s_cbranch_execnz .LBB16_1560
.LBB16_341:                             ;   in Loop: Header=BB16_300 Depth=2
	s_or_b32 exec_lo, exec_lo, s29
	;;#ASMSTART
	s_wakeup
	;;#ASMEND
.LBB16_342:                             ;   in Loop: Header=BB16_300 Depth=2
	s_or_b32 exec_lo, exec_lo, s17
.LBB16_343:                             ;   in Loop: Header=BB16_300 Depth=2
	s_and_not1_saveexec_b32 s16, s16
	s_cbranch_execz .LBB16_345
; %bb.344:                              ;   in Loop: Header=BB16_300 Depth=2
	s_waitcnt lgkmcnt(0)
	s_waitcnt_vscnt null, 0x0
	buffer_gl1_inv
	buffer_gl0_inv
	s_barrier
.LBB16_345:                             ;   in Loop: Header=BB16_300 Depth=2
	s_or_b32 exec_lo, exec_lo, s16
.LBB16_346:                             ;   in Loop: Header=BB16_300 Depth=2
	s_delay_alu instid0(SALU_CYCLE_1) | instskip(SKIP_1) | instid1(SALU_CYCLE_1)
	s_or_b32 exec_lo, exec_lo, s13
                                        ; implicit-def: $vgpr2
	s_and_saveexec_b32 s13, s6
	s_xor_b32 s16, exec_lo, s13
	s_cbranch_execz .LBB16_351
; %bb.347:                              ;   in Loop: Header=BB16_300 Depth=2
	s_cbranch_execnz .LBB16_1232
; %bb.348:                              ;   in Loop: Header=BB16_300 Depth=2
	ds_load_b32 v2, v0
	v_cmp_lt_i32_e32 vcc_lo, 0, v52
	s_waitcnt lgkmcnt(0)
	v_readfirstlane_b32 s13, v2
	v_and_b32_e32 v2, 16, v30
	s_delay_alu instid0(VALU_DEP_2) | instskip(NEXT) | instid1(VALU_DEP_1)
	s_cmp_eq_u32 s13, 0
	v_cmp_ne_u32_e64 s13, 0, v2
	s_cselect_b32 s17, -1, 0
	v_and_b32_e32 v2, 16, v30
	s_and_b32 s17, vcc_lo, s17
	s_delay_alu instid0(VALU_DEP_2) | instid1(SALU_CYCLE_1)
	s_and_b32 s17, s13, s17
	s_delay_alu instid0(SALU_CYCLE_1)
	s_and_saveexec_b32 s13, s17
	s_cbranch_execz .LBB16_350
; %bb.349:                              ;   in Loop: Header=BB16_300 Depth=2
	v_mov_b32_e32 v2, 1
	s_waitcnt_vscnt null, 0x0
	buffer_gl1_inv
	buffer_gl0_inv
.LBB16_350:                             ;   in Loop: Header=BB16_300 Depth=2
	s_or_b32 exec_lo, exec_lo, s13
.LBB16_351:                             ;   in Loop: Header=BB16_300 Depth=2
	s_and_not1_saveexec_b32 s13, s16
	s_cbranch_execz .LBB16_373
; %bb.352:                              ;   in Loop: Header=BB16_300 Depth=2
	s_and_saveexec_b32 s16, s3
	s_delay_alu instid0(SALU_CYCLE_1)
	s_xor_b32 s16, exec_lo, s16
	s_cbranch_execz .LBB16_370
; %bb.353:                              ;   in Loop: Header=BB16_300 Depth=2
	s_and_saveexec_b32 s17, s1
	s_cbranch_execz .LBB16_369
; %bb.354:                              ;   in Loop: Header=BB16_300 Depth=2
	s_mov_b32 vcc_hi, exec_lo
	s_mov_b32 s29, exec_lo
	v_mbcnt_lo_u32_b32 v2, vcc_hi, 0
	;;#ASMSTART
	s_waitcnt lgkmcnt(0) vmcnt(0)
	;;#ASMEND
	s_delay_alu instid0(VALU_DEP_1)
	v_cmpx_eq_u32_e32 0, v2
	s_cbranch_execz .LBB16_356
; %bb.355:                              ;   in Loop: Header=BB16_300 Depth=2
	s_bcnt1_i32_b32 vcc_lo, vcc_hi
	s_delay_alu instid0(SALU_CYCLE_1)
	v_mov_b32_e32 v36, vcc_lo
	ds_add_u64 v0, v[36:37]
	s_cbranch_execnz .LBB16_1321
.LBB16_356:                             ;   in Loop: Header=BB16_300 Depth=2
	s_or_b32 exec_lo, exec_lo, s29
	s_cbranch_execnz .LBB16_1299
; %bb.357:                              ;   in Loop: Header=BB16_300 Depth=2
	ds_load_b64 v[2:3], v0
	v_add_co_u32 v28, vcc_lo, v28, v82
	v_add_co_ci_u32_e32 v29, vcc_lo, 0, v29, vcc_lo
	s_mov_b32 s29, exec_lo
	s_waitcnt lgkmcnt(0)
	s_delay_alu instid0(VALU_DEP_1)
	v_cmpx_lt_u64_e64 v[2:3], v[28:29]
	s_cbranch_execz .LBB16_368
; %bb.358:                              ;   in Loop: Header=BB16_300 Depth=2
	s_mov_b32 vcc_hi, 0
	s_mov_b32 s34, 0
                                        ; implicit-def: $sgpr30
                                        ; implicit-def: $sgpr31
	s_branch .LBB16_360
.LBB16_359:                             ;   in Loop: Header=BB16_360 Depth=3
	s_or_b32 exec_lo, exec_lo, s36
	s_delay_alu instid0(SALU_CYCLE_1) | instskip(NEXT) | instid1(SALU_CYCLE_1)
	s_and_b32 vcc_lo, exec_lo, vcc_lo
	s_or_b32 vcc_hi, vcc_lo, vcc_hi
	s_and_not1_b32 vcc_lo, s30, exec_lo
	s_and_b32 s30, s31, exec_lo
	s_delay_alu instid0(SALU_CYCLE_1)
	s_or_b32 s30, vcc_lo, s30
	s_and_not1_b32 exec_lo, exec_lo, vcc_hi
	s_cbranch_execz .LBB16_366
.LBB16_360:                             ;   Parent Loop BB16_93 Depth=1
                                        ;     Parent Loop BB16_300 Depth=2
                                        ; =>    This Inner Loop Header: Depth=3
	s_add_i32 s34, s34, 1
                                        ; implicit-def: $sgpr36
	s_delay_alu instid0(SALU_CYCLE_1) | instskip(SKIP_1) | instid1(SALU_CYCLE_1)
	s_cmpk_lg_i32 s34, 0x2710
	s_cselect_b32 s35, -1, 0
	s_and_b32 vcc_lo, exec_lo, s35
	s_cbranch_vccz .LBB16_364
.LBB16_361:                             ;   in Loop: Header=BB16_360 Depth=3
	s_and_not1_b32 s31, s31, exec_lo
	s_and_b32 s36, s36, exec_lo
	s_mov_b32 vcc_lo, -1
	s_or_b32 s31, s31, s36
	s_and_saveexec_b32 s36, s35
	s_cbranch_execz .LBB16_359
; %bb.362:                              ;   in Loop: Header=BB16_360 Depth=3
	s_sleep 1
	s_cbranch_execnz .LBB16_1373
; %bb.363:                              ;   in Loop: Header=BB16_360 Depth=3
	ds_load_b64 v[2:3], v0
	s_and_not1_b32 s31, s31, exec_lo
	s_waitcnt lgkmcnt(0)
	v_cmp_ge_u64_e32 vcc_lo, v[2:3], v[28:29]
	s_or_not1_b32 vcc_lo, vcc_lo, exec_lo
	s_branch .LBB16_359
.LBB16_364:                             ;   in Loop: Header=BB16_360 Depth=3
	s_cbranch_execnz .LBB16_1385
; %bb.365:                              ;   in Loop: Header=BB16_360 Depth=3
	ds_load_b64 v[2:3], v0
	s_and_not1_b32 s35, s35, exec_lo
	s_mov_b32 s34, 0
	s_mov_b32 s36, -1
	s_waitcnt lgkmcnt(0)
	s_waitcnt_vscnt null, 0x0
	flat_load_b32 v2, v[2:3] glc
	s_waitcnt vmcnt(0) lgkmcnt(0)
	buffer_gl1_inv
	buffer_gl0_inv
	v_cmp_eq_u32_e32 vcc_lo, 0, v2
	s_and_b32 vcc_lo, vcc_lo, exec_lo
	s_delay_alu instid0(SALU_CYCLE_1)
	s_or_b32 s35, s35, vcc_lo
	s_branch .LBB16_361
.LBB16_366:                             ;   in Loop: Header=BB16_300 Depth=2
	s_or_b32 exec_lo, exec_lo, vcc_hi
	s_and_saveexec_b32 vcc_lo, s30
	s_delay_alu instid0(SALU_CYCLE_1)
	s_xor_b32 vcc_lo, exec_lo, vcc_lo
	s_cbranch_execz .LBB16_368
; %bb.367:                              ;   in Loop: Header=BB16_300 Depth=2
	ds_store_b32 v0, v119
	s_cbranch_execnz .LBB16_1568
.LBB16_368:                             ;   in Loop: Header=BB16_300 Depth=2
	s_or_b32 exec_lo, exec_lo, s29
	;;#ASMSTART
	s_wakeup
	;;#ASMEND
.LBB16_369:                             ;   in Loop: Header=BB16_300 Depth=2
	s_or_b32 exec_lo, exec_lo, s17
.LBB16_370:                             ;   in Loop: Header=BB16_300 Depth=2
	s_and_not1_saveexec_b32 s16, s16
	s_cbranch_execz .LBB16_372
; %bb.371:                              ;   in Loop: Header=BB16_300 Depth=2
	;;#ASMSTART
	s_waitcnt lgkmcnt(0) vmcnt(0)
	;;#ASMEND
	s_waitcnt lgkmcnt(0)
	s_waitcnt_vscnt null, 0x0
	s_barrier
.LBB16_372:                             ;   in Loop: Header=BB16_300 Depth=2
	s_or_b32 exec_lo, exec_lo, s16
	v_and_b32_e32 v2, 16, v30
.LBB16_373:                             ;   in Loop: Header=BB16_300 Depth=2
	s_or_b32 exec_lo, exec_lo, s13
	s_delay_alu instid0(SALU_CYCLE_1) | instskip(NEXT) | instid1(VALU_DEP_1)
	s_mov_b32 s13, exec_lo
	v_cmpx_ne_u32_e32 0, v2
	s_cbranch_execz .LBB16_377
; %bb.374:                              ;   in Loop: Header=BB16_300 Depth=2
	s_and_saveexec_b32 s16, s10
	s_cbranch_execz .LBB16_376
; %bb.375:                              ;   in Loop: Header=BB16_300 Depth=2
	s_waitcnt lgkmcnt(0)
	s_waitcnt_vscnt null, 0x0
	flat_store_b32 v[32:33], v119
.LBB16_376:                             ;   in Loop: Header=BB16_300 Depth=2
	s_or_b32 exec_lo, exec_lo, s16
	v_add_co_u32 v14, vcc_lo, v14, 2
	v_add_co_ci_u32_e32 v15, vcc_lo, 0, v15, vcc_lo
	s_waitcnt lgkmcnt(0)
	s_waitcnt_vscnt null, 0x0
	flat_store_b64 v[24:25], v[14:15]
.LBB16_377:                             ;   in Loop: Header=BB16_300 Depth=2
	s_or_b32 exec_lo, exec_lo, s13
	v_add_nc_u32_e32 v130, v52, v130
	s_mov_b32 s13, 0
	s_and_not1_b32 exec_lo, exec_lo, s15
	s_cbranch_execnz .LBB16_300
; %bb.378:                              ;   in Loop: Header=BB16_93 Depth=1
	s_or_b32 exec_lo, exec_lo, s15
.LBB16_379:                             ;   in Loop: Header=BB16_93 Depth=1
	s_delay_alu instid0(SALU_CYCLE_1)
	s_or_b32 exec_lo, exec_lo, s14
.LBB16_380:                             ;   in Loop: Header=BB16_93 Depth=1
	s_and_not1_saveexec_b32 s15, s28
	s_cbranch_execz .LBB16_626
; %bb.381:                              ;   in Loop: Header=BB16_93 Depth=1
	v_dual_mov_b32 v3, 0 :: v_dual_mov_b32 v2, v129
	v_mov_b32_e32 v5, 0
	s_mov_b32 s17, 0
	s_and_saveexec_b32 s16, s12
	s_cbranch_execz .LBB16_544
; %bb.382:                              ;   in Loop: Header=BB16_93 Depth=1
	v_dual_mov_b32 v5, 0 :: v_dual_mov_b32 v2, v129
	s_mov_b32 s29, 1
	s_mov_b32 s28, -1
.LBB16_383:                             ;   Parent Loop BB16_93 Depth=1
                                        ; =>  This Loop Header: Depth=2
                                        ;       Child Loop BB16_392 Depth 3
                                        ;       Child Loop BB16_419 Depth 3
                                        ;       Child Loop BB16_442 Depth 3
                                        ;       Child Loop BB16_465 Depth 3
                                        ;       Child Loop BB16_471 Depth 3
                                        ;       Child Loop BB16_481 Depth 3
                                        ;       Child Loop BB16_487 Depth 3
                                        ;       Child Loop BB16_499 Depth 3
                                        ;       Child Loop BB16_525 Depth 3
	s_and_saveexec_b32 s13, s0
	s_cbranch_execz .LBB16_386
; %bb.384:                              ;   in Loop: Header=BB16_383 Depth=2
	s_cbranch_execnz .LBB16_1230
; %bb.385:                              ;   in Loop: Header=BB16_383 Depth=2
	ds_load_b64 v[3:4], v0
	v_ashrrev_i32_e32 v36, 31, v5
	s_waitcnt lgkmcnt(0)
	v_add_co_u32 v3, vcc_lo, v3, v50
	v_add_co_ci_u32_e32 v4, vcc_lo, v4, v51, vcc_lo
	s_delay_alu instid0(VALU_DEP_2) | instskip(NEXT) | instid1(VALU_DEP_2)
	v_add_co_u32 v3, vcc_lo, v3, v5
	v_add_co_ci_u32_e32 v4, vcc_lo, v4, v36, vcc_lo
	v_mov_b32_e32 v36, v37
	ds_store_b64 v0, v[3:4]
	ds_store_b64 v0, v[36:37]
.LBB16_386:                             ;   in Loop: Header=BB16_383 Depth=2
	s_or_b32 exec_lo, exec_lo, s13
	v_and_b32_e32 v3, 8, v30
	s_mov_b32 s14, -1
	s_mov_b32 s13, exec_lo
	s_delay_alu instid0(VALU_DEP_1)
	v_cmpx_ne_u32_e32 0, v3
	s_cbranch_execz .LBB16_400
; %bb.387:                              ;   in Loop: Header=BB16_383 Depth=2
	v_add_co_u32 v52, vcc_lo, v34, 8
	v_add_co_ci_u32_e32 v53, vcc_lo, 0, v35, vcc_lo
	v_add_co_u32 v3, vcc_lo, v14, 2
	v_add_co_ci_u32_e32 v4, vcc_lo, 0, v15, vcc_lo
	v_mov_b32_e32 v36, 1
	s_mov_b32 s14, exec_lo
	s_delay_alu instid0(VALU_DEP_2)
	v_cmpx_lt_u64_e64 v[52:53], v[3:4]
	s_cbranch_execz .LBB16_399
; %bb.388:                              ;   in Loop: Header=BB16_383 Depth=2
	v_mov_b32_e32 v36, 0
	s_mov_b32 vcc_hi, 0
                                        ; implicit-def: $sgpr30
	s_branch .LBB16_392
.LBB16_389:                             ;   in Loop: Header=BB16_392 Depth=3
	s_or_b32 exec_lo, exec_lo, s36
	v_mov_b32_e32 v52, 0
	s_or_not1_b32 s35, s35, exec_lo
.LBB16_390:                             ;   in Loop: Header=BB16_392 Depth=3
	s_or_b32 exec_lo, exec_lo, s34
	s_delay_alu instid0(VALU_DEP_1) | instskip(SKIP_2) | instid1(SALU_CYCLE_1)
	v_mov_b32_e32 v36, v52
	s_and_not1_b32 vcc_lo, s30, exec_lo
	s_and_b32 s30, s35, exec_lo
	s_or_b32 s30, vcc_lo, s30
.LBB16_391:                             ;   in Loop: Header=BB16_392 Depth=3
	s_or_b32 exec_lo, exec_lo, s31
	s_waitcnt vmcnt(0) lgkmcnt(0)
	v_add_co_u32 v52, vcc_lo, v34, 8
	v_add_co_ci_u32_e32 v53, vcc_lo, 0, v35, vcc_lo
	s_xor_b32 s31, s30, -1
	s_delay_alu instid0(VALU_DEP_1) | instskip(SKIP_1) | instid1(SALU_CYCLE_1)
	v_cmp_ge_u64_e32 vcc_lo, v[52:53], v[3:4]
	s_or_b32 vcc_lo, s31, vcc_lo
	s_and_b32 vcc_lo, exec_lo, vcc_lo
	s_delay_alu instid0(SALU_CYCLE_1) | instskip(NEXT) | instid1(SALU_CYCLE_1)
	s_or_b32 vcc_hi, vcc_lo, vcc_hi
	s_and_not1_b32 exec_lo, exec_lo, vcc_hi
	s_cbranch_execz .LBB16_398
.LBB16_392:                             ;   Parent Loop BB16_93 Depth=1
                                        ;     Parent Loop BB16_383 Depth=2
                                        ; =>    This Inner Loop Header: Depth=3
	s_sleep 1
	flat_load_b64 v[34:35], v[24:25] glc
	v_and_b32_e32 v52, 64, v30
	s_and_not1_b32 s30, s30, exec_lo
	s_mov_b32 s31, exec_lo
	s_delay_alu instid0(VALU_DEP_1)
	v_cmpx_eq_u32_e32 0, v52
	s_cbranch_execz .LBB16_391
; %bb.393:                              ;   in Loop: Header=BB16_392 Depth=3
	v_add_nc_u32_e32 v52, 1, v36
	s_mov_b32 s35, -1
	s_mov_b32 s34, exec_lo
	v_cmpx_lt_i32_e32 0x270e, v36
	s_cbranch_execz .LBB16_390
; %bb.394:                              ;   in Loop: Header=BB16_392 Depth=3
	s_cbranch_execnz .LBB16_1252
; %bb.395:                              ;   in Loop: Header=BB16_392 Depth=3
	ds_load_b64 v[52:53], v0
	s_mov_b32 s36, exec_lo
	s_waitcnt vmcnt(0) lgkmcnt(0)
	s_waitcnt_vscnt null, 0x0
	flat_load_b32 v36, v[52:53] glc
	s_waitcnt vmcnt(0) lgkmcnt(0)
	buffer_gl1_inv
	buffer_gl0_inv
	v_cmpx_ne_u32_e32 0, v36
	s_cbranch_execz .LBB16_389
; %bb.396:                              ;   in Loop: Header=BB16_392 Depth=3
	ds_store_b32 v0, v36
	s_cbranch_execnz .LBB16_1305
; %bb.397:                              ;   in Loop: Header=BB16_392 Depth=3
	v_or_b32_e32 v30, 64, v30
	s_xor_b32 s35, exec_lo, -1
	s_branch .LBB16_389
.LBB16_398:                             ;   in Loop: Header=BB16_383 Depth=2
	s_or_b32 exec_lo, exec_lo, vcc_hi
	v_and_b32_e32 v36, 8, v30
.LBB16_399:                             ;   in Loop: Header=BB16_383 Depth=2
	s_or_b32 exec_lo, exec_lo, s14
	s_delay_alu instid0(VALU_DEP_1)
	v_cmp_eq_u32_e32 vcc_lo, 0, v36
	;;#ASMSTART
	s_wakeup
	;;#ASMEND
	s_or_not1_b32 s14, vcc_lo, exec_lo
.LBB16_400:                             ;   in Loop: Header=BB16_383 Depth=2
	s_or_b32 exec_lo, exec_lo, s13
	v_sub_nc_u32_e32 v3, v128, v5
	s_xor_b32 s13, s14, -1
	s_delay_alu instid0(VALU_DEP_1)
	v_min_i32_e32 v2, v2, v3
	s_and_saveexec_b32 s14, s13
	s_cbranch_execz .LBB16_410
; %bb.401:                              ;   in Loop: Header=BB16_383 Depth=2
	v_and_b32_e32 v3, 0x100, v30
	v_and_b32_e32 v36, 7, v14
	s_mov_b32 s13, -1
	s_delay_alu instid0(VALU_DEP_2)
	v_cmp_ne_u32_e32 vcc_lo, 0, v3
                                        ; implicit-def: $vgpr3_vgpr4
	s_and_saveexec_b32 vcc_hi, vcc_lo
	s_cbranch_execz .LBB16_405
; %bb.402:                              ;   in Loop: Header=BB16_383 Depth=2
	v_mad_u64_u32 v[52:53], null, v36, 24, v[12:13]
	v_ashrrev_i32_e32 v3, 31, v2
	flat_load_b32 v4, v[52:53]
	flat_store_b64 v[52:53], v[2:3] offset:8
	s_waitcnt vmcnt(0) lgkmcnt(1)
	v_cmp_ne_u32_e32 vcc_lo, 1, v4
	v_cmp_eq_u32_e64 s13, 1, v4
                                        ; implicit-def: $vgpr3_vgpr4
	s_delay_alu instid0(VALU_DEP_1)
	s_and_saveexec_b32 s30, s13
	s_cbranch_execz .LBB16_404
; %bb.403:                              ;   in Loop: Header=BB16_383 Depth=2
	flat_load_b32 v3, v[52:53] offset:4 glc
	s_waitcnt vmcnt(0) lgkmcnt(0)
	v_ashrrev_i32_e32 v4, 31, v3
.LBB16_404:                             ;   in Loop: Header=BB16_383 Depth=2
	s_or_b32 exec_lo, exec_lo, s30
	s_delay_alu instid0(SALU_CYCLE_1)
	s_or_not1_b32 s13, vcc_lo, exec_lo
.LBB16_405:                             ;   in Loop: Header=BB16_383 Depth=2
	s_or_b32 exec_lo, exec_lo, vcc_hi
	s_and_saveexec_b32 vcc_lo, s13
; %bb.406:                              ;   in Loop: Header=BB16_383 Depth=2
	v_mad_i64_i32 v[3:4], null, v36, v68, 0
; %bb.407:                              ;   in Loop: Header=BB16_383 Depth=2
	s_or_b32 exec_lo, exec_lo, vcc_lo
	s_delay_alu instid0(VALU_DEP_1) | instskip(SKIP_1) | instid1(VALU_DEP_3)
	v_add_co_u32 v3, vcc_lo, v26, v3
	v_and_b32_e32 v36, 0x2000, v30
	v_add_co_ci_u32_e32 v4, vcc_lo, v27, v4, vcc_lo
	s_mov_b32 s13, exec_lo
	ds_store_b64 v0, v[3:4] offset:784
	v_cmpx_ne_u32_e32 0, v36
	s_cbranch_execz .LBB16_409
; %bb.408:                              ;   in Loop: Header=BB16_383 Depth=2
	ds_load_b64 v[3:4], v0 offset:584
	s_waitcnt lgkmcnt(0)
	v_add_co_u32 v3, vcc_lo, v3, 1
	v_add_co_ci_u32_e32 v4, vcc_lo, 0, v4, vcc_lo
	ds_store_b64 v0, v[3:4] offset:584
.LBB16_409:                             ;   in Loop: Header=BB16_383 Depth=2
	s_or_b32 exec_lo, exec_lo, s13
	v_add_co_u32 v14, vcc_lo, v14, 2
	v_add_co_ci_u32_e32 v15, vcc_lo, 0, v15, vcc_lo
.LBB16_410:                             ;   in Loop: Header=BB16_383 Depth=2
	s_or_b32 exec_lo, exec_lo, s14
	s_and_saveexec_b32 s13, s2
	s_cbranch_execz .LBB16_432
; %bb.411:                              ;   in Loop: Header=BB16_383 Depth=2
	s_and_saveexec_b32 s14, s3
	s_delay_alu instid0(SALU_CYCLE_1)
	s_xor_b32 s14, exec_lo, s14
	s_cbranch_execz .LBB16_429
; %bb.412:                              ;   in Loop: Header=BB16_383 Depth=2
	s_and_saveexec_b32 vcc_hi, s1
	s_cbranch_execz .LBB16_428
; %bb.413:                              ;   in Loop: Header=BB16_383 Depth=2
	s_mov_b32 s31, exec_lo
	s_mov_b32 s30, exec_lo
	v_mbcnt_lo_u32_b32 v3, s31, 0
	s_waitcnt lgkmcnt(0)
	s_waitcnt_vscnt null, 0x0
	buffer_gl1_inv
	buffer_gl0_inv
	v_cmpx_eq_u32_e32 0, v3
	s_cbranch_execz .LBB16_415
; %bb.414:                              ;   in Loop: Header=BB16_383 Depth=2
	s_bcnt1_i32_b32 vcc_lo, s31
	s_delay_alu instid0(SALU_CYCLE_1)
	v_mov_b32_e32 v36, vcc_lo
	ds_add_u64 v0, v[36:37]
	s_cbranch_execnz .LBB16_1333
.LBB16_415:                             ;   in Loop: Header=BB16_383 Depth=2
	s_or_b32 exec_lo, exec_lo, s30
	s_cbranch_execnz .LBB16_1311
; %bb.416:                              ;   in Loop: Header=BB16_383 Depth=2
	ds_load_b64 v[3:4], v0
	v_add_co_u32 v28, vcc_lo, v28, v82
	v_add_co_ci_u32_e32 v29, vcc_lo, 0, v29, vcc_lo
	s_mov_b32 s30, exec_lo
	s_waitcnt lgkmcnt(0)
	s_delay_alu instid0(VALU_DEP_1)
	v_cmpx_lt_u64_e64 v[3:4], v[28:29]
	s_cbranch_execz .LBB16_427
; %bb.417:                              ;   in Loop: Header=BB16_383 Depth=2
	s_mov_b32 s31, 0
	s_mov_b32 s36, 0
                                        ; implicit-def: $sgpr34
                                        ; implicit-def: $sgpr35
	s_branch .LBB16_419
.LBB16_418:                             ;   in Loop: Header=BB16_419 Depth=3
	s_or_b32 exec_lo, exec_lo, s38
	s_delay_alu instid0(SALU_CYCLE_1) | instskip(NEXT) | instid1(SALU_CYCLE_1)
	s_and_b32 vcc_lo, exec_lo, vcc_lo
	s_or_b32 s31, vcc_lo, s31
	s_and_not1_b32 vcc_lo, s34, exec_lo
	s_and_b32 s34, s35, exec_lo
	s_delay_alu instid0(SALU_CYCLE_1)
	s_or_b32 s34, vcc_lo, s34
	s_and_not1_b32 exec_lo, exec_lo, s31
	s_cbranch_execz .LBB16_425
.LBB16_419:                             ;   Parent Loop BB16_93 Depth=1
                                        ;     Parent Loop BB16_383 Depth=2
                                        ; =>    This Inner Loop Header: Depth=3
	s_add_i32 s36, s36, 1
                                        ; implicit-def: $sgpr38
	s_delay_alu instid0(SALU_CYCLE_1) | instskip(SKIP_1) | instid1(SALU_CYCLE_1)
	s_cmpk_lg_i32 s36, 0x2710
	s_cselect_b32 s37, -1, 0
	s_and_b32 vcc_lo, exec_lo, s37
	s_cbranch_vccz .LBB16_423
.LBB16_420:                             ;   in Loop: Header=BB16_419 Depth=3
	s_and_not1_b32 s35, s35, exec_lo
	s_and_b32 s38, s38, exec_lo
	s_mov_b32 vcc_lo, -1
	s_or_b32 s35, s35, s38
	s_and_saveexec_b32 s38, s37
	s_cbranch_execz .LBB16_418
; %bb.421:                              ;   in Loop: Header=BB16_419 Depth=3
	s_sleep 1
	s_cbranch_execnz .LBB16_1383
; %bb.422:                              ;   in Loop: Header=BB16_419 Depth=3
	ds_load_b64 v[3:4], v0
	s_and_not1_b32 s35, s35, exec_lo
	s_waitcnt lgkmcnt(0)
	v_cmp_ge_u64_e32 vcc_lo, v[3:4], v[28:29]
	s_or_not1_b32 vcc_lo, vcc_lo, exec_lo
	s_branch .LBB16_418
.LBB16_423:                             ;   in Loop: Header=BB16_419 Depth=3
	s_cbranch_execnz .LBB16_1393
; %bb.424:                              ;   in Loop: Header=BB16_419 Depth=3
	ds_load_b64 v[3:4], v0
	s_and_not1_b32 s37, s37, exec_lo
	s_mov_b32 s36, 0
	s_mov_b32 s38, -1
	s_waitcnt lgkmcnt(0)
	flat_load_b32 v3, v[3:4] glc
	s_waitcnt vmcnt(0) lgkmcnt(0)
	buffer_gl1_inv
	buffer_gl0_inv
	v_cmp_eq_u32_e32 vcc_lo, 0, v3
	s_and_b32 vcc_lo, vcc_lo, exec_lo
	s_delay_alu instid0(SALU_CYCLE_1)
	s_or_b32 s37, s37, vcc_lo
	s_branch .LBB16_420
.LBB16_425:                             ;   in Loop: Header=BB16_383 Depth=2
	s_or_b32 exec_lo, exec_lo, s31
	s_and_saveexec_b32 vcc_lo, s34
	s_delay_alu instid0(SALU_CYCLE_1)
	s_xor_b32 vcc_lo, exec_lo, vcc_lo
	s_cbranch_execz .LBB16_427
; %bb.426:                              ;   in Loop: Header=BB16_383 Depth=2
	ds_store_b32 v0, v119
	s_cbranch_execnz .LBB16_1572
.LBB16_427:                             ;   in Loop: Header=BB16_383 Depth=2
	s_or_b32 exec_lo, exec_lo, s30
	;;#ASMSTART
	s_wakeup
	;;#ASMEND
.LBB16_428:                             ;   in Loop: Header=BB16_383 Depth=2
	s_or_b32 exec_lo, exec_lo, vcc_hi
.LBB16_429:                             ;   in Loop: Header=BB16_383 Depth=2
	s_and_not1_saveexec_b32 s14, s14
	s_cbranch_execz .LBB16_431
; %bb.430:                              ;   in Loop: Header=BB16_383 Depth=2
	s_waitcnt lgkmcnt(0)
	s_waitcnt_vscnt null, 0x0
	buffer_gl1_inv
	buffer_gl0_inv
	s_barrier
.LBB16_431:                             ;   in Loop: Header=BB16_383 Depth=2
	s_or_b32 exec_lo, exec_lo, s14
.LBB16_432:                             ;   in Loop: Header=BB16_383 Depth=2
	s_delay_alu instid0(SALU_CYCLE_1)
	s_or_b32 exec_lo, exec_lo, s13
	s_cbranch_execnz .LBB16_1228
; %bb.433:                              ;   in Loop: Header=BB16_383 Depth=2
	ds_load_b32 v3, v0
	v_and_b32_e32 v4, 0x4000, v30
	s_delay_alu instid0(VALU_DEP_1) | instskip(SKIP_1) | instid1(SALU_CYCLE_1)
	v_cmp_ne_u32_e32 vcc_lo, 0, v4
	s_and_b32 s14, s27, vcc_lo
	s_and_saveexec_b32 s13, s14
	s_cbranch_execz .LBB16_455
; %bb.434:                              ;   in Loop: Header=BB16_383 Depth=2
	s_and_saveexec_b32 s14, s3
	s_delay_alu instid0(SALU_CYCLE_1)
	s_xor_b32 s14, exec_lo, s14
	s_cbranch_execz .LBB16_452
; %bb.435:                              ;   in Loop: Header=BB16_383 Depth=2
	s_and_saveexec_b32 vcc_hi, s1
	s_cbranch_execz .LBB16_451
; %bb.436:                              ;   in Loop: Header=BB16_383 Depth=2
	s_mov_b32 s31, exec_lo
	s_mov_b32 s30, exec_lo
	v_mbcnt_lo_u32_b32 v4, s31, 0
	s_waitcnt lgkmcnt(0)
	s_waitcnt_vscnt null, 0x0
	buffer_gl1_inv
	buffer_gl0_inv
	v_cmpx_eq_u32_e32 0, v4
	s_cbranch_execz .LBB16_438
; %bb.437:                              ;   in Loop: Header=BB16_383 Depth=2
	s_bcnt1_i32_b32 vcc_lo, s31
	s_delay_alu instid0(SALU_CYCLE_1)
	v_mov_b32_e32 v36, vcc_lo
	ds_add_u64 v0, v[36:37]
	s_cbranch_execnz .LBB16_1377
.LBB16_438:                             ;   in Loop: Header=BB16_383 Depth=2
	s_or_b32 exec_lo, exec_lo, s30
	s_cbranch_execnz .LBB16_1355
; %bb.439:                              ;   in Loop: Header=BB16_383 Depth=2
	ds_load_b64 v[52:53], v0
	v_add_co_u32 v28, vcc_lo, v28, v82
	v_add_co_ci_u32_e32 v29, vcc_lo, 0, v29, vcc_lo
	s_mov_b32 s30, exec_lo
	s_waitcnt lgkmcnt(0)
	s_delay_alu instid0(VALU_DEP_1)
	v_cmpx_lt_u64_e64 v[52:53], v[28:29]
	s_cbranch_execz .LBB16_450
; %bb.440:                              ;   in Loop: Header=BB16_383 Depth=2
	s_mov_b32 s31, 0
	s_mov_b32 s36, 0
                                        ; implicit-def: $sgpr34
                                        ; implicit-def: $sgpr35
	s_branch .LBB16_442
.LBB16_441:                             ;   in Loop: Header=BB16_442 Depth=3
	s_or_b32 exec_lo, exec_lo, s38
	s_delay_alu instid0(SALU_CYCLE_1) | instskip(NEXT) | instid1(SALU_CYCLE_1)
	s_and_b32 vcc_lo, exec_lo, vcc_lo
	s_or_b32 s31, vcc_lo, s31
	s_and_not1_b32 vcc_lo, s34, exec_lo
	s_and_b32 s34, s35, exec_lo
	s_delay_alu instid0(SALU_CYCLE_1)
	s_or_b32 s34, vcc_lo, s34
	s_and_not1_b32 exec_lo, exec_lo, s31
	s_cbranch_execz .LBB16_448
.LBB16_442:                             ;   Parent Loop BB16_93 Depth=1
                                        ;     Parent Loop BB16_383 Depth=2
                                        ; =>    This Inner Loop Header: Depth=3
	s_add_i32 s36, s36, 1
                                        ; implicit-def: $sgpr38
	s_delay_alu instid0(SALU_CYCLE_1) | instskip(SKIP_1) | instid1(SALU_CYCLE_1)
	s_cmpk_lg_i32 s36, 0x2710
	s_cselect_b32 s37, -1, 0
	s_and_b32 vcc_lo, exec_lo, s37
	s_cbranch_vccz .LBB16_446
.LBB16_443:                             ;   in Loop: Header=BB16_442 Depth=3
	s_and_not1_b32 s35, s35, exec_lo
	s_and_b32 s38, s38, exec_lo
	s_mov_b32 vcc_lo, -1
	s_or_b32 s35, s35, s38
	s_and_saveexec_b32 s38, s37
	s_cbranch_execz .LBB16_441
; %bb.444:                              ;   in Loop: Header=BB16_442 Depth=3
	s_sleep 1
	s_cbranch_execnz .LBB16_1443
; %bb.445:                              ;   in Loop: Header=BB16_442 Depth=3
	ds_load_b64 v[52:53], v0
	s_and_not1_b32 s35, s35, exec_lo
	s_waitcnt lgkmcnt(0)
	v_cmp_ge_u64_e32 vcc_lo, v[52:53], v[28:29]
	s_or_not1_b32 vcc_lo, vcc_lo, exec_lo
	s_branch .LBB16_441
.LBB16_446:                             ;   in Loop: Header=BB16_442 Depth=3
	s_cbranch_execnz .LBB16_1472
; %bb.447:                              ;   in Loop: Header=BB16_442 Depth=3
	ds_load_b64 v[52:53], v0
	s_and_not1_b32 s37, s37, exec_lo
	s_mov_b32 s36, 0
	s_mov_b32 s38, -1
	s_waitcnt lgkmcnt(0)
	flat_load_b32 v4, v[52:53] glc
	s_waitcnt vmcnt(0) lgkmcnt(0)
	buffer_gl1_inv
	buffer_gl0_inv
	v_cmp_eq_u32_e32 vcc_lo, 0, v4
	s_and_b32 vcc_lo, vcc_lo, exec_lo
	s_delay_alu instid0(SALU_CYCLE_1)
	s_or_b32 s37, s37, vcc_lo
	s_branch .LBB16_443
.LBB16_448:                             ;   in Loop: Header=BB16_383 Depth=2
	s_or_b32 exec_lo, exec_lo, s31
	s_and_saveexec_b32 vcc_lo, s34
	s_delay_alu instid0(SALU_CYCLE_1)
	s_xor_b32 vcc_lo, exec_lo, vcc_lo
	s_cbranch_execz .LBB16_450
; %bb.449:                              ;   in Loop: Header=BB16_383 Depth=2
	ds_store_b32 v0, v119
	s_cbranch_execnz .LBB16_1590
.LBB16_450:                             ;   in Loop: Header=BB16_383 Depth=2
	s_or_b32 exec_lo, exec_lo, s30
	;;#ASMSTART
	s_wakeup
	;;#ASMEND
.LBB16_451:                             ;   in Loop: Header=BB16_383 Depth=2
	s_or_b32 exec_lo, exec_lo, vcc_hi
.LBB16_452:                             ;   in Loop: Header=BB16_383 Depth=2
	s_and_not1_saveexec_b32 s14, s14
	s_cbranch_execz .LBB16_454
; %bb.453:                              ;   in Loop: Header=BB16_383 Depth=2
	s_waitcnt lgkmcnt(0)
	s_waitcnt_vscnt null, 0x0
	buffer_gl1_inv
	buffer_gl0_inv
	s_barrier
.LBB16_454:                             ;   in Loop: Header=BB16_383 Depth=2
	s_or_b32 exec_lo, exec_lo, s14
.LBB16_455:                             ;   in Loop: Header=BB16_383 Depth=2
	s_delay_alu instid0(SALU_CYCLE_1)
	s_or_b32 exec_lo, exec_lo, s13
	s_cbranch_execnz .LBB16_1256
; %bb.456:                              ;   in Loop: Header=BB16_383 Depth=2
	ds_load_b64 v[52:53], v0
	v_mov_b32_e32 v54, 0
	s_waitcnt lgkmcnt(0)
	v_cmp_eq_u64_e32 vcc_lo, 0, v[52:53]
	s_or_b32 s13, vcc_lo, vcc_lo
	s_delay_alu instid0(SALU_CYCLE_1)
	s_and_b32 vcc_lo, exec_lo, s13
	s_cbranch_vccnz .LBB16_490
; %bb.457:                              ;   in Loop: Header=BB16_383 Depth=2
	s_mov_b32 s13, -1
	s_and_saveexec_b32 s14, s4
	s_cbranch_execz .LBB16_459
; %bb.458:                              ;   in Loop: Header=BB16_383 Depth=2
	ds_load_b32 v4, v0 offset:720
	s_waitcnt lgkmcnt(0)
	v_and_b32_e32 v4, 15, v4
	s_delay_alu instid0(VALU_DEP_1)
	v_cmp_eq_u32_e32 vcc_lo, 0, v4
	s_or_not1_b32 s13, vcc_lo, exec_lo
.LBB16_459:                             ;   in Loop: Header=BB16_383 Depth=2
	s_or_b32 exec_lo, exec_lo, s14
	s_and_saveexec_b32 s14, s11
	s_cbranch_execz .LBB16_461
; %bb.460:                              ;   in Loop: Header=BB16_383 Depth=2
	ds_load_b32 v4, v0 offset:784
	s_waitcnt lgkmcnt(0)
	v_and_b32_e32 v4, 15, v4
	s_delay_alu instid0(VALU_DEP_1) | instskip(SKIP_3) | instid1(SALU_CYCLE_1)
	v_cmp_eq_u32_e32 vcc_lo, 0, v4
	s_and_b32 vcc_lo, s13, vcc_lo
	s_and_not1_b32 s13, s13, exec_lo
	s_and_b32 vcc_lo, vcc_lo, exec_lo
	s_or_b32 s13, s13, vcc_lo
.LBB16_461:                             ;   in Loop: Header=BB16_383 Depth=2
	s_or_b32 exec_lo, exec_lo, s14
	v_cmp_eq_u32_e32 vcc_lo, 0, v3
	s_xor_b32 s13, s13, -1
	v_mov_b32_e32 v64, v0
	v_cndmask_b32_e64 v4, 0, 1, s13
	;;#ASMSTART
	;;#ASMEND
	v_dual_cndmask_b32 v54, 0, v2 :: v_dual_mov_b32 v131, v71
	s_delay_alu instid0(VALU_DEP_2) | instskip(SKIP_2) | instid1(VALU_DEP_3)
	v_cmp_ne_u32_e32 vcc_lo, 0, v4
	v_mov_b32_e32 v36, 0
	s_mov_b32 s13, -1
	v_mov_b32_e32 v55, v54
	s_cbranch_vccnz .LBB16_477
; %bb.462:                              ;   in Loop: Header=BB16_383 Depth=2
	v_ashrrev_i32_e32 v3, 31, v54
	s_mov_b32 s13, exec_lo
	s_delay_alu instid0(VALU_DEP_1) | instskip(NEXT) | instid1(VALU_DEP_1)
	v_lshrrev_b32_e32 v3, 20, v3
	v_add_nc_u32_e32 v3, v54, v3
	s_delay_alu instid0(VALU_DEP_1) | instskip(NEXT) | instid1(VALU_DEP_1)
	v_ashrrev_i32_e32 v36, 12, v3
	v_sub_nc_u32_e32 v65, v36, v71
	s_delay_alu instid0(VALU_DEP_1)
	v_cmpx_lt_i32_e32 0, v65
	s_cbranch_execz .LBB16_467
; %bb.463:                              ;   in Loop: Header=BB16_383 Depth=2
	s_cbranch_execnz .LBB16_1397
; %bb.464:                              ;   in Loop: Header=BB16_383 Depth=2
	ds_load_b64 v[3:4], v0
	s_mov_b32 s14, 0
	s_waitcnt lgkmcnt(0)
	v_dual_mov_b32 v53, v4 :: v_dual_mov_b32 v52, v3
.LBB16_465:                             ;   Parent Loop BB16_93 Depth=1
                                        ;     Parent Loop BB16_383 Depth=2
                                        ; =>    This Inner Loop Header: Depth=3
	s_delay_alu instid0(VALU_DEP_1) | instskip(NEXT) | instid1(VALU_DEP_2)
	v_add_co_u32 v134, vcc_lo, v113, v52
	v_add_co_ci_u32_e32 v135, vcc_lo, v116, v53, vcc_lo
	v_sub_nc_u32_e32 v65, v65, v82
	s_clause 0x7
	global_load_b128 v[130:133], v[134:135], off slc dlc
	global_load_b128 v[144:147], v[134:135], off offset:512 slc dlc
	global_load_b128 v[148:151], v[134:135], off offset:1024 slc dlc
	;; [unrolled: 1-line block ×7, first 2 shown]
	v_add_co_u32 v134, vcc_lo, v113, v3
	v_add_co_ci_u32_e32 v135, vcc_lo, v116, v4, vcc_lo
	v_add_co_u32 v52, vcc_lo, v52, v117
	v_add_co_ci_u32_e32 v53, vcc_lo, v53, v118, vcc_lo
	;; [unrolled: 2-line block ×3, first 2 shown]
	v_cmp_gt_i32_e32 vcc_lo, 1, v65
	s_waitcnt vmcnt(7)
	global_store_b128 v[134:135], v[130:133], off glc slc dlc
	s_waitcnt vmcnt(6)
	global_store_b128 v[134:135], v[144:147], off offset:512 glc slc dlc
	s_waitcnt vmcnt(5)
	global_store_b128 v[134:135], v[148:151], off offset:1024 glc slc dlc
	;; [unrolled: 2-line block ×7, first 2 shown]
	s_or_b32 s14, vcc_lo, s14
	s_delay_alu instid0(SALU_CYCLE_1)
	s_and_not1_b32 exec_lo, exec_lo, s14
	s_cbranch_execnz .LBB16_465
; %bb.466:                              ;   in Loop: Header=BB16_383 Depth=2
	s_or_b32 exec_lo, exec_lo, s14
.LBB16_467:                             ;   in Loop: Header=BB16_383 Depth=2
	s_delay_alu instid0(SALU_CYCLE_1) | instskip(SKIP_4) | instid1(VALU_DEP_2)
	s_or_b32 exec_lo, exec_lo, s13
	v_lshlrev_b32_e32 v52, 12, v36
	v_mov_b32_e32 v36, 0
	s_mov_b32 s13, 0
	s_mov_b32 vcc_hi, exec_lo
                                        ; implicit-def: $vgpr55
                                        ; implicit-def: $vgpr64
                                        ; implicit-def: $vgpr131
	v_cmpx_ne_u32_e64 v54, v52
	s_cbranch_execz .LBB16_476
; %bb.468:                              ;   in Loop: Header=BB16_383 Depth=2
	v_lshlrev_b32_e32 v3, 5, v65
	v_sub_nc_u32_e32 v36, v54, v52
	s_mov_b32 s30, exec_lo
	s_delay_alu instid0(VALU_DEP_2) | instskip(NEXT) | instid1(VALU_DEP_2)
	v_sub_nc_u32_e32 v3, v81, v3
	v_ashrrev_i32_e32 v53, 31, v36
	s_delay_alu instid0(VALU_DEP_2) | instskip(NEXT) | instid1(VALU_DEP_2)
	v_ashrrev_i32_e32 v4, 31, v3
	v_lshrrev_b32_e32 v53, 23, v53
	s_delay_alu instid0(VALU_DEP_2) | instskip(NEXT) | instid1(VALU_DEP_2)
	v_lshrrev_b32_e32 v4, 27, v4
	v_add_nc_u32_e32 v64, v36, v53
	s_delay_alu instid0(VALU_DEP_2) | instskip(NEXT) | instid1(VALU_DEP_2)
	v_add_nc_u32_e32 v4, v3, v4
	v_and_b32_e32 v53, 0xfffffe00, v64
	v_ashrrev_i32_e32 v64, 9, v64
	s_delay_alu instid0(VALU_DEP_3) | instskip(NEXT) | instid1(VALU_DEP_3)
	v_and_b32_e32 v55, 0xffffffe0, v4
	v_sub_nc_u32_e32 v130, v36, v53
	s_delay_alu instid0(VALU_DEP_2) | instskip(SKIP_1) | instid1(VALU_DEP_3)
	v_sub_nc_u32_e32 v65, v3, v55
	v_ashrrev_i32_e32 v3, 5, v4
	v_cmp_lt_i32_e32 vcc_lo, 15, v130
	s_delay_alu instid0(VALU_DEP_3) | instskip(NEXT) | instid1(VALU_DEP_1)
	v_lshlrev_b32_e32 v4, 4, v65
	v_lshl_add_u32 v55, v3, 9, v4
	v_add_co_ci_u32_e64 v4, s13, 0, v64, vcc_lo
	s_delay_alu instid0(VALU_DEP_2) | instskip(NEXT) | instid1(VALU_DEP_2)
	v_sub_nc_u32_e32 v36, v36, v55
	v_sub_nc_u32_e32 v132, v4, v3
	s_delay_alu instid0(VALU_DEP_2)
	v_cmpx_lt_i32_e32 15, v36
	s_cbranch_execz .LBB16_473
; %bb.469:                              ;   in Loop: Header=BB16_383 Depth=2
	s_cbranch_execnz .LBB16_1478
; %bb.470:                              ;   in Loop: Header=BB16_383 Depth=2
	ds_load_b64 v[3:4], v0
	v_add_nc_u32_e32 v55, v55, v52
	s_mov_b32 s31, 0
	s_delay_alu instid0(VALU_DEP_1)
	v_ashrrev_i32_e32 v64, 31, v55
.LBB16_471:                             ;   Parent Loop BB16_93 Depth=1
                                        ;     Parent Loop BB16_383 Depth=2
                                        ; =>    This Inner Loop Header: Depth=3
	s_waitcnt lgkmcnt(0)
	v_add_co_u32 v133, s13, v3, v55
	s_delay_alu instid0(VALU_DEP_1)
	v_add_co_ci_u32_e64 v134, s13, v4, v64, s13
	v_sub_nc_u32_e32 v36, v36, v84
	v_add_co_u32 v55, s14, v55, v99
	global_load_b128 v[144:147], v[133:134], off slc dlc
	v_sub_nc_u32_e32 v132, v132, v82
	v_cmp_gt_i32_e64 s13, 16, v36
	v_add_co_ci_u32_e64 v64, s14, v64, v100, s14
	s_delay_alu instid0(VALU_DEP_2)
	s_or_b32 s31, s13, s31
	s_waitcnt vmcnt(0)
	global_store_b128 v[133:134], v[144:147], off glc slc dlc
	s_and_not1_b32 exec_lo, exec_lo, s31
	s_cbranch_execnz .LBB16_471
; %bb.472:                              ;   in Loop: Header=BB16_383 Depth=2
	s_or_b32 exec_lo, exec_lo, s31
.LBB16_473:                             ;   in Loop: Header=BB16_383 Depth=2
	s_delay_alu instid0(SALU_CYCLE_1) | instskip(SKIP_3) | instid1(VALU_DEP_1)
	s_or_b32 exec_lo, exec_lo, s30
	v_dual_mov_b32 v36, 0 :: v_dual_and_b32 v3, 15, v54
	s_mov_b32 s14, 0
	s_mov_b32 s30, exec_lo
                                        ; implicit-def: $vgpr64
                                        ; implicit-def: $vgpr131
	v_cndmask_b32_e32 v55, v130, v3, vcc_lo
	s_delay_alu instid0(VALU_DEP_1)
	v_cmpx_ne_u32_e32 0, v55
; %bb.474:                              ;   in Loop: Header=BB16_383 Depth=2
	v_cmp_lt_i32_e64 s13, 0, v132
	v_sub_nc_u32_e32 v3, v130, v3
	s_mov_b32 s14, exec_lo
	s_delay_alu instid0(VALU_DEP_2) | instskip(NEXT) | instid1(VALU_DEP_1)
	v_cndmask_b32_e64 v4, 0, v82, s13
	v_sub_nc_u32_e32 v4, v4, v132
	s_delay_alu instid0(VALU_DEP_1) | instskip(NEXT) | instid1(VALU_DEP_1)
	v_lshl_add_u32 v64, v4, 5, v65
	v_ashrrev_i32_e32 v4, 31, v64
	s_delay_alu instid0(VALU_DEP_1) | instskip(NEXT) | instid1(VALU_DEP_1)
	v_lshrrev_b32_e32 v4, 27, v4
	v_dual_cndmask_b32 v3, 0, v3 :: v_dual_add_nc_u32 v4, v64, v4
	s_delay_alu instid0(VALU_DEP_1) | instskip(NEXT) | instid1(VALU_DEP_2)
	v_add3_u32 v36, v53, v52, v3
	v_ashrrev_i32_e32 v131, 5, v4
; %bb.475:                              ;   in Loop: Header=BB16_383 Depth=2
	s_or_b32 exec_lo, exec_lo, s30
	s_delay_alu instid0(SALU_CYCLE_1)
	s_and_b32 s13, s14, exec_lo
.LBB16_476:                             ;   in Loop: Header=BB16_383 Depth=2
	s_or_b32 exec_lo, exec_lo, vcc_hi
.LBB16_477:                             ;   in Loop: Header=BB16_383 Depth=2
	s_and_saveexec_b32 s14, s13
	s_cbranch_execz .LBB16_489
; %bb.478:                              ;   in Loop: Header=BB16_383 Depth=2
	s_delay_alu instid0(VALU_DEP_1) | instskip(SKIP_1) | instid1(VALU_DEP_1)
	v_ashrrev_i32_e32 v3, 31, v55
	s_mov_b32 s13, exec_lo
	v_lshrrev_b32_e32 v3, 22, v3
	s_delay_alu instid0(VALU_DEP_1) | instskip(NEXT) | instid1(VALU_DEP_1)
	v_add_nc_u32_e32 v3, v55, v3
	v_ashrrev_i32_e32 v130, 10, v3
	s_delay_alu instid0(VALU_DEP_1) | instskip(NEXT) | instid1(VALU_DEP_1)
	v_sub_nc_u32_e32 v65, v130, v131
	v_cmpx_lt_i32_e32 0, v65
	s_cbranch_execz .LBB16_483
; %bb.479:                              ;   in Loop: Header=BB16_383 Depth=2
	s_cbranch_execnz .LBB16_1389
; %bb.480:                              ;   in Loop: Header=BB16_383 Depth=2
	v_ashrrev_i32_e32 v3, 31, v64
	s_mov_b32 vcc_hi, 0
	s_delay_alu instid0(VALU_DEP_1) | instskip(NEXT) | instid1(VALU_DEP_1)
	v_lshrrev_b32_e32 v3, 27, v3
	v_add_nc_u32_e32 v52, v64, v3
	ds_load_b64 v[3:4], v0
	v_lshlrev_b32_e32 v53, 10, v131
	v_and_b32_e32 v52, 0xffffffe0, v52
	s_delay_alu instid0(VALU_DEP_1) | instskip(NEXT) | instid1(VALU_DEP_1)
	v_sub_nc_u32_e32 v52, v64, v52
	v_add3_u32 v131, v36, v52, v53
	s_delay_alu instid0(VALU_DEP_1)
	v_ashrrev_i32_e32 v132, 31, v131
	s_waitcnt lgkmcnt(0)
	v_dual_mov_b32 v53, v4 :: v_dual_mov_b32 v52, v3
.LBB16_481:                             ;   Parent Loop BB16_93 Depth=1
                                        ;     Parent Loop BB16_383 Depth=2
                                        ; =>    This Inner Loop Header: Depth=3
	s_delay_alu instid0(VALU_DEP_1) | instskip(NEXT) | instid1(VALU_DEP_2)
	v_add_co_u32 v133, vcc_lo, v131, v52
	v_add_co_ci_u32_e32 v134, vcc_lo, v132, v53, vcc_lo
	v_sub_nc_u32_e32 v65, v65, v82
	s_clause 0x1f
	flat_load_u8 v135, v[133:134] slc dlc
	flat_load_u8 v144, v[133:134] offset:32 slc dlc
	flat_load_u8 v145, v[133:134] offset:64 slc dlc
	;; [unrolled: 1-line block ×31, first 2 shown]
	v_add_co_u32 v133, vcc_lo, v131, v3
	v_add_co_ci_u32_e32 v134, vcc_lo, v132, v4, vcc_lo
	v_add_co_u32 v52, vcc_lo, v52, v102
	v_add_co_ci_u32_e32 v53, vcc_lo, v53, v103, vcc_lo
	;; [unrolled: 2-line block ×3, first 2 shown]
	v_cmp_gt_i32_e32 vcc_lo, 1, v65
	s_waitcnt vmcnt(31) lgkmcnt(31)
	flat_store_b8 v[133:134], v135 glc slc dlc
	s_waitcnt vmcnt(30) lgkmcnt(31)
	flat_store_b8 v[133:134], v144 offset:32 glc slc dlc
	s_waitcnt vmcnt(29) lgkmcnt(31)
	flat_store_b8 v[133:134], v145 offset:64 glc slc dlc
	;; [unrolled: 2-line block ×31, first 2 shown]
	s_or_b32 vcc_hi, vcc_lo, vcc_hi
	s_delay_alu instid0(SALU_CYCLE_1)
	s_and_not1_b32 exec_lo, exec_lo, vcc_hi
	s_cbranch_execnz .LBB16_481
; %bb.482:                              ;   in Loop: Header=BB16_383 Depth=2
	s_or_b32 exec_lo, exec_lo, vcc_hi
.LBB16_483:                             ;   in Loop: Header=BB16_383 Depth=2
	s_delay_alu instid0(SALU_CYCLE_1) | instskip(SKIP_2) | instid1(VALU_DEP_1)
	s_or_b32 exec_lo, exec_lo, s13
	v_lshlrev_b32_e32 v3, 10, v130
	s_mov_b32 vcc_hi, exec_lo
	v_cmpx_ne_u32_e64 v55, v3
	s_cbranch_execz .LBB16_488
; %bb.484:                              ;   in Loop: Header=BB16_383 Depth=2
	v_ashrrev_i32_e32 v4, 31, v64
	v_lshlrev_b32_e32 v52, 5, v65
	s_delay_alu instid0(VALU_DEP_2) | instskip(NEXT) | instid1(VALU_DEP_1)
	v_lshrrev_b32_e32 v4, 27, v4
	v_add_nc_u32_e32 v4, v64, v4
	s_delay_alu instid0(VALU_DEP_1) | instskip(NEXT) | instid1(VALU_DEP_1)
	v_and_b32_e32 v4, 0xffffffe0, v4
	v_sub_nc_u32_e32 v4, v64, v4
	s_delay_alu instid0(VALU_DEP_1) | instskip(NEXT) | instid1(VALU_DEP_1)
	v_sub_nc_u32_e32 v4, v4, v52
	v_add_nc_u32_e32 v53, v3, v4
	s_delay_alu instid0(VALU_DEP_1) | instskip(NEXT) | instid1(VALU_DEP_1)
	v_sub_nc_u32_e32 v52, v55, v53
	v_cmp_lt_i32_e32 vcc_lo, 0, v52
	s_and_b32 exec_lo, exec_lo, vcc_lo
	s_cbranch_execz .LBB16_488
; %bb.485:                              ;   in Loop: Header=BB16_383 Depth=2
	s_cbranch_execnz .LBB16_1474
; %bb.486:                              ;   in Loop: Header=BB16_383 Depth=2
	ds_load_b64 v[3:4], v0
	v_add_nc_u32_e32 v36, v53, v36
	s_mov_b32 s30, 0
	s_delay_alu instid0(VALU_DEP_1)
	v_ashrrev_i32_e32 v53, 31, v36
.LBB16_487:                             ;   Parent Loop BB16_93 Depth=1
                                        ;     Parent Loop BB16_383 Depth=2
                                        ; =>    This Inner Loop Header: Depth=3
	s_waitcnt lgkmcnt(0)
	v_add_co_u32 v64, vcc_lo, v3, v36
	s_delay_alu instid0(VALU_DEP_2)
	v_add_co_ci_u32_e32 v65, vcc_lo, v4, v53, vcc_lo
	v_sub_nc_u32_e32 v52, v52, v98
	v_add_co_u32 v36, s13, v36, v114
	flat_load_u8 v55, v[64:65] slc dlc
	v_add_co_ci_u32_e64 v53, s13, v53, v115, s13
	v_cmp_gt_i32_e32 vcc_lo, 1, v52
	s_or_b32 s30, vcc_lo, s30
	s_waitcnt vmcnt(0) lgkmcnt(0)
	flat_store_b8 v[64:65], v55 glc slc dlc
	s_and_not1_b32 exec_lo, exec_lo, s30
	s_cbranch_execnz .LBB16_487
.LBB16_488:                             ;   in Loop: Header=BB16_383 Depth=2
	s_or_b32 exec_lo, exec_lo, vcc_hi
.LBB16_489:                             ;   in Loop: Header=BB16_383 Depth=2
	s_delay_alu instid0(SALU_CYCLE_1)
	s_or_b32 exec_lo, exec_lo, s14
.LBB16_490:                             ;   in Loop: Header=BB16_383 Depth=2
	s_and_saveexec_b32 s13, s2
	s_cbranch_execz .LBB16_512
; %bb.491:                              ;   in Loop: Header=BB16_383 Depth=2
	s_and_saveexec_b32 s14, s3
	s_delay_alu instid0(SALU_CYCLE_1)
	s_xor_b32 s14, exec_lo, s14
	s_cbranch_execz .LBB16_509
; %bb.492:                              ;   in Loop: Header=BB16_383 Depth=2
	s_and_saveexec_b32 vcc_hi, s1
	s_cbranch_execz .LBB16_508
; %bb.493:                              ;   in Loop: Header=BB16_383 Depth=2
	s_mov_b32 s31, exec_lo
	s_mov_b32 s30, exec_lo
	v_mbcnt_lo_u32_b32 v3, s31, 0
	s_waitcnt lgkmcnt(0)
	s_waitcnt_vscnt null, 0x0
	buffer_gl1_inv
	buffer_gl0_inv
	v_cmpx_eq_u32_e32 0, v3
	s_cbranch_execz .LBB16_495
; %bb.494:                              ;   in Loop: Header=BB16_383 Depth=2
	s_bcnt1_i32_b32 vcc_lo, s31
	s_delay_alu instid0(SALU_CYCLE_1)
	v_mov_b32_e32 v36, vcc_lo
	ds_add_u64 v0, v[36:37]
	s_cbranch_execnz .LBB16_1445
.LBB16_495:                             ;   in Loop: Header=BB16_383 Depth=2
	s_or_b32 exec_lo, exec_lo, s30
	s_cbranch_execnz .LBB16_1409
; %bb.496:                              ;   in Loop: Header=BB16_383 Depth=2
	ds_load_b64 v[3:4], v0
	v_add_co_u32 v28, vcc_lo, v28, v82
	v_add_co_ci_u32_e32 v29, vcc_lo, 0, v29, vcc_lo
	s_mov_b32 s30, exec_lo
	s_waitcnt lgkmcnt(0)
	s_delay_alu instid0(VALU_DEP_1)
	v_cmpx_lt_u64_e64 v[3:4], v[28:29]
	s_cbranch_execz .LBB16_507
; %bb.497:                              ;   in Loop: Header=BB16_383 Depth=2
	s_mov_b32 s31, 0
	s_mov_b32 s36, 0
                                        ; implicit-def: $sgpr34
                                        ; implicit-def: $sgpr35
	s_branch .LBB16_499
.LBB16_498:                             ;   in Loop: Header=BB16_499 Depth=3
	s_or_b32 exec_lo, exec_lo, s38
	s_delay_alu instid0(SALU_CYCLE_1) | instskip(NEXT) | instid1(SALU_CYCLE_1)
	s_and_b32 vcc_lo, exec_lo, vcc_lo
	s_or_b32 s31, vcc_lo, s31
	s_and_not1_b32 vcc_lo, s34, exec_lo
	s_and_b32 s34, s35, exec_lo
	s_delay_alu instid0(SALU_CYCLE_1)
	s_or_b32 s34, vcc_lo, s34
	s_and_not1_b32 exec_lo, exec_lo, s31
	s_cbranch_execz .LBB16_505
.LBB16_499:                             ;   Parent Loop BB16_93 Depth=1
                                        ;     Parent Loop BB16_383 Depth=2
                                        ; =>    This Inner Loop Header: Depth=3
	s_add_i32 s36, s36, 1
                                        ; implicit-def: $sgpr38
	s_delay_alu instid0(SALU_CYCLE_1) | instskip(SKIP_1) | instid1(SALU_CYCLE_1)
	s_cmpk_lg_i32 s36, 0x2710
	s_cselect_b32 s37, -1, 0
	s_and_b32 vcc_lo, exec_lo, s37
	s_cbranch_vccz .LBB16_503
.LBB16_500:                             ;   in Loop: Header=BB16_499 Depth=3
	s_and_not1_b32 s35, s35, exec_lo
	s_and_b32 s38, s38, exec_lo
	s_mov_b32 vcc_lo, -1
	s_or_b32 s35, s35, s38
	s_and_saveexec_b32 s38, s37
	s_cbranch_execz .LBB16_498
; %bb.501:                              ;   in Loop: Header=BB16_499 Depth=3
	s_sleep 1
	s_cbranch_execnz .LBB16_1510
; %bb.502:                              ;   in Loop: Header=BB16_499 Depth=3
	ds_load_b64 v[3:4], v0
	s_and_not1_b32 s35, s35, exec_lo
	s_waitcnt lgkmcnt(0)
	v_cmp_ge_u64_e32 vcc_lo, v[3:4], v[28:29]
	s_or_not1_b32 vcc_lo, vcc_lo, exec_lo
	s_branch .LBB16_498
.LBB16_503:                             ;   in Loop: Header=BB16_499 Depth=3
	s_cbranch_execnz .LBB16_1526
; %bb.504:                              ;   in Loop: Header=BB16_499 Depth=3
	ds_load_b64 v[3:4], v0
	s_and_not1_b32 s37, s37, exec_lo
	s_mov_b32 s36, 0
	s_mov_b32 s38, -1
	s_waitcnt lgkmcnt(0)
	flat_load_b32 v3, v[3:4] glc
	s_waitcnt vmcnt(0) lgkmcnt(0)
	buffer_gl1_inv
	buffer_gl0_inv
	v_cmp_eq_u32_e32 vcc_lo, 0, v3
	s_and_b32 vcc_lo, vcc_lo, exec_lo
	s_delay_alu instid0(SALU_CYCLE_1)
	s_or_b32 s37, s37, vcc_lo
	s_branch .LBB16_500
.LBB16_505:                             ;   in Loop: Header=BB16_383 Depth=2
	s_or_b32 exec_lo, exec_lo, s31
	s_and_saveexec_b32 vcc_lo, s34
	s_delay_alu instid0(SALU_CYCLE_1)
	s_xor_b32 vcc_lo, exec_lo, vcc_lo
	s_cbranch_execz .LBB16_507
; %bb.506:                              ;   in Loop: Header=BB16_383 Depth=2
	ds_store_b32 v0, v119
	s_cbranch_execnz .LBB16_1600
.LBB16_507:                             ;   in Loop: Header=BB16_383 Depth=2
	s_or_b32 exec_lo, exec_lo, s30
	;;#ASMSTART
	s_wakeup
	;;#ASMEND
.LBB16_508:                             ;   in Loop: Header=BB16_383 Depth=2
	s_or_b32 exec_lo, exec_lo, vcc_hi
.LBB16_509:                             ;   in Loop: Header=BB16_383 Depth=2
	s_and_not1_saveexec_b32 s14, s14
	s_cbranch_execz .LBB16_511
; %bb.510:                              ;   in Loop: Header=BB16_383 Depth=2
	s_waitcnt lgkmcnt(0)
	s_waitcnt_vscnt null, 0x0
	buffer_gl1_inv
	buffer_gl0_inv
	s_barrier
.LBB16_511:                             ;   in Loop: Header=BB16_383 Depth=2
	s_or_b32 exec_lo, exec_lo, s14
.LBB16_512:                             ;   in Loop: Header=BB16_383 Depth=2
	s_delay_alu instid0(SALU_CYCLE_1) | instskip(SKIP_1) | instid1(SALU_CYCLE_1)
	s_or_b32 exec_lo, exec_lo, s13
                                        ; implicit-def: $vgpr3
	s_and_saveexec_b32 s13, s6
	s_xor_b32 s14, exec_lo, s13
	s_cbranch_execz .LBB16_516
; %bb.513:                              ;   in Loop: Header=BB16_383 Depth=2
	v_and_b32_e32 v3, 16, v30
	v_cmp_lt_i32_e32 vcc_lo, 0, v54
	s_delay_alu instid0(VALU_DEP_2) | instskip(SKIP_1) | instid1(VALU_DEP_2)
	v_cmp_ne_u32_e64 s13, 0, v3
	v_and_b32_e32 v3, 16, v30
	s_and_b32 vcc_lo, s13, vcc_lo
	s_delay_alu instid0(SALU_CYCLE_1)
	s_and_saveexec_b32 s13, vcc_lo
	s_cbranch_execz .LBB16_515
; %bb.514:                              ;   in Loop: Header=BB16_383 Depth=2
	v_mov_b32_e32 v3, 1
	s_waitcnt lgkmcnt(0)
	s_waitcnt_vscnt null, 0x0
	buffer_gl1_inv
	buffer_gl0_inv
.LBB16_515:                             ;   in Loop: Header=BB16_383 Depth=2
	s_or_b32 exec_lo, exec_lo, s13
.LBB16_516:                             ;   in Loop: Header=BB16_383 Depth=2
	s_and_not1_saveexec_b32 s13, s14
	s_cbranch_execz .LBB16_538
; %bb.517:                              ;   in Loop: Header=BB16_383 Depth=2
	s_and_saveexec_b32 s14, s3
	s_delay_alu instid0(SALU_CYCLE_1)
	s_xor_b32 s14, exec_lo, s14
	s_cbranch_execz .LBB16_535
; %bb.518:                              ;   in Loop: Header=BB16_383 Depth=2
	s_and_saveexec_b32 vcc_hi, s1
	s_cbranch_execz .LBB16_534
; %bb.519:                              ;   in Loop: Header=BB16_383 Depth=2
	s_mov_b32 s31, exec_lo
	s_mov_b32 s30, exec_lo
	v_mbcnt_lo_u32_b32 v3, s31, 0
	;;#ASMSTART
	s_waitcnt lgkmcnt(0) vmcnt(0)
	;;#ASMEND
	s_delay_alu instid0(VALU_DEP_1)
	v_cmpx_eq_u32_e32 0, v3
	s_cbranch_execz .LBB16_521
; %bb.520:                              ;   in Loop: Header=BB16_383 Depth=2
	s_bcnt1_i32_b32 vcc_lo, s31
	s_delay_alu instid0(SALU_CYCLE_1)
	v_mov_b32_e32 v36, vcc_lo
	ds_add_u64 v0, v[36:37]
	s_cbranch_execnz .LBB16_1464
.LBB16_521:                             ;   in Loop: Header=BB16_383 Depth=2
	s_or_b32 exec_lo, exec_lo, s30
	s_cbranch_execnz .LBB16_1417
; %bb.522:                              ;   in Loop: Header=BB16_383 Depth=2
	ds_load_b64 v[3:4], v0
	v_add_co_u32 v28, vcc_lo, v28, v82
	v_add_co_ci_u32_e32 v29, vcc_lo, 0, v29, vcc_lo
	s_mov_b32 s30, exec_lo
	s_waitcnt lgkmcnt(0)
	s_delay_alu instid0(VALU_DEP_1)
	v_cmpx_lt_u64_e64 v[3:4], v[28:29]
	s_cbranch_execz .LBB16_533
; %bb.523:                              ;   in Loop: Header=BB16_383 Depth=2
	s_mov_b32 s31, 0
	s_mov_b32 s36, 0
                                        ; implicit-def: $sgpr34
                                        ; implicit-def: $sgpr35
	s_branch .LBB16_525
.LBB16_524:                             ;   in Loop: Header=BB16_525 Depth=3
	s_or_b32 exec_lo, exec_lo, s38
	s_delay_alu instid0(SALU_CYCLE_1) | instskip(NEXT) | instid1(SALU_CYCLE_1)
	s_and_b32 vcc_lo, exec_lo, vcc_lo
	s_or_b32 s31, vcc_lo, s31
	s_and_not1_b32 vcc_lo, s34, exec_lo
	s_and_b32 s34, s35, exec_lo
	s_delay_alu instid0(SALU_CYCLE_1)
	s_or_b32 s34, vcc_lo, s34
	s_and_not1_b32 exec_lo, exec_lo, s31
	s_cbranch_execz .LBB16_531
.LBB16_525:                             ;   Parent Loop BB16_93 Depth=1
                                        ;     Parent Loop BB16_383 Depth=2
                                        ; =>    This Inner Loop Header: Depth=3
	s_add_i32 s36, s36, 1
                                        ; implicit-def: $sgpr38
	s_delay_alu instid0(SALU_CYCLE_1) | instskip(SKIP_1) | instid1(SALU_CYCLE_1)
	s_cmpk_lg_i32 s36, 0x2710
	s_cselect_b32 s37, -1, 0
	s_and_b32 vcc_lo, exec_lo, s37
	s_cbranch_vccz .LBB16_529
.LBB16_526:                             ;   in Loop: Header=BB16_525 Depth=3
	s_and_not1_b32 s35, s35, exec_lo
	s_and_b32 s38, s38, exec_lo
	s_mov_b32 vcc_lo, -1
	s_or_b32 s35, s35, s38
	s_and_saveexec_b32 s38, s37
	s_cbranch_execz .LBB16_524
; %bb.527:                              ;   in Loop: Header=BB16_525 Depth=3
	s_sleep 1
	s_cbranch_execnz .LBB16_1518
; %bb.528:                              ;   in Loop: Header=BB16_525 Depth=3
	ds_load_b64 v[3:4], v0
	s_and_not1_b32 s35, s35, exec_lo
	s_waitcnt lgkmcnt(0)
	v_cmp_ge_u64_e32 vcc_lo, v[3:4], v[28:29]
	s_or_not1_b32 vcc_lo, vcc_lo, exec_lo
	s_branch .LBB16_524
.LBB16_529:                             ;   in Loop: Header=BB16_525 Depth=3
	s_cbranch_execnz .LBB16_1528
; %bb.530:                              ;   in Loop: Header=BB16_525 Depth=3
	ds_load_b64 v[3:4], v0
	s_and_not1_b32 s37, s37, exec_lo
	s_mov_b32 s36, 0
	s_mov_b32 s38, -1
	s_waitcnt lgkmcnt(0)
	s_waitcnt_vscnt null, 0x0
	flat_load_b32 v3, v[3:4] glc
	s_waitcnt vmcnt(0) lgkmcnt(0)
	buffer_gl1_inv
	buffer_gl0_inv
	v_cmp_eq_u32_e32 vcc_lo, 0, v3
	s_and_b32 vcc_lo, vcc_lo, exec_lo
	s_delay_alu instid0(SALU_CYCLE_1)
	s_or_b32 s37, s37, vcc_lo
	s_branch .LBB16_526
.LBB16_531:                             ;   in Loop: Header=BB16_383 Depth=2
	s_or_b32 exec_lo, exec_lo, s31
	s_and_saveexec_b32 vcc_lo, s34
	s_delay_alu instid0(SALU_CYCLE_1)
	s_xor_b32 vcc_lo, exec_lo, vcc_lo
	s_cbranch_execz .LBB16_533
; %bb.532:                              ;   in Loop: Header=BB16_383 Depth=2
	ds_store_b32 v0, v119
	s_cbranch_execnz .LBB16_1602
.LBB16_533:                             ;   in Loop: Header=BB16_383 Depth=2
	s_or_b32 exec_lo, exec_lo, s30
	;;#ASMSTART
	s_wakeup
	;;#ASMEND
.LBB16_534:                             ;   in Loop: Header=BB16_383 Depth=2
	s_or_b32 exec_lo, exec_lo, vcc_hi
.LBB16_535:                             ;   in Loop: Header=BB16_383 Depth=2
	s_and_not1_saveexec_b32 s14, s14
	s_cbranch_execz .LBB16_537
; %bb.536:                              ;   in Loop: Header=BB16_383 Depth=2
	;;#ASMSTART
	s_waitcnt lgkmcnt(0) vmcnt(0)
	;;#ASMEND
	s_waitcnt lgkmcnt(0)
	s_waitcnt_vscnt null, 0x0
	s_barrier
.LBB16_537:                             ;   in Loop: Header=BB16_383 Depth=2
	s_or_b32 exec_lo, exec_lo, s14
	v_and_b32_e32 v3, 16, v30
.LBB16_538:                             ;   in Loop: Header=BB16_383 Depth=2
	s_or_b32 exec_lo, exec_lo, s13
	s_delay_alu instid0(SALU_CYCLE_1) | instskip(NEXT) | instid1(VALU_DEP_1)
	s_mov_b32 s13, exec_lo
	v_cmpx_ne_u32_e32 0, v3
	s_cbranch_execz .LBB16_542
; %bb.539:                              ;   in Loop: Header=BB16_383 Depth=2
	s_and_saveexec_b32 s14, s10
	s_cbranch_execz .LBB16_541
; %bb.540:                              ;   in Loop: Header=BB16_383 Depth=2
	s_waitcnt lgkmcnt(0)
	s_waitcnt_vscnt null, 0x0
	flat_store_b32 v[32:33], v119
.LBB16_541:                             ;   in Loop: Header=BB16_383 Depth=2
	s_or_b32 exec_lo, exec_lo, s14
	v_add_co_u32 v14, vcc_lo, v14, 2
	v_add_co_ci_u32_e32 v15, vcc_lo, 0, v15, vcc_lo
	s_waitcnt lgkmcnt(0)
	s_waitcnt_vscnt null, 0x0
	flat_store_b64 v[24:25], v[14:15]
.LBB16_542:                             ;   in Loop: Header=BB16_383 Depth=2
	s_or_b32 exec_lo, exec_lo, s13
	v_add_nc_u32_e32 v5, v2, v5
	s_xor_b32 s13, s28, -1
	v_mov_b32_e32 v3, s29
	s_mov_b32 s28, 0
	s_mov_b32 s29, 2
	v_cmp_ge_i32_e32 vcc_lo, v5, v128
	s_or_b32 s13, s13, vcc_lo
	s_delay_alu instid0(SALU_CYCLE_1) | instskip(NEXT) | instid1(SALU_CYCLE_1)
	s_and_b32 s13, exec_lo, s13
	s_or_b32 s17, s13, s17
	s_delay_alu instid0(SALU_CYCLE_1)
	s_and_not1_b32 exec_lo, exec_lo, s17
	s_cbranch_execnz .LBB16_383
; %bb.543:                              ;   in Loop: Header=BB16_93 Depth=1
	s_or_b32 exec_lo, exec_lo, s17
.LBB16_544:                             ;   in Loop: Header=BB16_93 Depth=1
	s_delay_alu instid0(SALU_CYCLE_1) | instskip(NEXT) | instid1(SALU_CYCLE_1)
	s_or_b32 exec_lo, exec_lo, s16
	s_mov_b32 s14, exec_lo
	v_cmpx_gt_i32_e32 2, v3
	s_cbranch_execz .LBB16_625
; %bb.545:                              ;   in Loop: Header=BB16_93 Depth=1
	v_cmp_eq_u32_e64 s13, 0, v3
	s_mov_b32 s16, 0
.LBB16_546:                             ;   Parent Loop BB16_93 Depth=1
                                        ; =>  This Loop Header: Depth=2
                                        ;       Child Loop BB16_552 Depth 3
                                        ;       Child Loop BB16_579 Depth 3
	;; [unrolled: 1-line block ×3, first 2 shown]
	v_and_b32_e32 v3, 8, v30
	s_mov_b32 s28, -1
	s_mov_b32 s17, exec_lo
	s_delay_alu instid0(VALU_DEP_1)
	v_cmpx_ne_u32_e32 0, v3
	s_cbranch_execz .LBB16_560
; %bb.547:                              ;   in Loop: Header=BB16_546 Depth=2
	v_add_co_u32 v52, vcc_lo, v34, 8
	v_add_co_ci_u32_e32 v53, vcc_lo, 0, v35, vcc_lo
	v_add_co_u32 v3, vcc_lo, v14, 2
	v_add_co_ci_u32_e32 v4, vcc_lo, 0, v15, vcc_lo
	v_mov_b32_e32 v36, 1
	s_mov_b32 s28, exec_lo
	s_delay_alu instid0(VALU_DEP_2)
	v_cmpx_lt_u64_e64 v[52:53], v[3:4]
	s_cbranch_execz .LBB16_559
; %bb.548:                              ;   in Loop: Header=BB16_546 Depth=2
	v_mov_b32_e32 v36, 0
	s_mov_b32 s29, 0
                                        ; implicit-def: $vcc_hi
	s_branch .LBB16_552
.LBB16_549:                             ;   in Loop: Header=BB16_552 Depth=3
	s_or_b32 exec_lo, exec_lo, s35
	v_mov_b32_e32 v52, 0
	s_or_not1_b32 s34, s34, exec_lo
.LBB16_550:                             ;   in Loop: Header=BB16_552 Depth=3
	s_or_b32 exec_lo, exec_lo, s31
	s_delay_alu instid0(VALU_DEP_1) | instskip(SKIP_2) | instid1(SALU_CYCLE_1)
	v_mov_b32_e32 v36, v52
	s_and_not1_b32 vcc_lo, vcc_hi, exec_lo
	s_and_b32 vcc_hi, s34, exec_lo
	s_or_b32 vcc_hi, vcc_lo, vcc_hi
.LBB16_551:                             ;   in Loop: Header=BB16_552 Depth=3
	s_or_b32 exec_lo, exec_lo, s30
	s_waitcnt vmcnt(0) lgkmcnt(0)
	v_add_co_u32 v52, vcc_lo, v34, 8
	v_add_co_ci_u32_e32 v53, vcc_lo, 0, v35, vcc_lo
	s_delay_alu instid0(VALU_DEP_1) | instskip(SKIP_1) | instid1(SALU_CYCLE_1)
	v_cmp_ge_u64_e32 vcc_lo, v[52:53], v[3:4]
	s_xor_b32 s30, vcc_hi, -1
	s_or_b32 vcc_lo, s30, vcc_lo
	s_delay_alu instid0(SALU_CYCLE_1) | instskip(NEXT) | instid1(SALU_CYCLE_1)
	s_and_b32 vcc_lo, exec_lo, vcc_lo
	s_or_b32 s29, vcc_lo, s29
	s_delay_alu instid0(SALU_CYCLE_1)
	s_and_not1_b32 exec_lo, exec_lo, s29
	s_cbranch_execz .LBB16_558
.LBB16_552:                             ;   Parent Loop BB16_93 Depth=1
                                        ;     Parent Loop BB16_546 Depth=2
                                        ; =>    This Inner Loop Header: Depth=3
	s_sleep 1
	flat_load_b64 v[34:35], v[24:25] glc
	v_and_b32_e32 v52, 64, v30
	s_and_not1_b32 vcc_hi, vcc_hi, exec_lo
	s_mov_b32 s30, exec_lo
	s_delay_alu instid0(VALU_DEP_1)
	v_cmpx_eq_u32_e32 0, v52
	s_cbranch_execz .LBB16_551
; %bb.553:                              ;   in Loop: Header=BB16_552 Depth=3
	v_add_nc_u32_e32 v52, 1, v36
	s_mov_b32 s34, -1
	s_mov_b32 s31, exec_lo
	v_cmpx_lt_i32_e32 0x270e, v36
	s_cbranch_execz .LBB16_550
; %bb.554:                              ;   in Loop: Header=BB16_552 Depth=3
	s_cbranch_execnz .LBB16_1250
; %bb.555:                              ;   in Loop: Header=BB16_552 Depth=3
	ds_load_b64 v[52:53], v0
	s_mov_b32 s35, exec_lo
	s_waitcnt vmcnt(0) lgkmcnt(0)
	s_waitcnt_vscnt null, 0x0
	flat_load_b32 v36, v[52:53] glc
	s_waitcnt vmcnt(0) lgkmcnt(0)
	buffer_gl1_inv
	buffer_gl0_inv
	v_cmpx_ne_u32_e32 0, v36
	s_cbranch_execz .LBB16_549
; %bb.556:                              ;   in Loop: Header=BB16_552 Depth=3
	ds_store_b32 v0, v36
	s_cbranch_execnz .LBB16_1297
; %bb.557:                              ;   in Loop: Header=BB16_552 Depth=3
	v_or_b32_e32 v30, 64, v30
	s_xor_b32 s34, exec_lo, -1
	s_branch .LBB16_549
.LBB16_558:                             ;   in Loop: Header=BB16_546 Depth=2
	s_or_b32 exec_lo, exec_lo, s29
	v_and_b32_e32 v36, 8, v30
.LBB16_559:                             ;   in Loop: Header=BB16_546 Depth=2
	s_or_b32 exec_lo, exec_lo, s28
	s_delay_alu instid0(VALU_DEP_1)
	v_cmp_eq_u32_e32 vcc_lo, 0, v36
	;;#ASMSTART
	s_wakeup
	;;#ASMEND
	s_or_not1_b32 s28, vcc_lo, exec_lo
.LBB16_560:                             ;   in Loop: Header=BB16_546 Depth=2
	s_or_b32 exec_lo, exec_lo, s17
	v_sub_nc_u32_e32 v3, v128, v5
	s_xor_b32 s13, s13, -1
	s_delay_alu instid0(SALU_CYCLE_1) | instskip(NEXT) | instid1(SALU_CYCLE_1)
	s_and_b32 s13, exec_lo, s13
	s_or_b32 s16, s13, s16
	s_delay_alu instid0(VALU_DEP_1) | instskip(SKIP_1) | instid1(SALU_CYCLE_1)
	v_min_i32_e32 v2, v2, v3
	s_xor_b32 s13, s28, -1
	s_and_saveexec_b32 s17, s13
	s_cbranch_execz .LBB16_570
; %bb.561:                              ;   in Loop: Header=BB16_546 Depth=2
	v_and_b32_e32 v3, 0x100, v30
	v_and_b32_e32 v36, 7, v14
	s_mov_b32 s13, -1
	s_delay_alu instid0(VALU_DEP_2)
	v_cmp_ne_u32_e32 vcc_lo, 0, v3
                                        ; implicit-def: $vgpr3_vgpr4
	s_and_saveexec_b32 s28, vcc_lo
	s_cbranch_execz .LBB16_565
; %bb.562:                              ;   in Loop: Header=BB16_546 Depth=2
	v_mad_u64_u32 v[52:53], null, v36, 24, v[12:13]
	v_ashrrev_i32_e32 v3, 31, v2
	flat_load_b32 v4, v[52:53]
	flat_store_b64 v[52:53], v[2:3] offset:8
	s_waitcnt vmcnt(0) lgkmcnt(1)
	v_cmp_ne_u32_e32 vcc_lo, 1, v4
	v_cmp_eq_u32_e64 s13, 1, v4
                                        ; implicit-def: $vgpr3_vgpr4
	s_delay_alu instid0(VALU_DEP_1)
	s_and_saveexec_b32 s29, s13
	s_cbranch_execz .LBB16_564
; %bb.563:                              ;   in Loop: Header=BB16_546 Depth=2
	flat_load_b32 v3, v[52:53] offset:4 glc
	s_waitcnt vmcnt(0) lgkmcnt(0)
	v_ashrrev_i32_e32 v4, 31, v3
.LBB16_564:                             ;   in Loop: Header=BB16_546 Depth=2
	s_or_b32 exec_lo, exec_lo, s29
	s_delay_alu instid0(SALU_CYCLE_1)
	s_or_not1_b32 s13, vcc_lo, exec_lo
.LBB16_565:                             ;   in Loop: Header=BB16_546 Depth=2
	s_or_b32 exec_lo, exec_lo, s28
	s_and_saveexec_b32 s28, s13
; %bb.566:                              ;   in Loop: Header=BB16_546 Depth=2
	v_mad_i64_i32 v[3:4], null, v36, v68, 0
; %bb.567:                              ;   in Loop: Header=BB16_546 Depth=2
	s_or_b32 exec_lo, exec_lo, s28
	s_delay_alu instid0(VALU_DEP_1) | instskip(SKIP_1) | instid1(VALU_DEP_3)
	v_add_co_u32 v3, vcc_lo, v26, v3
	v_and_b32_e32 v36, 0x2000, v30
	v_add_co_ci_u32_e32 v4, vcc_lo, v27, v4, vcc_lo
	s_mov_b32 s13, exec_lo
	ds_store_b64 v0, v[3:4] offset:784
	v_cmpx_ne_u32_e32 0, v36
	s_cbranch_execz .LBB16_569
; %bb.568:                              ;   in Loop: Header=BB16_546 Depth=2
	ds_load_b64 v[3:4], v0 offset:584
	s_waitcnt lgkmcnt(0)
	v_add_co_u32 v3, vcc_lo, v3, 1
	v_add_co_ci_u32_e32 v4, vcc_lo, 0, v4, vcc_lo
	ds_store_b64 v0, v[3:4] offset:584
.LBB16_569:                             ;   in Loop: Header=BB16_546 Depth=2
	s_or_b32 exec_lo, exec_lo, s13
	v_add_co_u32 v14, vcc_lo, v14, 2
	v_add_co_ci_u32_e32 v15, vcc_lo, 0, v15, vcc_lo
.LBB16_570:                             ;   in Loop: Header=BB16_546 Depth=2
	s_or_b32 exec_lo, exec_lo, s17
	s_and_saveexec_b32 s13, s2
	s_cbranch_execz .LBB16_592
; %bb.571:                              ;   in Loop: Header=BB16_546 Depth=2
	s_and_saveexec_b32 s17, s3
	s_delay_alu instid0(SALU_CYCLE_1)
	s_xor_b32 s17, exec_lo, s17
	s_cbranch_execz .LBB16_589
; %bb.572:                              ;   in Loop: Header=BB16_546 Depth=2
	s_and_saveexec_b32 s28, s1
	s_cbranch_execz .LBB16_588
; %bb.573:                              ;   in Loop: Header=BB16_546 Depth=2
	s_mov_b32 vcc_hi, exec_lo
	s_mov_b32 s29, exec_lo
	v_mbcnt_lo_u32_b32 v3, vcc_hi, 0
	s_waitcnt lgkmcnt(0)
	s_waitcnt_vscnt null, 0x0
	buffer_gl1_inv
	buffer_gl0_inv
	v_cmpx_eq_u32_e32 0, v3
	s_cbranch_execz .LBB16_575
; %bb.574:                              ;   in Loop: Header=BB16_546 Depth=2
	s_bcnt1_i32_b32 vcc_lo, vcc_hi
	s_delay_alu instid0(SALU_CYCLE_1)
	v_mov_b32_e32 v36, vcc_lo
	ds_add_u64 v0, v[36:37]
	s_cbranch_execnz .LBB16_1325
.LBB16_575:                             ;   in Loop: Header=BB16_546 Depth=2
	s_or_b32 exec_lo, exec_lo, s29
	s_cbranch_execnz .LBB16_1307
; %bb.576:                              ;   in Loop: Header=BB16_546 Depth=2
	ds_load_b64 v[3:4], v0
	v_add_co_u32 v28, vcc_lo, v28, v82
	v_add_co_ci_u32_e32 v29, vcc_lo, 0, v29, vcc_lo
	s_mov_b32 s29, exec_lo
	s_waitcnt lgkmcnt(0)
	s_delay_alu instid0(VALU_DEP_1)
	v_cmpx_lt_u64_e64 v[3:4], v[28:29]
	s_cbranch_execz .LBB16_587
; %bb.577:                              ;   in Loop: Header=BB16_546 Depth=2
	s_mov_b32 vcc_hi, 0
	s_mov_b32 s34, 0
                                        ; implicit-def: $sgpr30
                                        ; implicit-def: $sgpr31
	s_branch .LBB16_579
.LBB16_578:                             ;   in Loop: Header=BB16_579 Depth=3
	s_or_b32 exec_lo, exec_lo, s36
	s_delay_alu instid0(SALU_CYCLE_1) | instskip(NEXT) | instid1(SALU_CYCLE_1)
	s_and_b32 vcc_lo, exec_lo, vcc_lo
	s_or_b32 vcc_hi, vcc_lo, vcc_hi
	s_and_not1_b32 vcc_lo, s30, exec_lo
	s_and_b32 s30, s31, exec_lo
	s_delay_alu instid0(SALU_CYCLE_1)
	s_or_b32 s30, vcc_lo, s30
	s_and_not1_b32 exec_lo, exec_lo, vcc_hi
	s_cbranch_execz .LBB16_585
.LBB16_579:                             ;   Parent Loop BB16_93 Depth=1
                                        ;     Parent Loop BB16_546 Depth=2
                                        ; =>    This Inner Loop Header: Depth=3
	s_add_i32 s34, s34, 1
                                        ; implicit-def: $sgpr36
	s_delay_alu instid0(SALU_CYCLE_1) | instskip(SKIP_1) | instid1(SALU_CYCLE_1)
	s_cmpk_lg_i32 s34, 0x2710
	s_cselect_b32 s35, -1, 0
	s_and_b32 vcc_lo, exec_lo, s35
	s_cbranch_vccz .LBB16_583
.LBB16_580:                             ;   in Loop: Header=BB16_579 Depth=3
	s_and_not1_b32 s31, s31, exec_lo
	s_and_b32 s36, s36, exec_lo
	s_mov_b32 vcc_lo, -1
	s_or_b32 s31, s31, s36
	s_and_saveexec_b32 s36, s35
	s_cbranch_execz .LBB16_578
; %bb.581:                              ;   in Loop: Header=BB16_579 Depth=3
	s_sleep 1
	s_cbranch_execnz .LBB16_1375
; %bb.582:                              ;   in Loop: Header=BB16_579 Depth=3
	ds_load_b64 v[3:4], v0
	s_and_not1_b32 s31, s31, exec_lo
	s_waitcnt lgkmcnt(0)
	v_cmp_ge_u64_e32 vcc_lo, v[3:4], v[28:29]
	s_or_not1_b32 vcc_lo, vcc_lo, exec_lo
	s_branch .LBB16_578
.LBB16_583:                             ;   in Loop: Header=BB16_579 Depth=3
	s_cbranch_execnz .LBB16_1387
; %bb.584:                              ;   in Loop: Header=BB16_579 Depth=3
	ds_load_b64 v[3:4], v0
	s_and_not1_b32 s35, s35, exec_lo
	s_mov_b32 s34, 0
	s_mov_b32 s36, -1
	s_waitcnt lgkmcnt(0)
	flat_load_b32 v3, v[3:4] glc
	s_waitcnt vmcnt(0) lgkmcnt(0)
	buffer_gl1_inv
	buffer_gl0_inv
	v_cmp_eq_u32_e32 vcc_lo, 0, v3
	s_and_b32 vcc_lo, vcc_lo, exec_lo
	s_delay_alu instid0(SALU_CYCLE_1)
	s_or_b32 s35, s35, vcc_lo
	s_branch .LBB16_580
.LBB16_585:                             ;   in Loop: Header=BB16_546 Depth=2
	s_or_b32 exec_lo, exec_lo, vcc_hi
	s_and_saveexec_b32 vcc_lo, s30
	s_delay_alu instid0(SALU_CYCLE_1)
	s_xor_b32 vcc_lo, exec_lo, vcc_lo
	s_cbranch_execz .LBB16_587
; %bb.586:                              ;   in Loop: Header=BB16_546 Depth=2
	ds_store_b32 v0, v119
	s_cbranch_execnz .LBB16_1570
.LBB16_587:                             ;   in Loop: Header=BB16_546 Depth=2
	s_or_b32 exec_lo, exec_lo, s29
	;;#ASMSTART
	s_wakeup
	;;#ASMEND
.LBB16_588:                             ;   in Loop: Header=BB16_546 Depth=2
	s_or_b32 exec_lo, exec_lo, s28
.LBB16_589:                             ;   in Loop: Header=BB16_546 Depth=2
	s_and_not1_saveexec_b32 s17, s17
	s_cbranch_execz .LBB16_591
; %bb.590:                              ;   in Loop: Header=BB16_546 Depth=2
	s_waitcnt lgkmcnt(0)
	s_waitcnt_vscnt null, 0x0
	buffer_gl1_inv
	buffer_gl0_inv
	s_barrier
.LBB16_591:                             ;   in Loop: Header=BB16_546 Depth=2
	s_or_b32 exec_lo, exec_lo, s17
.LBB16_592:                             ;   in Loop: Header=BB16_546 Depth=2
	s_delay_alu instid0(SALU_CYCLE_1) | instskip(SKIP_1) | instid1(SALU_CYCLE_1)
	s_or_b32 exec_lo, exec_lo, s13
                                        ; implicit-def: $vgpr3
	s_and_saveexec_b32 s13, s6
	s_xor_b32 s17, exec_lo, s13
	s_cbranch_execz .LBB16_597
; %bb.593:                              ;   in Loop: Header=BB16_546 Depth=2
	s_cbranch_execnz .LBB16_1248
; %bb.594:                              ;   in Loop: Header=BB16_546 Depth=2
	ds_load_b32 v3, v0
	v_cmp_lt_i32_e32 vcc_lo, 0, v2
	s_waitcnt lgkmcnt(0)
	v_readfirstlane_b32 s13, v3
	v_and_b32_e32 v3, 16, v30
	s_delay_alu instid0(VALU_DEP_2) | instskip(NEXT) | instid1(VALU_DEP_1)
	s_cmp_eq_u32 s13, 0
	v_cmp_ne_u32_e64 s13, 0, v3
	s_cselect_b32 s28, -1, 0
	v_and_b32_e32 v3, 16, v30
	s_and_b32 s28, vcc_lo, s28
	s_delay_alu instid0(VALU_DEP_2) | instid1(SALU_CYCLE_1)
	s_and_b32 s28, s13, s28
	s_delay_alu instid0(SALU_CYCLE_1)
	s_and_saveexec_b32 s13, s28
	s_cbranch_execz .LBB16_596
; %bb.595:                              ;   in Loop: Header=BB16_546 Depth=2
	v_mov_b32_e32 v3, 1
	s_waitcnt_vscnt null, 0x0
	buffer_gl1_inv
	buffer_gl0_inv
.LBB16_596:                             ;   in Loop: Header=BB16_546 Depth=2
	s_or_b32 exec_lo, exec_lo, s13
.LBB16_597:                             ;   in Loop: Header=BB16_546 Depth=2
	s_and_not1_saveexec_b32 s13, s17
	s_cbranch_execz .LBB16_619
; %bb.598:                              ;   in Loop: Header=BB16_546 Depth=2
	s_and_saveexec_b32 s17, s3
	s_delay_alu instid0(SALU_CYCLE_1)
	s_xor_b32 s17, exec_lo, s17
	s_cbranch_execz .LBB16_616
; %bb.599:                              ;   in Loop: Header=BB16_546 Depth=2
	s_and_saveexec_b32 s28, s1
	s_cbranch_execz .LBB16_615
; %bb.600:                              ;   in Loop: Header=BB16_546 Depth=2
	s_mov_b32 vcc_hi, exec_lo
	s_mov_b32 s29, exec_lo
	v_mbcnt_lo_u32_b32 v3, vcc_hi, 0
	;;#ASMSTART
	s_waitcnt lgkmcnt(0) vmcnt(0)
	;;#ASMEND
	s_delay_alu instid0(VALU_DEP_1)
	v_cmpx_eq_u32_e32 0, v3
	s_cbranch_execz .LBB16_602
; %bb.601:                              ;   in Loop: Header=BB16_546 Depth=2
	s_bcnt1_i32_b32 vcc_lo, vcc_hi
	s_delay_alu instid0(SALU_CYCLE_1)
	v_mov_b32_e32 v36, vcc_lo
	ds_add_u64 v0, v[36:37]
	s_cbranch_execnz .LBB16_1345
.LBB16_602:                             ;   in Loop: Header=BB16_546 Depth=2
	s_or_b32 exec_lo, exec_lo, s29
	s_cbranch_execnz .LBB16_1323
; %bb.603:                              ;   in Loop: Header=BB16_546 Depth=2
	ds_load_b64 v[3:4], v0
	v_add_co_u32 v28, vcc_lo, v28, v82
	v_add_co_ci_u32_e32 v29, vcc_lo, 0, v29, vcc_lo
	s_mov_b32 s29, exec_lo
	s_waitcnt lgkmcnt(0)
	s_delay_alu instid0(VALU_DEP_1)
	v_cmpx_lt_u64_e64 v[3:4], v[28:29]
	s_cbranch_execz .LBB16_614
; %bb.604:                              ;   in Loop: Header=BB16_546 Depth=2
	s_mov_b32 vcc_hi, 0
	s_mov_b32 s34, 0
                                        ; implicit-def: $sgpr30
                                        ; implicit-def: $sgpr31
	s_branch .LBB16_606
.LBB16_605:                             ;   in Loop: Header=BB16_606 Depth=3
	s_or_b32 exec_lo, exec_lo, s36
	s_delay_alu instid0(SALU_CYCLE_1) | instskip(NEXT) | instid1(SALU_CYCLE_1)
	s_and_b32 vcc_lo, exec_lo, vcc_lo
	s_or_b32 vcc_hi, vcc_lo, vcc_hi
	s_and_not1_b32 vcc_lo, s30, exec_lo
	s_and_b32 s30, s31, exec_lo
	s_delay_alu instid0(SALU_CYCLE_1)
	s_or_b32 s30, vcc_lo, s30
	s_and_not1_b32 exec_lo, exec_lo, vcc_hi
	s_cbranch_execz .LBB16_612
.LBB16_606:                             ;   Parent Loop BB16_93 Depth=1
                                        ;     Parent Loop BB16_546 Depth=2
                                        ; =>    This Inner Loop Header: Depth=3
	s_add_i32 s34, s34, 1
                                        ; implicit-def: $sgpr36
	s_delay_alu instid0(SALU_CYCLE_1) | instskip(SKIP_1) | instid1(SALU_CYCLE_1)
	s_cmpk_lg_i32 s34, 0x2710
	s_cselect_b32 s35, -1, 0
	s_and_b32 vcc_lo, exec_lo, s35
	s_cbranch_vccz .LBB16_610
.LBB16_607:                             ;   in Loop: Header=BB16_606 Depth=3
	s_and_not1_b32 s31, s31, exec_lo
	s_and_b32 s36, s36, exec_lo
	s_mov_b32 vcc_lo, -1
	s_or_b32 s31, s31, s36
	s_and_saveexec_b32 s36, s35
	s_cbranch_execz .LBB16_605
; %bb.608:                              ;   in Loop: Header=BB16_606 Depth=3
	s_sleep 1
	s_cbranch_execnz .LBB16_1395
; %bb.609:                              ;   in Loop: Header=BB16_606 Depth=3
	ds_load_b64 v[3:4], v0
	s_and_not1_b32 s31, s31, exec_lo
	s_waitcnt lgkmcnt(0)
	v_cmp_ge_u64_e32 vcc_lo, v[3:4], v[28:29]
	s_or_not1_b32 vcc_lo, vcc_lo, exec_lo
	s_branch .LBB16_605
.LBB16_610:                             ;   in Loop: Header=BB16_606 Depth=3
	s_cbranch_execnz .LBB16_1413
; %bb.611:                              ;   in Loop: Header=BB16_606 Depth=3
	ds_load_b64 v[3:4], v0
	s_and_not1_b32 s35, s35, exec_lo
	s_mov_b32 s34, 0
	s_mov_b32 s36, -1
	s_waitcnt lgkmcnt(0)
	s_waitcnt_vscnt null, 0x0
	flat_load_b32 v3, v[3:4] glc
	s_waitcnt vmcnt(0) lgkmcnt(0)
	buffer_gl1_inv
	buffer_gl0_inv
	v_cmp_eq_u32_e32 vcc_lo, 0, v3
	s_and_b32 vcc_lo, vcc_lo, exec_lo
	s_delay_alu instid0(SALU_CYCLE_1)
	s_or_b32 s35, s35, vcc_lo
	s_branch .LBB16_607
.LBB16_612:                             ;   in Loop: Header=BB16_546 Depth=2
	s_or_b32 exec_lo, exec_lo, vcc_hi
	s_and_saveexec_b32 vcc_lo, s30
	s_delay_alu instid0(SALU_CYCLE_1)
	s_xor_b32 vcc_lo, exec_lo, vcc_lo
	s_cbranch_execz .LBB16_614
; %bb.613:                              ;   in Loop: Header=BB16_546 Depth=2
	ds_store_b32 v0, v119
	s_cbranch_execnz .LBB16_1574
.LBB16_614:                             ;   in Loop: Header=BB16_546 Depth=2
	s_or_b32 exec_lo, exec_lo, s29
	;;#ASMSTART
	s_wakeup
	;;#ASMEND
.LBB16_615:                             ;   in Loop: Header=BB16_546 Depth=2
	s_or_b32 exec_lo, exec_lo, s28
.LBB16_616:                             ;   in Loop: Header=BB16_546 Depth=2
	s_and_not1_saveexec_b32 s17, s17
	s_cbranch_execz .LBB16_618
; %bb.617:                              ;   in Loop: Header=BB16_546 Depth=2
	;;#ASMSTART
	s_waitcnt lgkmcnt(0) vmcnt(0)
	;;#ASMEND
	s_waitcnt lgkmcnt(0)
	s_waitcnt_vscnt null, 0x0
	s_barrier
.LBB16_618:                             ;   in Loop: Header=BB16_546 Depth=2
	s_or_b32 exec_lo, exec_lo, s17
	v_and_b32_e32 v3, 16, v30
.LBB16_619:                             ;   in Loop: Header=BB16_546 Depth=2
	s_or_b32 exec_lo, exec_lo, s13
	s_delay_alu instid0(SALU_CYCLE_1) | instskip(NEXT) | instid1(VALU_DEP_1)
	s_mov_b32 s13, exec_lo
	v_cmpx_ne_u32_e32 0, v3
	s_cbranch_execz .LBB16_623
; %bb.620:                              ;   in Loop: Header=BB16_546 Depth=2
	s_and_saveexec_b32 s17, s10
	s_cbranch_execz .LBB16_622
; %bb.621:                              ;   in Loop: Header=BB16_546 Depth=2
	s_waitcnt lgkmcnt(0)
	s_waitcnt_vscnt null, 0x0
	flat_store_b32 v[32:33], v119
.LBB16_622:                             ;   in Loop: Header=BB16_546 Depth=2
	s_or_b32 exec_lo, exec_lo, s17
	v_add_co_u32 v14, vcc_lo, v14, 2
	v_add_co_ci_u32_e32 v15, vcc_lo, 0, v15, vcc_lo
	s_waitcnt lgkmcnt(0)
	s_waitcnt_vscnt null, 0x0
	flat_store_b64 v[24:25], v[14:15]
.LBB16_623:                             ;   in Loop: Header=BB16_546 Depth=2
	s_or_b32 exec_lo, exec_lo, s13
	v_add_nc_u32_e32 v5, v2, v5
	s_mov_b32 s13, 0
	s_and_not1_b32 exec_lo, exec_lo, s16
	s_cbranch_execnz .LBB16_546
; %bb.624:                              ;   in Loop: Header=BB16_93 Depth=1
	s_or_b32 exec_lo, exec_lo, s16
.LBB16_625:                             ;   in Loop: Header=BB16_93 Depth=1
	s_delay_alu instid0(SALU_CYCLE_1)
	s_or_b32 exec_lo, exec_lo, s14
.LBB16_626:                             ;   in Loop: Header=BB16_93 Depth=1
	s_delay_alu instid0(SALU_CYCLE_1) | instskip(NEXT) | instid1(SALU_CYCLE_1)
	s_or_b32 exec_lo, exec_lo, s15
	s_and_not1_b32 vcc_lo, exec_lo, s24
	s_cbranch_vccnz .LBB16_925
; %bb.627:                              ;   in Loop: Header=BB16_93 Depth=1
	s_mov_b32 s28, 1
.LBB16_628:                             ;   Parent Loop BB16_93 Depth=1
                                        ; =>  This Loop Header: Depth=2
                                        ;       Child Loop BB16_630 Depth 3
                                        ;         Child Loop BB16_639 Depth 4
                                        ;         Child Loop BB16_671 Depth 4
                                        ;         Child Loop BB16_694 Depth 4
                                        ;         Child Loop BB16_719 Depth 4
                                        ;         Child Loop BB16_725 Depth 4
                                        ;           Child Loop BB16_726 Depth 5
                                        ;         Child Loop BB16_737 Depth 4
                                        ;         Child Loop BB16_743 Depth 4
                                        ;           Child Loop BB16_744 Depth 5
                                        ;         Child Loop BB16_758 Depth 4
                                        ;         Child Loop BB16_764 Depth 4
	;; [unrolled: 1-line block ×6, first 2 shown]
                                        ;       Child Loop BB16_839 Depth 3
                                        ;         Child Loop BB16_845 Depth 4
                                        ;         Child Loop BB16_877 Depth 4
	;; [unrolled: 1-line block ×3, first 2 shown]
	v_mov_b32_e32 v2, 0
	v_mov_b32_e32 v52, v129
	;; [unrolled: 1-line block ×3, first 2 shown]
	s_mov_b32 vcc_hi, 0
	s_and_saveexec_b32 s29, s12
	s_cbranch_execz .LBB16_837
; %bb.629:                              ;   in Loop: Header=BB16_628 Depth=2
	s_sub_i32 s14, s18, s28
	v_mov_b32_e32 v130, 0
	s_ashr_i32 s15, s14, 31
	v_mov_b32_e32 v52, v129
	s_lshl_b64 s[14:15], s[14:15], 2
	s_mov_b32 s16, -1
	v_add_co_u32 v2, vcc_lo, v18, s14
	v_add_co_ci_u32_e32 v3, vcc_lo, s15, v19, vcc_lo
	s_mov_b32 s15, 1
	flat_load_b32 v2, v[2:3]
	s_waitcnt vmcnt(0) lgkmcnt(0)
	v_ashrrev_i32_e32 v3, 31, v2
	v_mul_lo_u32 v4, v67, v2
	v_mad_u64_u32 v[54:55], null, v66, v2, v[50:51]
	s_delay_alu instid0(VALU_DEP_3) | instskip(NEXT) | instid1(VALU_DEP_1)
	v_mul_lo_u32 v2, v66, v3
	v_add3_u32 v55, v4, v55, v2
.LBB16_630:                             ;   Parent Loop BB16_93 Depth=1
                                        ;     Parent Loop BB16_628 Depth=2
                                        ; =>    This Loop Header: Depth=3
                                        ;         Child Loop BB16_639 Depth 4
                                        ;         Child Loop BB16_671 Depth 4
                                        ;         Child Loop BB16_694 Depth 4
                                        ;         Child Loop BB16_719 Depth 4
                                        ;         Child Loop BB16_725 Depth 4
                                        ;           Child Loop BB16_726 Depth 5
                                        ;         Child Loop BB16_737 Depth 4
                                        ;         Child Loop BB16_743 Depth 4
                                        ;           Child Loop BB16_744 Depth 5
                                        ;         Child Loop BB16_758 Depth 4
                                        ;         Child Loop BB16_764 Depth 4
	;; [unrolled: 1-line block ×6, first 2 shown]
	s_and_saveexec_b32 s14, s0
	s_cbranch_execz .LBB16_633
; %bb.631:                              ;   in Loop: Header=BB16_630 Depth=3
	s_cbranch_execnz .LBB16_1236
; %bb.632:                              ;   in Loop: Header=BB16_630 Depth=3
	ds_load_b128 v[2:5], v0
	v_ashrrev_i32_e32 v36, 31, v130
	s_waitcnt lgkmcnt(0)
	v_add_co_u32 v53, vcc_lo, v4, v54
	v_add_co_ci_u32_e32 v64, vcc_lo, v5, v55, vcc_lo
	v_add_co_u32 v2, vcc_lo, v2, v54
	v_add_co_ci_u32_e32 v3, vcc_lo, v3, v55, vcc_lo
	s_delay_alu instid0(VALU_DEP_4) | instskip(NEXT) | instid1(VALU_DEP_4)
	v_add_co_u32 v53, vcc_lo, v53, v130
	v_add_co_ci_u32_e32 v64, vcc_lo, v64, v36, vcc_lo
	v_cmp_ne_u64_e32 vcc_lo, 0, v[4:5]
	v_add_co_u32 v2, s13, v2, v130
	s_delay_alu instid0(VALU_DEP_1) | instskip(NEXT) | instid1(VALU_DEP_4)
	v_add_co_ci_u32_e64 v3, s13, v3, v36, s13
	v_dual_cndmask_b32 v5, 0, v64 :: v_dual_cndmask_b32 v4, 0, v53
	ds_store_b64 v0, v[2:3]
	ds_store_b64 v0, v[4:5]
.LBB16_633:                             ;   in Loop: Header=BB16_630 Depth=3
	s_or_b32 exec_lo, exec_lo, s14
	v_and_b32_e32 v2, 12, v30
	s_mov_b32 s17, -1
	s_mov_b32 s13, exec_lo
	s_delay_alu instid0(VALU_DEP_1)
	v_cmpx_ne_u32_e32 0, v2
	s_cbranch_execz .LBB16_647
; %bb.634:                              ;   in Loop: Header=BB16_630 Depth=3
	v_dual_mov_b32 v5, 1 :: v_dual_and_b32 v4, 8, v30
	s_mov_b32 s14, s15
	s_mov_b32 s15, s16
	s_mov_b32 s16, exec_lo
	s_delay_alu instid0(VALU_DEP_1) | instskip(SKIP_3) | instid1(VALU_DEP_1)
	v_add_co_u32 v64, vcc_lo, v34, v4
	v_add_co_ci_u32_e32 v65, vcc_lo, 0, v35, vcc_lo
	v_add_co_u32 v2, vcc_lo, v14, 2
	v_add_co_ci_u32_e32 v3, vcc_lo, 0, v15, vcc_lo
	v_cmpx_lt_u64_e64 v[64:65], v[2:3]
	s_cbranch_execz .LBB16_646
; %bb.635:                              ;   in Loop: Header=BB16_630 Depth=3
	v_mov_b32_e32 v5, 0
	s_mov_b32 s17, 0
                                        ; implicit-def: $sgpr30
	s_branch .LBB16_639
.LBB16_636:                             ;   in Loop: Header=BB16_639 Depth=4
	s_or_b32 exec_lo, exec_lo, s36
	v_mov_b32_e32 v36, 0
	s_or_not1_b32 s35, s35, exec_lo
.LBB16_637:                             ;   in Loop: Header=BB16_639 Depth=4
	s_or_b32 exec_lo, exec_lo, s34
	s_delay_alu instid0(VALU_DEP_1) | instskip(SKIP_2) | instid1(SALU_CYCLE_1)
	v_mov_b32_e32 v5, v36
	s_and_not1_b32 vcc_lo, s30, exec_lo
	s_and_b32 s30, s35, exec_lo
	s_or_b32 s30, vcc_lo, s30
.LBB16_638:                             ;   in Loop: Header=BB16_639 Depth=4
	s_or_b32 exec_lo, exec_lo, s31
	s_waitcnt vmcnt(0) lgkmcnt(0)
	v_add_co_u32 v64, vcc_lo, v34, v4
	v_add_co_ci_u32_e32 v65, vcc_lo, 0, v35, vcc_lo
	s_xor_b32 s31, s30, -1
	s_delay_alu instid0(VALU_DEP_1) | instskip(SKIP_1) | instid1(SALU_CYCLE_1)
	v_cmp_ge_u64_e32 vcc_lo, v[64:65], v[2:3]
	s_or_b32 vcc_lo, s31, vcc_lo
	s_and_b32 vcc_lo, exec_lo, vcc_lo
	s_delay_alu instid0(SALU_CYCLE_1) | instskip(NEXT) | instid1(SALU_CYCLE_1)
	s_or_b32 s17, vcc_lo, s17
	s_and_not1_b32 exec_lo, exec_lo, s17
	s_cbranch_execz .LBB16_645
.LBB16_639:                             ;   Parent Loop BB16_93 Depth=1
                                        ;     Parent Loop BB16_628 Depth=2
                                        ;       Parent Loop BB16_630 Depth=3
                                        ; =>      This Inner Loop Header: Depth=4
	s_sleep 1
	flat_load_b64 v[34:35], v[24:25] glc
	v_and_b32_e32 v36, 64, v30
	s_and_not1_b32 s30, s30, exec_lo
	s_mov_b32 s31, exec_lo
	s_delay_alu instid0(VALU_DEP_1)
	v_cmpx_eq_u32_e32 0, v36
	s_cbranch_execz .LBB16_638
; %bb.640:                              ;   in Loop: Header=BB16_639 Depth=4
	v_add_nc_u32_e32 v36, 1, v5
	s_mov_b32 s35, -1
	s_mov_b32 s34, exec_lo
	v_cmpx_lt_i32_e32 0x270e, v5
	s_cbranch_execz .LBB16_637
; %bb.641:                              ;   in Loop: Header=BB16_639 Depth=4
	s_cbranch_execnz .LBB16_1262
; %bb.642:                              ;   in Loop: Header=BB16_639 Depth=4
	ds_load_b64 v[64:65], v0
	s_mov_b32 s36, exec_lo
	s_waitcnt vmcnt(0) lgkmcnt(0)
	s_waitcnt_vscnt null, 0x0
	flat_load_b32 v5, v[64:65] glc
	s_waitcnt vmcnt(0) lgkmcnt(0)
	buffer_gl1_inv
	buffer_gl0_inv
	v_cmpx_ne_u32_e32 0, v5
	s_cbranch_execz .LBB16_636
; %bb.643:                              ;   in Loop: Header=BB16_639 Depth=4
	ds_store_b32 v0, v5
	s_cbranch_execnz .LBB16_1315
; %bb.644:                              ;   in Loop: Header=BB16_639 Depth=4
	v_or_b32_e32 v30, 64, v30
	s_xor_b32 s35, exec_lo, -1
	s_branch .LBB16_636
.LBB16_645:                             ;   in Loop: Header=BB16_630 Depth=3
	s_or_b32 exec_lo, exec_lo, s17
	v_and_b32_e32 v5, 12, v30
.LBB16_646:                             ;   in Loop: Header=BB16_630 Depth=3
	s_or_b32 exec_lo, exec_lo, s16
	s_delay_alu instid0(VALU_DEP_1)
	v_cmp_eq_u32_e32 vcc_lo, 0, v5
	s_mov_b32 s16, s15
	s_mov_b32 s15, s14
	;;#ASMSTART
	s_wakeup
	;;#ASMEND
	s_or_not1_b32 s17, vcc_lo, exec_lo
.LBB16_647:                             ;   in Loop: Header=BB16_630 Depth=3
	s_or_b32 exec_lo, exec_lo, s13
	v_sub_nc_u32_e32 v2, v128, v130
	s_xor_b32 s13, s17, -1
	s_delay_alu instid0(VALU_DEP_1)
	v_min_i32_e32 v52, v52, v2
	s_and_saveexec_b32 s14, s13
	s_cbranch_execz .LBB16_662
; %bb.648:                              ;   in Loop: Header=BB16_630 Depth=3
	v_and_b32_e32 v2, 0x108, v30
	s_mov_b32 s13, exec_lo
	s_delay_alu instid0(VALU_DEP_1)
	v_cmpx_ne_u32_e32 0x108, v2
	s_xor_b32 s13, exec_lo, s13
                                        ; implicit-def: $vgpr2_vgpr3
; %bb.649:                              ;   in Loop: Header=BB16_630 Depth=3
	v_and_b32_e32 v2, 7, v14
; %bb.650:                              ;   in Loop: Header=BB16_630 Depth=3
	s_and_not1_saveexec_b32 s13, s13
	s_cbranch_execz .LBB16_652
; %bb.651:                              ;   in Loop: Header=BB16_630 Depth=3
	v_and_b32_e32 v2, 7, v14
	v_ashrrev_i32_e32 v53, 31, v52
	s_delay_alu instid0(VALU_DEP_2)
	v_mad_u64_u32 v[3:4], null, v2, 24, v[12:13]
	flat_store_b64 v[3:4], v[52:53] offset:8
.LBB16_652:                             ;   in Loop: Header=BB16_630 Depth=3
	s_or_b32 exec_lo, exec_lo, s13
	v_and_b32_e32 v3, 0x100, v30
	s_mov_b32 s13, -1
	s_delay_alu instid0(VALU_DEP_1)
	v_cmp_ne_u32_e32 vcc_lo, 0, v3
                                        ; implicit-def: $vgpr3_vgpr4
	s_and_saveexec_b32 s17, vcc_lo
	s_cbranch_execnz .LBB16_655
; %bb.653:                              ;   in Loop: Header=BB16_630 Depth=3
	s_or_b32 exec_lo, exec_lo, s17
	s_and_saveexec_b32 s17, s13
	s_cbranch_execnz .LBB16_658
.LBB16_654:                             ;   in Loop: Header=BB16_630 Depth=3
	s_or_b32 exec_lo, exec_lo, s17
	s_cbranch_execnz .LBB16_1258
	s_branch .LBB16_659
.LBB16_655:                             ;   in Loop: Header=BB16_630 Depth=3
	v_mad_u64_u32 v[64:65], null, v2, 24, v[12:13]
	s_delay_alu instid0(VALU_DEP_1) | instskip(NEXT) | instid1(VALU_DEP_1)
	v_mov_b32_e32 v3, v65
	v_mad_u64_u32 v[4:5], null, v37, 24, v[3:4]
	s_delay_alu instid0(VALU_DEP_1) | instskip(SKIP_4) | instid1(VALU_DEP_1)
	v_mov_b32_e32 v65, v4
	flat_load_b32 v3, v[64:65]
	s_waitcnt vmcnt(0) lgkmcnt(0)
	v_cmp_ne_u32_e32 vcc_lo, 1, v3
	v_cmp_eq_u32_e64 s13, 1, v3
                                        ; implicit-def: $vgpr3_vgpr4
	s_and_saveexec_b32 s30, s13
	s_cbranch_execz .LBB16_657
; %bb.656:                              ;   in Loop: Header=BB16_630 Depth=3
	flat_load_b32 v3, v[64:65] offset:4 glc
	s_waitcnt vmcnt(0) lgkmcnt(0)
	v_ashrrev_i32_e32 v4, 31, v3
.LBB16_657:                             ;   in Loop: Header=BB16_630 Depth=3
	s_or_b32 exec_lo, exec_lo, s30
	s_delay_alu instid0(SALU_CYCLE_1)
	s_or_not1_b32 s13, vcc_lo, exec_lo
	s_or_b32 exec_lo, exec_lo, s17
	s_and_saveexec_b32 s17, s13
	s_cbranch_execz .LBB16_654
.LBB16_658:                             ;   in Loop: Header=BB16_630 Depth=3
	v_mul_lo_u32 v5, v37, v68
	v_mul_lo_u32 v36, v2, v80
	v_mad_u64_u32 v[3:4], null, v2, v68, 0
	s_delay_alu instid0(VALU_DEP_1)
	v_add3_u32 v4, v4, v36, v5
	s_or_b32 exec_lo, exec_lo, s17
	s_cbranch_execnz .LBB16_1258
.LBB16_659:                             ;   in Loop: Header=BB16_630 Depth=3
	s_delay_alu instid0(VALU_DEP_2)
	v_add_co_u32 v2, vcc_lo, v26, v3
	v_and_b32_e32 v5, 0x2000, v30
	v_add_co_ci_u32_e32 v3, vcc_lo, v27, v4, vcc_lo
	s_mov_b32 s13, exec_lo
	ds_store_b64 v0, v[2:3]
	v_cmpx_ne_u32_e32 0, v5
	s_cbranch_execz .LBB16_661
; %bb.660:                              ;   in Loop: Header=BB16_630 Depth=3
	ds_load_b64 v[2:3], v0 offset:584
	s_waitcnt lgkmcnt(0)
	v_add_co_u32 v2, vcc_lo, v2, 1
	v_add_co_ci_u32_e32 v3, vcc_lo, 0, v3, vcc_lo
	ds_store_b64 v0, v[2:3] offset:584
.LBB16_661:                             ;   in Loop: Header=BB16_630 Depth=3
	s_or_b32 exec_lo, exec_lo, s13
	v_add_co_u32 v14, vcc_lo, v14, 2
	v_add_co_ci_u32_e32 v15, vcc_lo, 0, v15, vcc_lo
.LBB16_662:                             ;   in Loop: Header=BB16_630 Depth=3
	v_writelane_b32 v58, s16, 2
	v_writelane_b32 v58, s15, 3
	s_or_b32 exec_lo, exec_lo, s14
	s_and_saveexec_b32 s13, s2
	s_cbranch_execz .LBB16_684
; %bb.663:                              ;   in Loop: Header=BB16_630 Depth=3
	s_and_saveexec_b32 s14, s3
	s_delay_alu instid0(SALU_CYCLE_1)
	s_xor_b32 s14, exec_lo, s14
	s_cbranch_execz .LBB16_681
; %bb.664:                              ;   in Loop: Header=BB16_630 Depth=3
	s_and_saveexec_b32 s15, s1
	s_cbranch_execz .LBB16_680
; %bb.665:                              ;   in Loop: Header=BB16_630 Depth=3
	s_mov_b32 s17, exec_lo
	s_mov_b32 s16, exec_lo
	v_mbcnt_lo_u32_b32 v2, s17, 0
	s_waitcnt lgkmcnt(0)
	s_waitcnt_vscnt null, 0x0
	buffer_gl1_inv
	buffer_gl0_inv
	v_cmpx_eq_u32_e32 0, v2
	s_cbranch_execz .LBB16_667
; %bb.666:                              ;   in Loop: Header=BB16_630 Depth=3
	s_bcnt1_i32_b32 s17, s17
	s_delay_alu instid0(SALU_CYCLE_1)
	v_mov_b32_e32 v36, s17
	ds_add_u64 v0, v[36:37]
	s_cbranch_execnz .LBB16_1361
.LBB16_667:                             ;   in Loop: Header=BB16_630 Depth=3
	s_or_b32 exec_lo, exec_lo, s16
	s_cbranch_execnz .LBB16_1339
; %bb.668:                              ;   in Loop: Header=BB16_630 Depth=3
	ds_load_b64 v[2:3], v0
	v_add_co_u32 v28, vcc_lo, v28, v82
	v_add_co_ci_u32_e32 v29, vcc_lo, 0, v29, vcc_lo
	s_mov_b32 s16, exec_lo
	s_waitcnt lgkmcnt(0)
	s_delay_alu instid0(VALU_DEP_1)
	v_cmpx_lt_u64_e64 v[2:3], v[28:29]
	s_cbranch_execz .LBB16_679
; %bb.669:                              ;   in Loop: Header=BB16_630 Depth=3
	s_mov_b32 s17, 0
	s_mov_b32 s34, 0
                                        ; implicit-def: $sgpr30
                                        ; implicit-def: $sgpr31
	s_branch .LBB16_671
.LBB16_670:                             ;   in Loop: Header=BB16_671 Depth=4
	s_or_b32 exec_lo, exec_lo, s36
	s_delay_alu instid0(SALU_CYCLE_1) | instskip(NEXT) | instid1(SALU_CYCLE_1)
	s_and_b32 vcc_lo, exec_lo, vcc_lo
	s_or_b32 s17, vcc_lo, s17
	s_and_not1_b32 vcc_lo, s30, exec_lo
	s_and_b32 s30, s31, exec_lo
	s_delay_alu instid0(SALU_CYCLE_1)
	s_or_b32 s30, vcc_lo, s30
	s_and_not1_b32 exec_lo, exec_lo, s17
	s_cbranch_execz .LBB16_677
.LBB16_671:                             ;   Parent Loop BB16_93 Depth=1
                                        ;     Parent Loop BB16_628 Depth=2
                                        ;       Parent Loop BB16_630 Depth=3
                                        ; =>      This Inner Loop Header: Depth=4
	s_add_i32 s34, s34, 1
                                        ; implicit-def: $sgpr36
	s_delay_alu instid0(SALU_CYCLE_1) | instskip(SKIP_1) | instid1(SALU_CYCLE_1)
	s_cmpk_lg_i32 s34, 0x2710
	s_cselect_b32 s35, -1, 0
	s_and_b32 vcc_lo, exec_lo, s35
	s_cbranch_vccz .LBB16_675
.LBB16_672:                             ;   in Loop: Header=BB16_671 Depth=4
	s_and_not1_b32 s31, s31, exec_lo
	s_and_b32 s36, s36, exec_lo
	s_mov_b32 vcc_lo, -1
	s_or_b32 s31, s31, s36
	s_and_saveexec_b32 s36, s35
	s_cbranch_execz .LBB16_670
; %bb.673:                              ;   in Loop: Header=BB16_671 Depth=4
	s_sleep 1
	s_cbranch_execnz .LBB16_1415
; %bb.674:                              ;   in Loop: Header=BB16_671 Depth=4
	ds_load_b64 v[2:3], v0
	s_and_not1_b32 s31, s31, exec_lo
	s_waitcnt lgkmcnt(0)
	v_cmp_ge_u64_e32 vcc_lo, v[2:3], v[28:29]
	s_or_not1_b32 vcc_lo, vcc_lo, exec_lo
	s_branch .LBB16_670
.LBB16_675:                             ;   in Loop: Header=BB16_671 Depth=4
	s_cbranch_execnz .LBB16_1439
; %bb.676:                              ;   in Loop: Header=BB16_671 Depth=4
	ds_load_b64 v[2:3], v0
	s_and_not1_b32 s35, s35, exec_lo
	s_mov_b32 s34, 0
	s_mov_b32 s36, -1
	s_waitcnt lgkmcnt(0)
	flat_load_b32 v2, v[2:3] glc
	s_waitcnt vmcnt(0) lgkmcnt(0)
	buffer_gl1_inv
	buffer_gl0_inv
	v_cmp_eq_u32_e32 vcc_lo, 0, v2
	s_and_b32 vcc_lo, vcc_lo, exec_lo
	s_delay_alu instid0(SALU_CYCLE_1)
	s_or_b32 s35, s35, vcc_lo
	s_branch .LBB16_672
.LBB16_677:                             ;   in Loop: Header=BB16_630 Depth=3
	s_or_b32 exec_lo, exec_lo, s17
	s_and_saveexec_b32 s17, s30
	s_delay_alu instid0(SALU_CYCLE_1)
	s_xor_b32 s17, exec_lo, s17
	s_cbranch_execz .LBB16_679
; %bb.678:                              ;   in Loop: Header=BB16_630 Depth=3
	ds_store_b32 v0, v119
	s_cbranch_execnz .LBB16_1582
.LBB16_679:                             ;   in Loop: Header=BB16_630 Depth=3
	s_or_b32 exec_lo, exec_lo, s16
	;;#ASMSTART
	s_wakeup
	;;#ASMEND
.LBB16_680:                             ;   in Loop: Header=BB16_630 Depth=3
	s_or_b32 exec_lo, exec_lo, s15
.LBB16_681:                             ;   in Loop: Header=BB16_630 Depth=3
	s_and_not1_saveexec_b32 s14, s14
	s_cbranch_execz .LBB16_683
; %bb.682:                              ;   in Loop: Header=BB16_630 Depth=3
	s_waitcnt lgkmcnt(0)
	s_waitcnt_vscnt null, 0x0
	buffer_gl1_inv
	buffer_gl0_inv
	s_barrier
.LBB16_683:                             ;   in Loop: Header=BB16_630 Depth=3
	s_or_b32 exec_lo, exec_lo, s14
.LBB16_684:                             ;   in Loop: Header=BB16_630 Depth=3
	s_delay_alu instid0(SALU_CYCLE_1)
	s_or_b32 exec_lo, exec_lo, s13
	s_cbranch_execnz .LBB16_1244
; %bb.685:                              ;   in Loop: Header=BB16_630 Depth=3
	ds_load_b32 v2, v0
	v_and_b32_e32 v3, 0x4000, v30
	s_delay_alu instid0(VALU_DEP_1) | instskip(SKIP_1) | instid1(SALU_CYCLE_1)
	v_cmp_ne_u32_e32 vcc_lo, 0, v3
	s_and_b32 s14, s27, vcc_lo
	s_and_saveexec_b32 s13, s14
	s_cbranch_execz .LBB16_707
; %bb.686:                              ;   in Loop: Header=BB16_630 Depth=3
	s_and_saveexec_b32 s14, s3
	s_delay_alu instid0(SALU_CYCLE_1)
	s_xor_b32 s14, exec_lo, s14
	s_cbranch_execz .LBB16_704
; %bb.687:                              ;   in Loop: Header=BB16_630 Depth=3
	s_and_saveexec_b32 s15, s1
	s_cbranch_execz .LBB16_703
; %bb.688:                              ;   in Loop: Header=BB16_630 Depth=3
	s_mov_b32 s17, exec_lo
	s_mov_b32 s16, exec_lo
	v_mbcnt_lo_u32_b32 v3, s17, 0
	s_waitcnt lgkmcnt(0)
	s_waitcnt_vscnt null, 0x0
	buffer_gl1_inv
	buffer_gl0_inv
	v_cmpx_eq_u32_e32 0, v3
	s_cbranch_execz .LBB16_690
; %bb.689:                              ;   in Loop: Header=BB16_630 Depth=3
	s_bcnt1_i32_b32 s17, s17
	s_delay_alu instid0(SALU_CYCLE_1)
	v_mov_b32_e32 v36, s17
	ds_add_u64 v0, v[36:37]
	s_cbranch_execnz .LBB16_1407
.LBB16_690:                             ;   in Loop: Header=BB16_630 Depth=3
	s_or_b32 exec_lo, exec_lo, s16
	s_cbranch_execnz .LBB16_1381
; %bb.691:                              ;   in Loop: Header=BB16_630 Depth=3
	ds_load_b64 v[3:4], v0
	v_add_co_u32 v28, vcc_lo, v28, v82
	v_add_co_ci_u32_e32 v29, vcc_lo, 0, v29, vcc_lo
	s_mov_b32 s16, exec_lo
	s_waitcnt lgkmcnt(0)
	s_delay_alu instid0(VALU_DEP_1)
	v_cmpx_lt_u64_e64 v[3:4], v[28:29]
	s_cbranch_execz .LBB16_702
; %bb.692:                              ;   in Loop: Header=BB16_630 Depth=3
	s_mov_b32 s17, 0
	s_mov_b32 s34, 0
                                        ; implicit-def: $sgpr30
                                        ; implicit-def: $sgpr31
	s_branch .LBB16_694
.LBB16_693:                             ;   in Loop: Header=BB16_694 Depth=4
	s_or_b32 exec_lo, exec_lo, s36
	s_delay_alu instid0(SALU_CYCLE_1) | instskip(NEXT) | instid1(SALU_CYCLE_1)
	s_and_b32 vcc_lo, exec_lo, vcc_lo
	s_or_b32 s17, vcc_lo, s17
	s_and_not1_b32 vcc_lo, s30, exec_lo
	s_and_b32 s30, s31, exec_lo
	s_delay_alu instid0(SALU_CYCLE_1)
	s_or_b32 s30, vcc_lo, s30
	s_and_not1_b32 exec_lo, exec_lo, s17
	s_cbranch_execz .LBB16_700
.LBB16_694:                             ;   Parent Loop BB16_93 Depth=1
                                        ;     Parent Loop BB16_628 Depth=2
                                        ;       Parent Loop BB16_630 Depth=3
                                        ; =>      This Inner Loop Header: Depth=4
	s_add_i32 s34, s34, 1
                                        ; implicit-def: $sgpr36
	s_delay_alu instid0(SALU_CYCLE_1) | instskip(SKIP_1) | instid1(SALU_CYCLE_1)
	s_cmpk_lg_i32 s34, 0x2710
	s_cselect_b32 s35, -1, 0
	s_and_b32 vcc_lo, exec_lo, s35
	s_cbranch_vccz .LBB16_698
.LBB16_695:                             ;   in Loop: Header=BB16_694 Depth=4
	s_and_not1_b32 s31, s31, exec_lo
	s_and_b32 s36, s36, exec_lo
	s_mov_b32 vcc_lo, -1
	s_or_b32 s31, s31, s36
	s_and_saveexec_b32 s36, s35
	s_cbranch_execz .LBB16_693
; %bb.696:                              ;   in Loop: Header=BB16_694 Depth=4
	s_sleep 1
	s_cbranch_execnz .LBB16_1488
; %bb.697:                              ;   in Loop: Header=BB16_694 Depth=4
	ds_load_b64 v[3:4], v0
	s_and_not1_b32 s31, s31, exec_lo
	s_waitcnt lgkmcnt(0)
	v_cmp_ge_u64_e32 vcc_lo, v[3:4], v[28:29]
	s_or_not1_b32 vcc_lo, vcc_lo, exec_lo
	s_branch .LBB16_693
.LBB16_698:                             ;   in Loop: Header=BB16_694 Depth=4
	s_cbranch_execnz .LBB16_1496
; %bb.699:                              ;   in Loop: Header=BB16_694 Depth=4
	ds_load_b64 v[3:4], v0
	s_and_not1_b32 s35, s35, exec_lo
	s_mov_b32 s34, 0
	s_mov_b32 s36, -1
	s_waitcnt lgkmcnt(0)
	flat_load_b32 v3, v[3:4] glc
	s_waitcnt vmcnt(0) lgkmcnt(0)
	buffer_gl1_inv
	buffer_gl0_inv
	v_cmp_eq_u32_e32 vcc_lo, 0, v3
	s_and_b32 vcc_lo, vcc_lo, exec_lo
	s_delay_alu instid0(SALU_CYCLE_1)
	s_or_b32 s35, s35, vcc_lo
	s_branch .LBB16_695
.LBB16_700:                             ;   in Loop: Header=BB16_630 Depth=3
	s_or_b32 exec_lo, exec_lo, s17
	s_and_saveexec_b32 s17, s30
	s_delay_alu instid0(SALU_CYCLE_1)
	s_xor_b32 s17, exec_lo, s17
	s_cbranch_execz .LBB16_702
; %bb.701:                              ;   in Loop: Header=BB16_630 Depth=3
	ds_store_b32 v0, v119
	s_cbranch_execnz .LBB16_1594
.LBB16_702:                             ;   in Loop: Header=BB16_630 Depth=3
	s_or_b32 exec_lo, exec_lo, s16
	;;#ASMSTART
	s_wakeup
	;;#ASMEND
.LBB16_703:                             ;   in Loop: Header=BB16_630 Depth=3
	s_or_b32 exec_lo, exec_lo, s15
.LBB16_704:                             ;   in Loop: Header=BB16_630 Depth=3
	s_and_not1_saveexec_b32 s14, s14
	s_cbranch_execz .LBB16_706
; %bb.705:                              ;   in Loop: Header=BB16_630 Depth=3
	s_waitcnt lgkmcnt(0)
	s_waitcnt_vscnt null, 0x0
	buffer_gl1_inv
	buffer_gl0_inv
	s_barrier
.LBB16_706:                             ;   in Loop: Header=BB16_630 Depth=3
	s_or_b32 exec_lo, exec_lo, s14
.LBB16_707:                             ;   in Loop: Header=BB16_630 Depth=3
	s_delay_alu instid0(SALU_CYCLE_1)
	s_or_b32 exec_lo, exec_lo, s13
	s_cbranch_execnz .LBB16_1283
; %bb.708:                              ;   in Loop: Header=BB16_630 Depth=3
	ds_load_b64 v[3:4], v0
	v_mov_b32_e32 v53, 0
	s_waitcnt lgkmcnt(0)
	v_cmp_eq_u64_e32 vcc_lo, 0, v[3:4]
	s_or_b32 s13, vcc_lo, vcc_lo
	s_delay_alu instid0(SALU_CYCLE_1)
	s_and_b32 vcc_lo, exec_lo, s13
	s_cbranch_vccnz .LBB16_783
; %bb.709:                              ;   in Loop: Header=BB16_630 Depth=3
	v_cmp_eq_u32_e32 vcc_lo, 0, v2
	s_cbranch_execnz .LBB16_1335
; %bb.710:                              ;   in Loop: Header=BB16_630 Depth=3
	ds_load_b64 v[2:3], v0
	v_cndmask_b32_e32 v53, 0, v52, vcc_lo
	s_waitcnt lgkmcnt(0)
	v_cmp_ne_u64_e64 s13, 0, v[2:3]
	s_delay_alu instid0(VALU_DEP_1)
	s_and_b32 vcc_lo, exec_lo, s13
	s_cbranch_vccz .LBB16_748
; %bb.711:                              ;   in Loop: Header=BB16_630 Depth=3
	s_mov_b32 s13, -1
	s_and_saveexec_b32 s14, s11
	s_cbranch_execz .LBB16_713
; %bb.712:                              ;   in Loop: Header=BB16_630 Depth=3
	ds_load_b32 v2, v0 offset:720
	s_waitcnt lgkmcnt(0)
	v_and_b32_e32 v2, 15, v2
	s_delay_alu instid0(VALU_DEP_1)
	v_cmp_eq_u32_e32 vcc_lo, 0, v2
	s_or_not1_b32 s13, vcc_lo, exec_lo
.LBB16_713:                             ;   in Loop: Header=BB16_630 Depth=3
	s_or_b32 exec_lo, exec_lo, s14
	s_and_saveexec_b32 s14, s5
	s_cbranch_execz .LBB16_715
; %bb.714:                              ;   in Loop: Header=BB16_630 Depth=3
	ds_load_b32 v2, v0 offset:784
	s_waitcnt lgkmcnt(0)
	v_and_b32_e32 v2, 15, v2
	s_delay_alu instid0(VALU_DEP_1) | instskip(SKIP_3) | instid1(SALU_CYCLE_1)
	v_cmp_eq_u32_e32 vcc_lo, 0, v2
	s_and_b32 s15, s13, vcc_lo
	s_and_not1_b32 s13, s13, exec_lo
	s_and_b32 s15, s15, exec_lo
	s_or_b32 s13, s13, s15
.LBB16_715:                             ;   in Loop: Header=BB16_630 Depth=3
	s_or_b32 exec_lo, exec_lo, s14
	s_xor_b32 s13, s13, -1
	v_dual_mov_b32 v36, 0 :: v_dual_mov_b32 v131, v53
	v_cndmask_b32_e64 v2, 0, 1, s13
	;;#ASMSTART
	;;#ASMEND
	s_delay_alu instid0(VALU_DEP_1)
	v_cmp_ne_u32_e32 vcc_lo, 0, v2
	v_mov_b32_e32 v132, v0
	v_mov_b32_e32 v2, v71
	s_mov_b32 s13, -1
	s_cbranch_vccnz .LBB16_733
; %bb.716:                              ;   in Loop: Header=BB16_630 Depth=3
	v_ashrrev_i32_e32 v2, 31, v53
	s_mov_b32 s14, exec_lo
	s_delay_alu instid0(VALU_DEP_1) | instskip(NEXT) | instid1(VALU_DEP_1)
	v_lshrrev_b32_e32 v2, 21, v2
	v_add_nc_u32_e32 v2, v53, v2
	s_delay_alu instid0(VALU_DEP_1) | instskip(NEXT) | instid1(VALU_DEP_1)
	v_ashrrev_i32_e32 v36, 11, v2
	v_sub_nc_u32_e32 v134, v36, v71
	s_delay_alu instid0(VALU_DEP_1)
	v_cmpx_lt_i32_e32 0, v134
	s_cbranch_execz .LBB16_721
; %bb.717:                              ;   in Loop: Header=BB16_630 Depth=3
	s_cbranch_execnz .LBB16_1522
; %bb.718:                              ;   in Loop: Header=BB16_630 Depth=3
	ds_load_b64 v[2:3], v0
	ds_load_b128 v[144:147], v0
	s_mov_b32 s15, 0
	s_waitcnt lgkmcnt(1)
	v_add_co_u32 v2, vcc_lo, v2, v83
	v_add_co_ci_u32_e32 v3, vcc_lo, v3, v85, vcc_lo
	s_waitcnt lgkmcnt(0)
	v_add_co_u32 v4, vcc_lo, v144, v83
	v_add_co_ci_u32_e32 v5, vcc_lo, v145, v85, vcc_lo
	v_add_co_u32 v64, vcc_lo, v146, v83
	v_add_co_ci_u32_e32 v65, vcc_lo, v147, v85, vcc_lo
	s_set_inst_prefetch_distance 0x1
.LBB16_719:                             ;   Parent Loop BB16_93 Depth=1
                                        ;     Parent Loop BB16_628 Depth=2
                                        ;       Parent Loop BB16_630 Depth=3
                                        ; =>      This Inner Loop Header: Depth=4
	s_clause 0x3
	global_load_b128 v[144:147], v[2:3], off slc dlc
	global_load_b128 v[148:151], v[2:3], off offset:512 slc dlc
	global_load_b128 v[160:163], v[2:3], off offset:1024 slc dlc
	;; [unrolled: 1-line block ×3, first 2 shown]
	v_sub_nc_u32_e32 v134, v134, v82
	v_add_co_u32 v2, vcc_lo, v2, v87
	v_add_co_ci_u32_e32 v3, vcc_lo, v3, v96, vcc_lo
	s_delay_alu instid0(VALU_DEP_3)
	v_cmp_gt_i32_e32 vcc_lo, 1, v134
	s_waitcnt vmcnt(3)
	global_store_b128 v[4:5], v[144:147], off glc slc dlc
	s_waitcnt vmcnt(2)
	global_store_b128 v[4:5], v[148:151], off offset:512 glc slc dlc
	s_waitcnt vmcnt(1)
	global_store_b128 v[4:5], v[160:163], off offset:1024 glc slc dlc
	;; [unrolled: 2-line block ×3, first 2 shown]
	s_clause 0x3
	global_store_b128 v[64:65], v[144:147], off glc slc dlc
	global_store_b128 v[64:65], v[148:151], off offset:512 glc slc dlc
	global_store_b128 v[64:65], v[160:163], off offset:1024 glc slc dlc
	;; [unrolled: 1-line block ×3, first 2 shown]
	v_add_co_u32 v4, s13, v4, v87
	s_delay_alu instid0(VALU_DEP_1) | instskip(SKIP_1) | instid1(VALU_DEP_1)
	v_add_co_ci_u32_e64 v5, s13, v5, v96, s13
	v_add_co_u32 v64, s13, v64, v87
	v_add_co_ci_u32_e64 v65, s13, v65, v96, s13
	s_or_b32 s15, vcc_lo, s15
	s_delay_alu instid0(SALU_CYCLE_1)
	s_and_not1_b32 exec_lo, exec_lo, s15
	s_cbranch_execnz .LBB16_719
; %bb.720:                              ;   in Loop: Header=BB16_630 Depth=3
	s_set_inst_prefetch_distance 0x2
	s_or_b32 exec_lo, exec_lo, s15
.LBB16_721:                             ;   in Loop: Header=BB16_630 Depth=3
	s_delay_alu instid0(SALU_CYCLE_1) | instskip(SKIP_3) | instid1(VALU_DEP_1)
	s_or_b32 exec_lo, exec_lo, s14
	v_dual_mov_b32 v36, 0 :: v_dual_lshlrev_b32 v133, 11, v36
	s_mov_b32 s13, 0
	s_mov_b32 s16, exec_lo
                                        ; implicit-def: $vgpr131
                                        ; implicit-def: $vgpr132
                                        ; implicit-def: $vgpr2
	v_cmpx_ne_u32_e64 v53, v133
	s_cbranch_execz .LBB16_732
; %bb.722:                              ;   in Loop: Header=BB16_630 Depth=3
	v_lshlrev_b32_e32 v2, 5, v134
	v_sub_nc_u32_e32 v4, v53, v133
	s_mov_b32 s17, exec_lo
	s_delay_alu instid0(VALU_DEP_2) | instskip(NEXT) | instid1(VALU_DEP_2)
	v_sub_nc_u32_e32 v2, v81, v2
	v_ashrrev_i32_e32 v5, 31, v4
	s_delay_alu instid0(VALU_DEP_2) | instskip(NEXT) | instid1(VALU_DEP_2)
	v_ashrrev_i32_e32 v3, 31, v2
	v_lshrrev_b32_e32 v5, 23, v5
	s_delay_alu instid0(VALU_DEP_2) | instskip(NEXT) | instid1(VALU_DEP_2)
	v_lshrrev_b32_e32 v3, 27, v3
	v_add_nc_u32_e32 v5, v4, v5
	s_delay_alu instid0(VALU_DEP_2) | instskip(NEXT) | instid1(VALU_DEP_2)
	v_add_nc_u32_e32 v3, v2, v3
	v_and_b32_e32 v134, 0xfffffe00, v5
	v_ashrrev_i32_e32 v5, 9, v5
	s_delay_alu instid0(VALU_DEP_3) | instskip(NEXT) | instid1(VALU_DEP_3)
	v_and_b32_e32 v36, 0xffffffe0, v3
	v_sub_nc_u32_e32 v144, v4, v134
	v_ashrrev_i32_e32 v3, 5, v3
	s_delay_alu instid0(VALU_DEP_3) | instskip(NEXT) | instid1(VALU_DEP_3)
	v_sub_nc_u32_e32 v135, v2, v36
	v_cmp_lt_i32_e64 s13, 15, v144
	s_delay_alu instid0(VALU_DEP_2) | instskip(NEXT) | instid1(VALU_DEP_2)
	v_lshlrev_b32_e32 v2, 4, v135
	v_add_co_ci_u32_e64 v5, vcc_lo, 0, v5, s13
	s_delay_alu instid0(VALU_DEP_2) | instskip(NEXT) | instid1(VALU_DEP_2)
	v_lshl_add_u32 v2, v3, 9, v2
	v_sub_nc_u32_e32 v145, v5, v3
	s_delay_alu instid0(VALU_DEP_2) | instskip(NEXT) | instid1(VALU_DEP_1)
	v_sub_nc_u32_e32 v36, v4, v2
	v_cmpx_lt_i32_e32 15, v36
	s_cbranch_execz .LBB16_729
; %bb.723:                              ;   in Loop: Header=BB16_630 Depth=3
	s_cbranch_execnz .LBB16_1558
; %bb.724:                              ;   in Loop: Header=BB16_630 Depth=3
	ds_load_b64 v[3:4], v0
	ds_load_b128 v[146:149], v0
	v_add_nc_u32_e32 v2, v2, v133
	s_mov_b32 s30, 0
	s_delay_alu instid0(VALU_DEP_1) | instskip(SKIP_2) | instid1(VALU_DEP_2)
	v_ashrrev_i32_e32 v5, 31, v2
	s_waitcnt lgkmcnt(1)
	v_add_co_u32 v64, vcc_lo, v3, v2
	v_add_co_ci_u32_e32 v65, vcc_lo, v4, v5, vcc_lo
	s_waitcnt lgkmcnt(0)
	v_add_co_u32 v131, vcc_lo, v146, v2
	v_add_co_ci_u32_e32 v132, vcc_lo, v147, v5, vcc_lo
	v_add_co_u32 v146, vcc_lo, v148, v2
	v_add_co_ci_u32_e32 v147, vcc_lo, v149, v5, vcc_lo
.LBB16_725:                             ;   Parent Loop BB16_93 Depth=1
                                        ;     Parent Loop BB16_628 Depth=2
                                        ;       Parent Loop BB16_630 Depth=3
                                        ; =>      This Loop Header: Depth=4
                                        ;           Child Loop BB16_726 Depth 5
	global_load_b128 v[2:5], v[64:65], off slc dlc
	s_mov_b64 s[14:15], 0
	s_mov_b32 s31, -1
.LBB16_726:                             ;   Parent Loop BB16_93 Depth=1
                                        ;     Parent Loop BB16_628 Depth=2
                                        ;       Parent Loop BB16_630 Depth=3
                                        ;         Parent Loop BB16_725 Depth=4
                                        ; =>        This Inner Loop Header: Depth=5
	s_cmp_eq_u32 s14, 0
	v_cndmask_b32_e64 v150, 0, 1, s31
	s_cselect_b32 vcc_lo, -1, 0
	s_cmp_eq_u32 s14, 1
	s_mov_b32 s31, 0
	s_cselect_b32 s14, -1, 0
	s_delay_alu instid0(SALU_CYCLE_1) | instskip(SKIP_1) | instid1(VALU_DEP_2)
	v_cndmask_b32_e64 v148, v131, v146, s14
	v_cndmask_b32_e64 v149, v132, v147, s14
	v_add_co_u32 v151, s15, 0x200, v148
	s_delay_alu instid0(VALU_DEP_1) | instskip(SKIP_1) | instid1(VALU_DEP_3)
	v_add_co_ci_u32_e64 v160, s15, 0, v149, s15
	v_cmp_ne_u32_e64 s15, 1, v150
	v_cndmask_b32_e64 v146, v146, v151, s14
	v_cndmask_b32_e32 v131, v131, v151, vcc_lo
	s_delay_alu instid0(VALU_DEP_4)
	v_cndmask_b32_e64 v147, v147, v160, s14
	v_cndmask_b32_e32 v132, v132, v160, vcc_lo
	s_and_b32 vcc_lo, exec_lo, s15
	s_mov_b64 s[14:15], 1
	s_waitcnt vmcnt(0)
	global_store_b128 v[148:149], v[2:5], off glc slc dlc
	s_cbranch_vccz .LBB16_726
; %bb.727:                              ;   in Loop: Header=BB16_725 Depth=4
	v_add_co_u32 v131, vcc_lo, v131, v86
	v_sub_nc_u32_e32 v36, v36, v84
	v_add_co_ci_u32_e32 v132, vcc_lo, v132, v97, vcc_lo
	v_add_co_u32 v146, vcc_lo, v146, v86
	v_add_co_ci_u32_e32 v147, vcc_lo, v147, v97, vcc_lo
	s_delay_alu instid0(VALU_DEP_4) | instskip(SKIP_1) | instid1(VALU_DEP_1)
	v_cmp_gt_i32_e32 vcc_lo, 16, v36
	v_add_co_u32 v64, s14, v99, v64
	v_add_co_ci_u32_e64 v65, s14, v100, v65, s14
	v_sub_nc_u32_e32 v145, v145, v82
	s_or_b32 s30, vcc_lo, s30
	s_delay_alu instid0(SALU_CYCLE_1)
	s_and_not1_b32 exec_lo, exec_lo, s30
	s_cbranch_execnz .LBB16_725
; %bb.728:                              ;   in Loop: Header=BB16_630 Depth=3
	s_or_b32 exec_lo, exec_lo, s30
.LBB16_729:                             ;   in Loop: Header=BB16_630 Depth=3
	s_delay_alu instid0(SALU_CYCLE_1) | instskip(SKIP_3) | instid1(VALU_DEP_1)
	s_or_b32 exec_lo, exec_lo, s17
	v_dual_mov_b32 v36, 0 :: v_dual_and_b32 v3, 15, v53
	s_mov_b32 s14, 0
	s_mov_b32 s15, exec_lo
                                        ; implicit-def: $vgpr132
                                        ; implicit-def: $vgpr2
	v_cndmask_b32_e64 v131, v144, v3, s13
	s_delay_alu instid0(VALU_DEP_1)
	v_cmpx_ne_u32_e32 0, v131
	s_cbranch_execz .LBB16_731
; %bb.730:                              ;   in Loop: Header=BB16_630 Depth=3
	v_cmp_lt_i32_e32 vcc_lo, 0, v145
	v_sub_nc_u32_e32 v3, v144, v3
	s_mov_b32 s14, exec_lo
	v_cndmask_b32_e32 v2, 0, v82, vcc_lo
	s_delay_alu instid0(VALU_DEP_2) | instskip(NEXT) | instid1(VALU_DEP_2)
	v_cndmask_b32_e64 v3, 0, v3, s13
	v_sub_nc_u32_e32 v2, v2, v145
	s_delay_alu instid0(VALU_DEP_2) | instskip(NEXT) | instid1(VALU_DEP_2)
	v_add3_u32 v36, v134, v133, v3
	v_lshl_add_u32 v132, v2, 5, v135
	s_delay_alu instid0(VALU_DEP_1) | instskip(NEXT) | instid1(VALU_DEP_1)
	v_ashrrev_i32_e32 v2, 31, v132
	v_lshrrev_b32_e32 v2, 27, v2
	s_delay_alu instid0(VALU_DEP_1) | instskip(NEXT) | instid1(VALU_DEP_1)
	v_add_nc_u32_e32 v2, v132, v2
	v_ashrrev_i32_e32 v2, 5, v2
.LBB16_731:                             ;   in Loop: Header=BB16_630 Depth=3
	s_or_b32 exec_lo, exec_lo, s15
	s_delay_alu instid0(SALU_CYCLE_1)
	s_and_b32 s13, s14, exec_lo
.LBB16_732:                             ;   in Loop: Header=BB16_630 Depth=3
	s_or_b32 exec_lo, exec_lo, s16
.LBB16_733:                             ;   in Loop: Header=BB16_630 Depth=3
	s_and_saveexec_b32 s15, s13
	s_cbranch_execz .LBB16_747
; %bb.734:                              ;   in Loop: Header=BB16_630 Depth=3
	v_ashrrev_i32_e32 v3, 31, v131
	s_mov_b32 s13, exec_lo
	s_delay_alu instid0(VALU_DEP_1) | instskip(NEXT) | instid1(VALU_DEP_1)
	v_lshrrev_b32_e32 v3, 22, v3
	v_add_nc_u32_e32 v3, v131, v3
	s_delay_alu instid0(VALU_DEP_1) | instskip(NEXT) | instid1(VALU_DEP_1)
	v_ashrrev_i32_e32 v134, 10, v3
	v_sub_nc_u32_e32 v133, v134, v2
	s_delay_alu instid0(VALU_DEP_1)
	v_cmpx_lt_i32_e32 0, v133
	s_cbranch_execz .LBB16_739
; %bb.735:                              ;   in Loop: Header=BB16_630 Depth=3
	s_cbranch_execnz .LBB16_1514
; %bb.736:                              ;   in Loop: Header=BB16_630 Depth=3
	v_ashrrev_i32_e32 v3, 31, v132
	v_lshlrev_b32_e32 v2, 10, v2
	s_mov_b32 s14, 0
	ds_load_b128 v[144:147], v0
	v_lshrrev_b32_e32 v3, 27, v3
	s_delay_alu instid0(VALU_DEP_1) | instskip(SKIP_2) | instid1(VALU_DEP_1)
	v_add_nc_u32_e32 v5, v132, v3
	ds_load_b64 v[3:4], v0
	v_and_b32_e32 v5, 0xffffffe0, v5
	v_sub_nc_u32_e32 v5, v132, v5
	s_delay_alu instid0(VALU_DEP_1) | instskip(NEXT) | instid1(VALU_DEP_1)
	v_add3_u32 v64, v36, v5, v2
	v_ashrrev_i32_e32 v65, 31, v64
	s_waitcnt lgkmcnt(0)
	v_add_co_u32 v135, vcc_lo, 0x3e0, v3
	v_add_co_ci_u32_e32 v148, vcc_lo, 0, v4, vcc_lo
	v_add_co_u32 v2, vcc_lo, v144, v64
	v_add_co_ci_u32_e32 v3, vcc_lo, v145, v65, vcc_lo
	;; [unrolled: 2-line block ×4, first 2 shown]
.LBB16_737:                             ;   Parent Loop BB16_93 Depth=1
                                        ;     Parent Loop BB16_628 Depth=2
                                        ;       Parent Loop BB16_630 Depth=3
                                        ; =>      This Inner Loop Header: Depth=4
	s_delay_alu instid0(VALU_DEP_2) | instskip(NEXT) | instid1(VALU_DEP_2)
	v_add_co_u32 v144, vcc_lo, 0xfffffc20, v64
	v_add_co_ci_u32_e32 v145, vcc_lo, -1, v65, vcc_lo
	v_sub_nc_u32_e32 v133, v133, v82
	flat_load_u8 v135, v[144:145] slc dlc
	v_add_co_u32 v144, vcc_lo, 0xfffffc40, v64
	v_add_co_ci_u32_e32 v145, vcc_lo, -1, v65, vcc_lo
	flat_load_u8 v146, v[144:145] slc dlc
	v_add_co_u32 v144, vcc_lo, 0xfffffc60, v64
	v_add_co_ci_u32_e32 v145, vcc_lo, -1, v65, vcc_lo
	;; [unrolled: 3-line block ×30, first 2 shown]
	flat_load_u8 v144, v[144:145] slc dlc
	flat_load_u8 v145, v[64:65] slc dlc
	s_waitcnt vmcnt(31) lgkmcnt(31)
	flat_store_b8 v[2:3], v135 glc slc dlc
	s_waitcnt vmcnt(30) lgkmcnt(31)
	flat_store_b8 v[2:3], v146 offset:32 glc slc dlc
	s_waitcnt vmcnt(29) lgkmcnt(31)
	flat_store_b8 v[2:3], v147 offset:64 glc slc dlc
	;; [unrolled: 2-line block ×31, first 2 shown]
	s_clause 0x1f
	flat_store_b8 v[4:5], v135 glc slc dlc
	flat_store_b8 v[4:5], v146 offset:32 glc slc dlc
	flat_store_b8 v[4:5], v147 offset:64 glc slc dlc
	;; [unrolled: 1-line block ×31, first 2 shown]
	v_add_co_u32 v2, vcc_lo, v2, v102
	v_add_co_ci_u32_e32 v3, vcc_lo, v3, v103, vcc_lo
	v_add_co_u32 v4, vcc_lo, v4, v102
	v_add_co_ci_u32_e32 v5, vcc_lo, v5, v103, vcc_lo
	v_add_co_u32 v64, vcc_lo, v64, v102
	v_add_co_ci_u32_e32 v65, vcc_lo, v65, v103, vcc_lo
	v_cmp_gt_i32_e32 vcc_lo, 1, v133
	s_or_b32 s14, vcc_lo, s14
	s_delay_alu instid0(SALU_CYCLE_1)
	s_and_not1_b32 exec_lo, exec_lo, s14
	s_cbranch_execnz .LBB16_737
; %bb.738:                              ;   in Loop: Header=BB16_630 Depth=3
	s_or_b32 exec_lo, exec_lo, s14
.LBB16_739:                             ;   in Loop: Header=BB16_630 Depth=3
	s_delay_alu instid0(SALU_CYCLE_1) | instskip(SKIP_2) | instid1(VALU_DEP_1)
	s_or_b32 exec_lo, exec_lo, s13
	v_lshlrev_b32_e32 v2, 10, v134
	s_mov_b32 s30, exec_lo
	v_cmpx_ne_u32_e64 v131, v2
	s_cbranch_execz .LBB16_746
; %bb.740:                              ;   in Loop: Header=BB16_630 Depth=3
	v_ashrrev_i32_e32 v3, 31, v132
	v_lshlrev_b32_e32 v4, 5, v133
	s_delay_alu instid0(VALU_DEP_2) | instskip(NEXT) | instid1(VALU_DEP_1)
	v_lshrrev_b32_e32 v3, 27, v3
	v_add_nc_u32_e32 v3, v132, v3
	s_delay_alu instid0(VALU_DEP_1) | instskip(NEXT) | instid1(VALU_DEP_1)
	v_and_b32_e32 v3, 0xffffffe0, v3
	v_sub_nc_u32_e32 v3, v132, v3
	s_delay_alu instid0(VALU_DEP_1) | instskip(NEXT) | instid1(VALU_DEP_1)
	v_sub_nc_u32_e32 v3, v3, v4
	v_add_nc_u32_e32 v2, v2, v3
	s_delay_alu instid0(VALU_DEP_1) | instskip(NEXT) | instid1(VALU_DEP_1)
	v_sub_nc_u32_e32 v4, v131, v2
	v_cmp_lt_i32_e32 vcc_lo, 0, v4
	s_and_b32 exec_lo, exec_lo, vcc_lo
	s_cbranch_execz .LBB16_746
; %bb.741:                              ;   in Loop: Header=BB16_630 Depth=3
	s_cbranch_execnz .LBB16_1554
; %bb.742:                              ;   in Loop: Header=BB16_630 Depth=3
	ds_load_b64 v[64:65], v0
	ds_load_b128 v[131:134], v0
	v_add_nc_u32_e32 v135, v2, v36
	s_mov_b32 s31, 0
	s_delay_alu instid0(VALU_DEP_1) | instskip(SKIP_2) | instid1(VALU_DEP_2)
	v_ashrrev_i32_e32 v144, 31, v135
	s_waitcnt lgkmcnt(1)
	v_add_co_u32 v2, vcc_lo, v64, v135
	v_add_co_ci_u32_e32 v3, vcc_lo, v65, v144, vcc_lo
	s_waitcnt lgkmcnt(0)
	v_add_co_u32 v5, vcc_lo, v131, v135
	v_add_co_ci_u32_e32 v36, vcc_lo, v132, v144, vcc_lo
	v_add_co_u32 v64, vcc_lo, v133, v135
	v_add_co_ci_u32_e32 v65, vcc_lo, v134, v144, vcc_lo
	s_set_inst_prefetch_distance 0x1
.LBB16_743:                             ;   Parent Loop BB16_93 Depth=1
                                        ;     Parent Loop BB16_628 Depth=2
                                        ;       Parent Loop BB16_630 Depth=3
                                        ; =>      This Loop Header: Depth=4
                                        ;           Child Loop BB16_744 Depth 5
	flat_load_u8 v131, v[2:3] slc dlc
	s_mov_b64 s[16:17], 0
	s_mov_b32 s34, -1
.LBB16_744:                             ;   Parent Loop BB16_93 Depth=1
                                        ;     Parent Loop BB16_628 Depth=2
                                        ;       Parent Loop BB16_630 Depth=3
                                        ;         Parent Loop BB16_743 Depth=4
                                        ; =>        This Inner Loop Header: Depth=5
	s_cmp_eq_u32 s16, 1
	s_cselect_b32 vcc_lo, -1, 0
	s_cmp_eq_u32 s16, 0
	v_dual_cndmask_b32 v133, v36, v65 :: v_dual_cndmask_b32 v132, v5, v64
	s_mov_b64 s[16:17], 1
	s_delay_alu instid0(VALU_DEP_1) | instskip(NEXT) | instid1(VALU_DEP_1)
	v_add_co_u32 v134, s13, v132, 32
	v_add_co_ci_u32_e64 v135, s13, 0, v133, s13
	s_cselect_b32 s13, -1, 0
	s_and_b32 s14, exec_lo, s34
	s_delay_alu instid0(VALU_DEP_1)
	v_dual_cndmask_b32 v64, v64, v134 :: v_dual_cndmask_b32 v65, v65, v135
	v_cndmask_b32_e64 v36, v36, v135, s13
	v_cndmask_b32_e64 v5, v5, v134, s13
	s_mov_b32 s34, 0
	s_mov_b32 vcc_lo, s14
	s_waitcnt vmcnt(0) lgkmcnt(0)
	flat_store_b8 v[132:133], v131 glc slc dlc
	s_cbranch_vccnz .LBB16_744
; %bb.745:                              ;   in Loop: Header=BB16_743 Depth=4
	v_add_co_u32 v5, vcc_lo, v5, v101
	v_sub_nc_u32_e32 v4, v4, v98
	v_add_co_ci_u32_e32 v36, vcc_lo, v36, v112, vcc_lo
	v_add_co_u32 v64, vcc_lo, v64, v101
	v_add_co_ci_u32_e32 v65, vcc_lo, v65, v112, vcc_lo
	s_delay_alu instid0(VALU_DEP_4) | instskip(SKIP_1) | instid1(VALU_DEP_1)
	v_cmp_gt_i32_e32 vcc_lo, 1, v4
	v_add_co_u32 v2, s13, v114, v2
	v_add_co_ci_u32_e64 v3, s13, v115, v3, s13
	s_or_b32 s31, vcc_lo, s31
	s_delay_alu instid0(SALU_CYCLE_1)
	s_and_not1_b32 exec_lo, exec_lo, s31
	s_cbranch_execnz .LBB16_743
.LBB16_746:                             ;   in Loop: Header=BB16_630 Depth=3
	s_set_inst_prefetch_distance 0x2
	s_or_b32 exec_lo, exec_lo, s30
.LBB16_747:                             ;   in Loop: Header=BB16_630 Depth=3
	s_delay_alu instid0(SALU_CYCLE_1)
	s_or_b32 exec_lo, exec_lo, s15
	s_mov_b32 s13, 0
	s_branch .LBB16_749
.LBB16_748:                             ;   in Loop: Header=BB16_630 Depth=3
	s_mov_b32 s13, -1
.LBB16_749:                             ;   in Loop: Header=BB16_630 Depth=3
	s_delay_alu instid0(SALU_CYCLE_1)
	s_and_b32 vcc_lo, exec_lo, s13
	s_cbranch_vccz .LBB16_783
; %bb.750:                              ;   in Loop: Header=BB16_630 Depth=3
	s_mov_b32 s13, -1
	s_and_saveexec_b32 s14, s11
	s_cbranch_execz .LBB16_752
; %bb.751:                              ;   in Loop: Header=BB16_630 Depth=3
	ds_load_b32 v2, v0 offset:720
	s_waitcnt lgkmcnt(0)
	v_and_b32_e32 v2, 15, v2
	s_delay_alu instid0(VALU_DEP_1)
	v_cmp_eq_u32_e32 vcc_lo, 0, v2
	s_or_not1_b32 s13, vcc_lo, exec_lo
.LBB16_752:                             ;   in Loop: Header=BB16_630 Depth=3
	s_or_b32 exec_lo, exec_lo, s14
	s_and_saveexec_b32 s14, s4
	s_cbranch_execz .LBB16_754
; %bb.753:                              ;   in Loop: Header=BB16_630 Depth=3
	ds_load_b32 v2, v0 offset:784
	s_waitcnt lgkmcnt(0)
	v_and_b32_e32 v2, 15, v2
	s_delay_alu instid0(VALU_DEP_1) | instskip(SKIP_3) | instid1(SALU_CYCLE_1)
	v_cmp_eq_u32_e32 vcc_lo, 0, v2
	s_and_b32 s15, s13, vcc_lo
	s_and_not1_b32 s13, s13, exec_lo
	s_and_b32 s15, s15, exec_lo
	s_or_b32 s13, s13, s15
.LBB16_754:                             ;   in Loop: Header=BB16_630 Depth=3
	s_or_b32 exec_lo, exec_lo, s14
	s_xor_b32 s13, s13, -1
	v_dual_mov_b32 v36, 0 :: v_dual_mov_b32 v65, v0
	v_cndmask_b32_e64 v2, 0, 1, s13
	;;#ASMSTART
	;;#ASMEND
	s_delay_alu instid0(VALU_DEP_1)
	v_cmp_ne_u32_e32 vcc_lo, 0, v2
	v_dual_mov_b32 v64, v53 :: v_dual_mov_b32 v133, v71
	s_mov_b32 s13, -1
	s_cbranch_vccnz .LBB16_770
; %bb.755:                              ;   in Loop: Header=BB16_630 Depth=3
	v_ashrrev_i32_e32 v2, 31, v53
	s_mov_b32 s13, exec_lo
	s_delay_alu instid0(VALU_DEP_1) | instskip(NEXT) | instid1(VALU_DEP_1)
	v_lshrrev_b32_e32 v2, 20, v2
	v_add_nc_u32_e32 v2, v53, v2
	s_delay_alu instid0(VALU_DEP_1) | instskip(NEXT) | instid1(VALU_DEP_1)
	v_ashrrev_i32_e32 v36, 12, v2
	v_sub_nc_u32_e32 v131, v36, v71
	s_delay_alu instid0(VALU_DEP_1)
	v_cmpx_lt_i32_e32 0, v131
	s_cbranch_execz .LBB16_760
; %bb.756:                              ;   in Loop: Header=BB16_630 Depth=3
	s_cbranch_execnz .LBB16_1540
; %bb.757:                              ;   in Loop: Header=BB16_630 Depth=3
	ds_load_b64 v[2:3], v0
	s_mov_b32 s14, 0
	s_waitcnt lgkmcnt(0)
	v_dual_mov_b32 v5, v3 :: v_dual_mov_b32 v4, v2
.LBB16_758:                             ;   Parent Loop BB16_93 Depth=1
                                        ;     Parent Loop BB16_628 Depth=2
                                        ;       Parent Loop BB16_630 Depth=3
                                        ; =>      This Inner Loop Header: Depth=4
	s_delay_alu instid0(VALU_DEP_1) | instskip(NEXT) | instid1(VALU_DEP_2)
	v_add_co_u32 v64, vcc_lo, v113, v4
	v_add_co_ci_u32_e32 v65, vcc_lo, v116, v5, vcc_lo
	v_sub_nc_u32_e32 v131, v131, v82
	s_clause 0x7
	global_load_b128 v[132:135], v[64:65], off slc dlc
	global_load_b128 v[144:147], v[64:65], off offset:512 slc dlc
	global_load_b128 v[148:151], v[64:65], off offset:1024 slc dlc
	;; [unrolled: 1-line block ×7, first 2 shown]
	v_add_co_u32 v64, vcc_lo, v113, v2
	v_add_co_ci_u32_e32 v65, vcc_lo, v116, v3, vcc_lo
	v_add_co_u32 v4, vcc_lo, v4, v117
	v_add_co_ci_u32_e32 v5, vcc_lo, v5, v118, vcc_lo
	;; [unrolled: 2-line block ×3, first 2 shown]
	v_cmp_gt_i32_e32 vcc_lo, 1, v131
	s_waitcnt vmcnt(7)
	global_store_b128 v[64:65], v[132:135], off glc slc dlc
	s_waitcnt vmcnt(6)
	global_store_b128 v[64:65], v[144:147], off offset:512 glc slc dlc
	s_waitcnt vmcnt(5)
	global_store_b128 v[64:65], v[148:151], off offset:1024 glc slc dlc
	;; [unrolled: 2-line block ×7, first 2 shown]
	s_or_b32 s14, vcc_lo, s14
	s_delay_alu instid0(SALU_CYCLE_1)
	s_and_not1_b32 exec_lo, exec_lo, s14
	s_cbranch_execnz .LBB16_758
; %bb.759:                              ;   in Loop: Header=BB16_630 Depth=3
	s_or_b32 exec_lo, exec_lo, s14
.LBB16_760:                             ;   in Loop: Header=BB16_630 Depth=3
	s_delay_alu instid0(SALU_CYCLE_1) | instskip(SKIP_4) | instid1(VALU_DEP_2)
	s_or_b32 exec_lo, exec_lo, s13
	v_lshlrev_b32_e32 v4, 12, v36
	v_mov_b32_e32 v36, 0
	s_mov_b32 s13, 0
	s_mov_b32 s15, exec_lo
                                        ; implicit-def: $vgpr64
                                        ; implicit-def: $vgpr65
                                        ; implicit-def: $vgpr133
	v_cmpx_ne_u32_e64 v53, v4
	s_cbranch_execz .LBB16_769
; %bb.761:                              ;   in Loop: Header=BB16_630 Depth=3
	v_lshlrev_b32_e32 v2, 5, v131
	v_sub_nc_u32_e32 v36, v53, v4
	s_mov_b32 s16, exec_lo
	s_delay_alu instid0(VALU_DEP_2) | instskip(NEXT) | instid1(VALU_DEP_2)
	v_sub_nc_u32_e32 v2, v81, v2
	v_ashrrev_i32_e32 v5, 31, v36
	s_delay_alu instid0(VALU_DEP_2) | instskip(NEXT) | instid1(VALU_DEP_2)
	v_ashrrev_i32_e32 v3, 31, v2
	v_lshrrev_b32_e32 v5, 23, v5
	s_delay_alu instid0(VALU_DEP_2) | instskip(NEXT) | instid1(VALU_DEP_2)
	v_lshrrev_b32_e32 v3, 27, v3
	v_add_nc_u32_e32 v65, v36, v5
	s_delay_alu instid0(VALU_DEP_2) | instskip(NEXT) | instid1(VALU_DEP_2)
	v_add_nc_u32_e32 v3, v2, v3
	v_and_b32_e32 v5, 0xfffffe00, v65
	v_ashrrev_i32_e32 v65, 9, v65
	s_delay_alu instid0(VALU_DEP_3) | instskip(NEXT) | instid1(VALU_DEP_3)
	v_and_b32_e32 v64, 0xffffffe0, v3
	v_sub_nc_u32_e32 v132, v36, v5
	s_delay_alu instid0(VALU_DEP_2) | instskip(SKIP_1) | instid1(VALU_DEP_3)
	v_sub_nc_u32_e32 v131, v2, v64
	v_ashrrev_i32_e32 v2, 5, v3
	v_cmp_lt_i32_e32 vcc_lo, 15, v132
	s_delay_alu instid0(VALU_DEP_3) | instskip(NEXT) | instid1(VALU_DEP_1)
	v_lshlrev_b32_e32 v3, 4, v131
	v_lshl_add_u32 v64, v2, 9, v3
	v_add_co_ci_u32_e64 v3, s13, 0, v65, vcc_lo
	s_delay_alu instid0(VALU_DEP_2) | instskip(NEXT) | instid1(VALU_DEP_2)
	v_sub_nc_u32_e32 v36, v36, v64
	v_sub_nc_u32_e32 v134, v3, v2
	s_delay_alu instid0(VALU_DEP_2)
	v_cmpx_lt_i32_e32 15, v36
	s_cbranch_execz .LBB16_766
; %bb.762:                              ;   in Loop: Header=BB16_630 Depth=3
	s_cbranch_execnz .LBB16_1566
; %bb.763:                              ;   in Loop: Header=BB16_630 Depth=3
	ds_load_b64 v[2:3], v0
	v_add_nc_u32_e32 v64, v64, v4
	s_mov_b32 s17, 0
	s_delay_alu instid0(VALU_DEP_1)
	v_ashrrev_i32_e32 v65, 31, v64
.LBB16_764:                             ;   Parent Loop BB16_93 Depth=1
                                        ;     Parent Loop BB16_628 Depth=2
                                        ;       Parent Loop BB16_630 Depth=3
                                        ; =>      This Inner Loop Header: Depth=4
	s_waitcnt lgkmcnt(0)
	v_add_co_u32 v148, s13, v2, v64
	s_delay_alu instid0(VALU_DEP_1)
	v_add_co_ci_u32_e64 v149, s13, v3, v65, s13
	v_sub_nc_u32_e32 v36, v36, v84
	v_add_co_u32 v64, s14, v64, v99
	global_load_b128 v[144:147], v[148:149], off slc dlc
	v_sub_nc_u32_e32 v134, v134, v82
	v_cmp_gt_i32_e64 s13, 16, v36
	v_add_co_ci_u32_e64 v65, s14, v65, v100, s14
	s_delay_alu instid0(VALU_DEP_2)
	s_or_b32 s17, s13, s17
	s_waitcnt vmcnt(0)
	global_store_b128 v[148:149], v[144:147], off glc slc dlc
	s_and_not1_b32 exec_lo, exec_lo, s17
	s_cbranch_execnz .LBB16_764
; %bb.765:                              ;   in Loop: Header=BB16_630 Depth=3
	s_or_b32 exec_lo, exec_lo, s17
.LBB16_766:                             ;   in Loop: Header=BB16_630 Depth=3
	s_delay_alu instid0(SALU_CYCLE_1) | instskip(SKIP_4) | instid1(VALU_DEP_2)
	s_or_b32 exec_lo, exec_lo, s16
	v_and_b32_e32 v2, 15, v53
	v_mov_b32_e32 v36, 0
	s_mov_b32 s14, 0
	s_mov_b32 s16, exec_lo
                                        ; implicit-def: $vgpr65
                                        ; implicit-def: $vgpr133
	v_cndmask_b32_e32 v64, v132, v2, vcc_lo
	s_delay_alu instid0(VALU_DEP_1)
	v_cmpx_ne_u32_e32 0, v64
; %bb.767:                              ;   in Loop: Header=BB16_630 Depth=3
	v_cmp_lt_i32_e64 s13, 0, v134
	v_sub_nc_u32_e32 v2, v132, v2
	s_mov_b32 s14, exec_lo
	s_delay_alu instid0(VALU_DEP_2) | instskip(NEXT) | instid1(VALU_DEP_1)
	v_cndmask_b32_e64 v3, 0, v82, s13
	v_sub_nc_u32_e32 v3, v3, v134
	s_delay_alu instid0(VALU_DEP_1) | instskip(NEXT) | instid1(VALU_DEP_1)
	v_lshl_add_u32 v65, v3, 5, v131
	v_ashrrev_i32_e32 v3, 31, v65
	s_delay_alu instid0(VALU_DEP_1) | instskip(NEXT) | instid1(VALU_DEP_1)
	v_lshrrev_b32_e32 v3, 27, v3
	v_dual_cndmask_b32 v2, 0, v2 :: v_dual_add_nc_u32 v3, v65, v3
	s_delay_alu instid0(VALU_DEP_1) | instskip(NEXT) | instid1(VALU_DEP_2)
	v_add3_u32 v36, v5, v4, v2
	v_ashrrev_i32_e32 v133, 5, v3
; %bb.768:                              ;   in Loop: Header=BB16_630 Depth=3
	s_or_b32 exec_lo, exec_lo, s16
	s_delay_alu instid0(SALU_CYCLE_1)
	s_and_b32 s13, s14, exec_lo
.LBB16_769:                             ;   in Loop: Header=BB16_630 Depth=3
	s_or_b32 exec_lo, exec_lo, s15
.LBB16_770:                             ;   in Loop: Header=BB16_630 Depth=3
	s_and_saveexec_b32 s14, s13
	s_cbranch_execz .LBB16_782
; %bb.771:                              ;   in Loop: Header=BB16_630 Depth=3
	v_ashrrev_i32_e32 v2, 31, v64
	s_mov_b32 s13, exec_lo
	s_delay_alu instid0(VALU_DEP_1) | instskip(NEXT) | instid1(VALU_DEP_1)
	v_lshrrev_b32_e32 v2, 22, v2
	v_add_nc_u32_e32 v2, v64, v2
	s_delay_alu instid0(VALU_DEP_1) | instskip(NEXT) | instid1(VALU_DEP_1)
	v_ashrrev_i32_e32 v132, 10, v2
	v_sub_nc_u32_e32 v131, v132, v133
	s_delay_alu instid0(VALU_DEP_1)
	v_cmpx_lt_i32_e32 0, v131
	s_cbranch_execz .LBB16_776
; %bb.772:                              ;   in Loop: Header=BB16_630 Depth=3
	s_cbranch_execnz .LBB16_1530
; %bb.773:                              ;   in Loop: Header=BB16_630 Depth=3
	v_ashrrev_i32_e32 v2, 31, v65
	s_mov_b32 s15, 0
	s_delay_alu instid0(VALU_DEP_1) | instskip(NEXT) | instid1(VALU_DEP_1)
	v_lshrrev_b32_e32 v2, 27, v2
	v_add_nc_u32_e32 v4, v65, v2
	ds_load_b64 v[2:3], v0
	v_lshlrev_b32_e32 v5, 10, v133
	v_and_b32_e32 v4, 0xffffffe0, v4
	s_delay_alu instid0(VALU_DEP_1) | instskip(NEXT) | instid1(VALU_DEP_1)
	v_sub_nc_u32_e32 v4, v65, v4
	v_add3_u32 v133, v36, v4, v5
	s_delay_alu instid0(VALU_DEP_1)
	v_ashrrev_i32_e32 v134, 31, v133
	s_waitcnt lgkmcnt(0)
	v_dual_mov_b32 v5, v3 :: v_dual_mov_b32 v4, v2
.LBB16_774:                             ;   Parent Loop BB16_93 Depth=1
                                        ;     Parent Loop BB16_628 Depth=2
                                        ;       Parent Loop BB16_630 Depth=3
                                        ; =>      This Inner Loop Header: Depth=4
	s_delay_alu instid0(VALU_DEP_1) | instskip(NEXT) | instid1(VALU_DEP_2)
	v_add_co_u32 v144, vcc_lo, v133, v4
	v_add_co_ci_u32_e32 v145, vcc_lo, v134, v5, vcc_lo
	v_sub_nc_u32_e32 v131, v131, v82
	s_clause 0x1f
	flat_load_u8 v135, v[144:145] slc dlc
	flat_load_u8 v146, v[144:145] offset:32 slc dlc
	flat_load_u8 v147, v[144:145] offset:64 slc dlc
	;; [unrolled: 1-line block ×31, first 2 shown]
	v_add_co_u32 v144, vcc_lo, v133, v2
	v_add_co_ci_u32_e32 v145, vcc_lo, v134, v3, vcc_lo
	v_add_co_u32 v4, vcc_lo, v4, v102
	v_add_co_ci_u32_e32 v5, vcc_lo, v5, v103, vcc_lo
	;; [unrolled: 2-line block ×3, first 2 shown]
	v_cmp_gt_i32_e32 vcc_lo, 1, v131
	s_waitcnt vmcnt(31) lgkmcnt(31)
	flat_store_b8 v[144:145], v135 glc slc dlc
	s_waitcnt vmcnt(30) lgkmcnt(31)
	flat_store_b8 v[144:145], v146 offset:32 glc slc dlc
	s_waitcnt vmcnt(29) lgkmcnt(31)
	flat_store_b8 v[144:145], v147 offset:64 glc slc dlc
	;; [unrolled: 2-line block ×31, first 2 shown]
	s_or_b32 s15, vcc_lo, s15
	s_delay_alu instid0(SALU_CYCLE_1)
	s_and_not1_b32 exec_lo, exec_lo, s15
	s_cbranch_execnz .LBB16_774
; %bb.775:                              ;   in Loop: Header=BB16_630 Depth=3
	s_or_b32 exec_lo, exec_lo, s15
.LBB16_776:                             ;   in Loop: Header=BB16_630 Depth=3
	s_delay_alu instid0(SALU_CYCLE_1) | instskip(SKIP_2) | instid1(VALU_DEP_1)
	s_or_b32 exec_lo, exec_lo, s13
	v_lshlrev_b32_e32 v2, 10, v132
	s_mov_b32 s15, exec_lo
	v_cmpx_ne_u32_e64 v64, v2
	s_cbranch_execz .LBB16_781
; %bb.777:                              ;   in Loop: Header=BB16_630 Depth=3
	v_ashrrev_i32_e32 v3, 31, v65
	v_lshlrev_b32_e32 v4, 5, v131
	s_delay_alu instid0(VALU_DEP_2) | instskip(NEXT) | instid1(VALU_DEP_1)
	v_lshrrev_b32_e32 v3, 27, v3
	v_add_nc_u32_e32 v3, v65, v3
	s_delay_alu instid0(VALU_DEP_1) | instskip(NEXT) | instid1(VALU_DEP_1)
	v_and_b32_e32 v3, 0xffffffe0, v3
	v_sub_nc_u32_e32 v3, v65, v3
	s_delay_alu instid0(VALU_DEP_1) | instskip(NEXT) | instid1(VALU_DEP_1)
	v_sub_nc_u32_e32 v3, v3, v4
	v_add_nc_u32_e32 v5, v2, v3
	s_delay_alu instid0(VALU_DEP_1) | instskip(NEXT) | instid1(VALU_DEP_1)
	v_sub_nc_u32_e32 v4, v64, v5
	v_cmp_lt_i32_e32 vcc_lo, 0, v4
	s_and_b32 exec_lo, exec_lo, vcc_lo
	s_cbranch_execz .LBB16_781
; %bb.778:                              ;   in Loop: Header=BB16_630 Depth=3
	s_cbranch_execnz .LBB16_1562
; %bb.779:                              ;   in Loop: Header=BB16_630 Depth=3
	ds_load_b64 v[2:3], v0
	v_add_nc_u32_e32 v5, v5, v36
	s_mov_b32 s16, 0
	s_delay_alu instid0(VALU_DEP_1)
	v_ashrrev_i32_e32 v36, 31, v5
.LBB16_780:                             ;   Parent Loop BB16_93 Depth=1
                                        ;     Parent Loop BB16_628 Depth=2
                                        ;       Parent Loop BB16_630 Depth=3
                                        ; =>      This Inner Loop Header: Depth=4
	s_waitcnt lgkmcnt(0)
	v_add_co_u32 v64, vcc_lo, v2, v5
	s_delay_alu instid0(VALU_DEP_2)
	v_add_co_ci_u32_e32 v65, vcc_lo, v3, v36, vcc_lo
	v_sub_nc_u32_e32 v4, v4, v98
	v_add_co_u32 v5, s13, v5, v114
	flat_load_u8 v131, v[64:65] slc dlc
	v_add_co_ci_u32_e64 v36, s13, v36, v115, s13
	v_cmp_gt_i32_e32 vcc_lo, 1, v4
	s_or_b32 s16, vcc_lo, s16
	s_waitcnt vmcnt(0) lgkmcnt(0)
	flat_store_b8 v[64:65], v131 glc slc dlc
	s_and_not1_b32 exec_lo, exec_lo, s16
	s_cbranch_execnz .LBB16_780
.LBB16_781:                             ;   in Loop: Header=BB16_630 Depth=3
	s_or_b32 exec_lo, exec_lo, s15
.LBB16_782:                             ;   in Loop: Header=BB16_630 Depth=3
	s_delay_alu instid0(SALU_CYCLE_1)
	s_or_b32 exec_lo, exec_lo, s14
.LBB16_783:                             ;   in Loop: Header=BB16_630 Depth=3
	s_and_saveexec_b32 s13, s2
	s_cbranch_execz .LBB16_805
; %bb.784:                              ;   in Loop: Header=BB16_630 Depth=3
	s_and_saveexec_b32 s14, s3
	s_delay_alu instid0(SALU_CYCLE_1)
	s_xor_b32 s14, exec_lo, s14
	s_cbranch_execz .LBB16_802
; %bb.785:                              ;   in Loop: Header=BB16_630 Depth=3
	s_and_saveexec_b32 s15, s1
	s_cbranch_execz .LBB16_801
; %bb.786:                              ;   in Loop: Header=BB16_630 Depth=3
	s_mov_b32 s17, exec_lo
	s_mov_b32 s16, exec_lo
	v_mbcnt_lo_u32_b32 v2, s17, 0
	s_waitcnt lgkmcnt(0)
	s_waitcnt_vscnt null, 0x0
	buffer_gl1_inv
	buffer_gl0_inv
	v_cmpx_eq_u32_e32 0, v2
	s_cbranch_execz .LBB16_788
; %bb.787:                              ;   in Loop: Header=BB16_630 Depth=3
	s_bcnt1_i32_b32 s17, s17
	s_delay_alu instid0(SALU_CYCLE_1)
	v_mov_b32_e32 v36, s17
	ds_add_u64 v0, v[36:37]
	s_cbranch_execnz .LBB16_1502
.LBB16_788:                             ;   in Loop: Header=BB16_630 Depth=3
	s_or_b32 exec_lo, exec_lo, s16
	s_cbranch_execnz .LBB16_1476
; %bb.789:                              ;   in Loop: Header=BB16_630 Depth=3
	ds_load_b64 v[2:3], v0
	v_add_co_u32 v28, vcc_lo, v28, v82
	v_add_co_ci_u32_e32 v29, vcc_lo, 0, v29, vcc_lo
	s_mov_b32 s16, exec_lo
	s_waitcnt lgkmcnt(0)
	s_delay_alu instid0(VALU_DEP_1)
	v_cmpx_lt_u64_e64 v[2:3], v[28:29]
	s_cbranch_execz .LBB16_800
; %bb.790:                              ;   in Loop: Header=BB16_630 Depth=3
	s_mov_b32 s17, 0
	s_mov_b32 s34, 0
                                        ; implicit-def: $sgpr30
                                        ; implicit-def: $sgpr31
	s_branch .LBB16_792
.LBB16_791:                             ;   in Loop: Header=BB16_792 Depth=4
	s_or_b32 exec_lo, exec_lo, s36
	s_delay_alu instid0(SALU_CYCLE_1) | instskip(NEXT) | instid1(SALU_CYCLE_1)
	s_and_b32 vcc_lo, exec_lo, vcc_lo
	s_or_b32 s17, vcc_lo, s17
	s_and_not1_b32 vcc_lo, s30, exec_lo
	s_and_b32 s30, s31, exec_lo
	s_delay_alu instid0(SALU_CYCLE_1)
	s_or_b32 s30, vcc_lo, s30
	s_and_not1_b32 exec_lo, exec_lo, s17
	s_cbranch_execz .LBB16_798
.LBB16_792:                             ;   Parent Loop BB16_93 Depth=1
                                        ;     Parent Loop BB16_628 Depth=2
                                        ;       Parent Loop BB16_630 Depth=3
                                        ; =>      This Inner Loop Header: Depth=4
	s_add_i32 s34, s34, 1
                                        ; implicit-def: $sgpr36
	s_delay_alu instid0(SALU_CYCLE_1) | instskip(SKIP_1) | instid1(SALU_CYCLE_1)
	s_cmpk_lg_i32 s34, 0x2710
	s_cselect_b32 s35, -1, 0
	s_and_b32 vcc_lo, exec_lo, s35
	s_cbranch_vccz .LBB16_796
.LBB16_793:                             ;   in Loop: Header=BB16_792 Depth=4
	s_and_not1_b32 s31, s31, exec_lo
	s_and_b32 s36, s36, exec_lo
	s_mov_b32 vcc_lo, -1
	s_or_b32 s31, s31, s36
	s_and_saveexec_b32 s36, s35
	s_cbranch_execz .LBB16_791
; %bb.794:                              ;   in Loop: Header=BB16_792 Depth=4
	s_sleep 1
	s_cbranch_execnz .LBB16_1546
; %bb.795:                              ;   in Loop: Header=BB16_792 Depth=4
	ds_load_b64 v[2:3], v0
	s_and_not1_b32 s31, s31, exec_lo
	s_waitcnt lgkmcnt(0)
	v_cmp_ge_u64_e32 vcc_lo, v[2:3], v[28:29]
	s_or_not1_b32 vcc_lo, vcc_lo, exec_lo
	s_branch .LBB16_791
.LBB16_796:                             ;   in Loop: Header=BB16_792 Depth=4
	s_cbranch_execnz .LBB16_1552
; %bb.797:                              ;   in Loop: Header=BB16_792 Depth=4
	ds_load_b64 v[2:3], v0
	s_and_not1_b32 s35, s35, exec_lo
	s_mov_b32 s34, 0
	s_mov_b32 s36, -1
	s_waitcnt lgkmcnt(0)
	flat_load_b32 v2, v[2:3] glc
	s_waitcnt vmcnt(0) lgkmcnt(0)
	buffer_gl1_inv
	buffer_gl0_inv
	v_cmp_eq_u32_e32 vcc_lo, 0, v2
	s_and_b32 vcc_lo, vcc_lo, exec_lo
	s_delay_alu instid0(SALU_CYCLE_1)
	s_or_b32 s35, s35, vcc_lo
	s_branch .LBB16_793
.LBB16_798:                             ;   in Loop: Header=BB16_630 Depth=3
	s_or_b32 exec_lo, exec_lo, s17
	s_and_saveexec_b32 s17, s30
	s_delay_alu instid0(SALU_CYCLE_1)
	s_xor_b32 s17, exec_lo, s17
	s_cbranch_execz .LBB16_800
; %bb.799:                              ;   in Loop: Header=BB16_630 Depth=3
	ds_store_b32 v0, v119
	s_cbranch_execnz .LBB16_1608
.LBB16_800:                             ;   in Loop: Header=BB16_630 Depth=3
	s_or_b32 exec_lo, exec_lo, s16
	;;#ASMSTART
	s_wakeup
	;;#ASMEND
.LBB16_801:                             ;   in Loop: Header=BB16_630 Depth=3
	s_or_b32 exec_lo, exec_lo, s15
.LBB16_802:                             ;   in Loop: Header=BB16_630 Depth=3
	s_and_not1_saveexec_b32 s14, s14
	s_cbranch_execz .LBB16_804
; %bb.803:                              ;   in Loop: Header=BB16_630 Depth=3
	s_waitcnt lgkmcnt(0)
	s_waitcnt_vscnt null, 0x0
	buffer_gl1_inv
	buffer_gl0_inv
	s_barrier
.LBB16_804:                             ;   in Loop: Header=BB16_630 Depth=3
	s_or_b32 exec_lo, exec_lo, s14
.LBB16_805:                             ;   in Loop: Header=BB16_630 Depth=3
	s_delay_alu instid0(SALU_CYCLE_1) | instskip(SKIP_1) | instid1(SALU_CYCLE_1)
	s_or_b32 exec_lo, exec_lo, s13
                                        ; implicit-def: $vgpr2
	s_and_saveexec_b32 s13, s6
	s_xor_b32 s14, exec_lo, s13
	s_cbranch_execz .LBB16_809
; %bb.806:                              ;   in Loop: Header=BB16_630 Depth=3
	v_and_b32_e32 v2, 16, v30
	v_cmp_lt_i32_e32 vcc_lo, 0, v53
	s_delay_alu instid0(VALU_DEP_2) | instskip(SKIP_1) | instid1(VALU_DEP_2)
	v_cmp_ne_u32_e64 s13, 0, v2
	v_and_b32_e32 v2, 16, v30
	s_and_b32 s15, s13, vcc_lo
	s_delay_alu instid0(SALU_CYCLE_1)
	s_and_saveexec_b32 s13, s15
	s_cbranch_execz .LBB16_808
; %bb.807:                              ;   in Loop: Header=BB16_630 Depth=3
	v_mov_b32_e32 v2, 1
	s_waitcnt lgkmcnt(0)
	s_waitcnt_vscnt null, 0x0
	buffer_gl1_inv
	buffer_gl0_inv
.LBB16_808:                             ;   in Loop: Header=BB16_630 Depth=3
	s_or_b32 exec_lo, exec_lo, s13
.LBB16_809:                             ;   in Loop: Header=BB16_630 Depth=3
	s_and_not1_saveexec_b32 s13, s14
	s_cbranch_execz .LBB16_831
; %bb.810:                              ;   in Loop: Header=BB16_630 Depth=3
	s_and_saveexec_b32 s14, s3
	s_delay_alu instid0(SALU_CYCLE_1)
	s_xor_b32 s14, exec_lo, s14
	s_cbranch_execz .LBB16_828
; %bb.811:                              ;   in Loop: Header=BB16_630 Depth=3
	s_and_saveexec_b32 s15, s1
	s_cbranch_execz .LBB16_827
; %bb.812:                              ;   in Loop: Header=BB16_630 Depth=3
	s_mov_b32 s17, exec_lo
	s_mov_b32 s16, exec_lo
	v_mbcnt_lo_u32_b32 v2, s17, 0
	;;#ASMSTART
	s_waitcnt lgkmcnt(0) vmcnt(0)
	;;#ASMEND
	s_delay_alu instid0(VALU_DEP_1)
	v_cmpx_eq_u32_e32 0, v2
	s_cbranch_execz .LBB16_814
; %bb.813:                              ;   in Loop: Header=BB16_630 Depth=3
	s_bcnt1_i32_b32 s17, s17
	s_delay_alu instid0(SALU_CYCLE_1)
	v_mov_b32_e32 v36, s17
	ds_add_u64 v0, v[36:37]
	s_cbranch_execnz .LBB16_1506
.LBB16_814:                             ;   in Loop: Header=BB16_630 Depth=3
	s_or_b32 exec_lo, exec_lo, s16
	s_cbranch_execnz .LBB16_1484
; %bb.815:                              ;   in Loop: Header=BB16_630 Depth=3
	ds_load_b64 v[2:3], v0
	v_add_co_u32 v28, vcc_lo, v28, v82
	v_add_co_ci_u32_e32 v29, vcc_lo, 0, v29, vcc_lo
	s_mov_b32 s16, exec_lo
	s_waitcnt lgkmcnt(0)
	s_delay_alu instid0(VALU_DEP_1)
	v_cmpx_lt_u64_e64 v[2:3], v[28:29]
	s_cbranch_execz .LBB16_826
; %bb.816:                              ;   in Loop: Header=BB16_630 Depth=3
	s_mov_b32 s17, 0
	s_mov_b32 s34, 0
                                        ; implicit-def: $sgpr30
                                        ; implicit-def: $sgpr31
	s_branch .LBB16_818
.LBB16_817:                             ;   in Loop: Header=BB16_818 Depth=4
	s_or_b32 exec_lo, exec_lo, s36
	s_delay_alu instid0(SALU_CYCLE_1) | instskip(NEXT) | instid1(SALU_CYCLE_1)
	s_and_b32 vcc_lo, exec_lo, vcc_lo
	s_or_b32 s17, vcc_lo, s17
	s_and_not1_b32 vcc_lo, s30, exec_lo
	s_and_b32 s30, s31, exec_lo
	s_delay_alu instid0(SALU_CYCLE_1)
	s_or_b32 s30, vcc_lo, s30
	s_and_not1_b32 exec_lo, exec_lo, s17
	s_cbranch_execz .LBB16_824
.LBB16_818:                             ;   Parent Loop BB16_93 Depth=1
                                        ;     Parent Loop BB16_628 Depth=2
                                        ;       Parent Loop BB16_630 Depth=3
                                        ; =>      This Inner Loop Header: Depth=4
	s_add_i32 s34, s34, 1
                                        ; implicit-def: $sgpr36
	s_delay_alu instid0(SALU_CYCLE_1) | instskip(SKIP_1) | instid1(SALU_CYCLE_1)
	s_cmpk_lg_i32 s34, 0x2710
	s_cselect_b32 s35, -1, 0
	s_and_b32 vcc_lo, exec_lo, s35
	s_cbranch_vccz .LBB16_822
.LBB16_819:                             ;   in Loop: Header=BB16_818 Depth=4
	s_and_not1_b32 s31, s31, exec_lo
	s_and_b32 s36, s36, exec_lo
	s_mov_b32 vcc_lo, -1
	s_or_b32 s31, s31, s36
	s_and_saveexec_b32 s36, s35
	s_cbranch_execz .LBB16_817
; %bb.820:                              ;   in Loop: Header=BB16_818 Depth=4
	s_sleep 1
	s_cbranch_execnz .LBB16_1550
; %bb.821:                              ;   in Loop: Header=BB16_818 Depth=4
	ds_load_b64 v[2:3], v0
	s_and_not1_b32 s31, s31, exec_lo
	s_waitcnt lgkmcnt(0)
	v_cmp_ge_u64_e32 vcc_lo, v[2:3], v[28:29]
	s_or_not1_b32 vcc_lo, vcc_lo, exec_lo
	s_branch .LBB16_817
.LBB16_822:                             ;   in Loop: Header=BB16_818 Depth=4
	s_cbranch_execnz .LBB16_1556
; %bb.823:                              ;   in Loop: Header=BB16_818 Depth=4
	ds_load_b64 v[2:3], v0
	s_and_not1_b32 s35, s35, exec_lo
	s_mov_b32 s34, 0
	s_mov_b32 s36, -1
	s_waitcnt lgkmcnt(0)
	s_waitcnt_vscnt null, 0x0
	flat_load_b32 v2, v[2:3] glc
	s_waitcnt vmcnt(0) lgkmcnt(0)
	buffer_gl1_inv
	buffer_gl0_inv
	v_cmp_eq_u32_e32 vcc_lo, 0, v2
	s_and_b32 vcc_lo, vcc_lo, exec_lo
	s_delay_alu instid0(SALU_CYCLE_1)
	s_or_b32 s35, s35, vcc_lo
	s_branch .LBB16_819
.LBB16_824:                             ;   in Loop: Header=BB16_630 Depth=3
	s_or_b32 exec_lo, exec_lo, s17
	s_and_saveexec_b32 s17, s30
	s_delay_alu instid0(SALU_CYCLE_1)
	s_xor_b32 s17, exec_lo, s17
	s_cbranch_execz .LBB16_826
; %bb.825:                              ;   in Loop: Header=BB16_630 Depth=3
	ds_store_b32 v0, v119
	s_cbranch_execnz .LBB16_1610
.LBB16_826:                             ;   in Loop: Header=BB16_630 Depth=3
	s_or_b32 exec_lo, exec_lo, s16
	;;#ASMSTART
	s_wakeup
	;;#ASMEND
.LBB16_827:                             ;   in Loop: Header=BB16_630 Depth=3
	s_or_b32 exec_lo, exec_lo, s15
.LBB16_828:                             ;   in Loop: Header=BB16_630 Depth=3
	s_and_not1_saveexec_b32 s14, s14
	s_cbranch_execz .LBB16_830
; %bb.829:                              ;   in Loop: Header=BB16_630 Depth=3
	;;#ASMSTART
	s_waitcnt lgkmcnt(0) vmcnt(0)
	;;#ASMEND
	s_waitcnt lgkmcnt(0)
	s_waitcnt_vscnt null, 0x0
	s_barrier
.LBB16_830:                             ;   in Loop: Header=BB16_630 Depth=3
	s_or_b32 exec_lo, exec_lo, s14
	v_and_b32_e32 v2, 16, v30
.LBB16_831:                             ;   in Loop: Header=BB16_630 Depth=3
	s_or_b32 exec_lo, exec_lo, s13
	s_delay_alu instid0(VALU_DEP_1) | instskip(SKIP_1) | instid1(SALU_CYCLE_1)
	v_cmp_ne_u32_e32 vcc_lo, 0, v2
	s_xor_b32 s13, s7, -1
	s_and_b32 s14, vcc_lo, s13
	s_delay_alu instid0(SALU_CYCLE_1)
	s_and_saveexec_b32 s13, s14
	s_cbranch_execz .LBB16_833
; %bb.832:                              ;   in Loop: Header=BB16_630 Depth=3
	s_waitcnt lgkmcnt(0)
	s_waitcnt_vscnt null, 0x0
	flat_store_b32 v[32:33], v119
.LBB16_833:                             ;   in Loop: Header=BB16_630 Depth=3
	s_or_b32 exec_lo, exec_lo, s13
	v_and_b32_e32 v2, 48, v30
	s_mov_b32 s13, exec_lo
	s_delay_alu instid0(VALU_DEP_1)
	v_cmpx_ne_u32_e32 0, v2
	s_cbranch_execz .LBB16_835
; %bb.834:                              ;   in Loop: Header=BB16_630 Depth=3
	v_add_co_u32 v14, vcc_lo, v14, 2
	v_add_co_ci_u32_e32 v15, vcc_lo, 0, v15, vcc_lo
	s_waitcnt lgkmcnt(0)
	s_waitcnt_vscnt null, 0x0
	flat_store_b64 v[24:25], v[14:15]
.LBB16_835:                             ;   in Loop: Header=BB16_630 Depth=3
	s_or_b32 exec_lo, exec_lo, s13
	v_add_nc_u32_e32 v130, v52, v130
	v_readlane_b32 s13, v58, 2
	s_mov_b32 s16, 0
	s_mov_b32 s15, 2
	s_delay_alu instid0(VALU_DEP_2) | instskip(NEXT) | instid1(VALU_DEP_2)
	v_cmp_ge_i32_e32 vcc_lo, v130, v128
	s_xor_b32 s13, s13, -1
	s_delay_alu instid0(SALU_CYCLE_1) | instskip(NEXT) | instid1(SALU_CYCLE_1)
	s_or_b32 s13, s13, vcc_lo
	s_and_b32 s14, exec_lo, s13
	v_readlane_b32 s13, v58, 3
	s_or_b32 vcc_hi, s14, vcc_hi
	s_delay_alu instid0(VALU_DEP_1)
	v_mov_b32_e32 v2, s13
	s_and_not1_b32 exec_lo, exec_lo, vcc_hi
	s_cbranch_execnz .LBB16_630
; %bb.836:                              ;   in Loop: Header=BB16_628 Depth=2
	s_or_b32 exec_lo, exec_lo, vcc_hi
.LBB16_837:                             ;   in Loop: Header=BB16_628 Depth=2
	s_delay_alu instid0(SALU_CYCLE_1) | instskip(NEXT) | instid1(SALU_CYCLE_1)
	s_or_b32 exec_lo, exec_lo, s29
	s_mov_b32 s14, exec_lo
	v_cmpx_gt_i32_e32 2, v2
	s_cbranch_execz .LBB16_923
; %bb.838:                              ;   in Loop: Header=BB16_628 Depth=2
	v_cmp_eq_u32_e64 s13, 0, v2
	s_mov_b32 s15, 0
.LBB16_839:                             ;   Parent Loop BB16_93 Depth=1
                                        ;     Parent Loop BB16_628 Depth=2
                                        ; =>    This Loop Header: Depth=3
                                        ;         Child Loop BB16_845 Depth 4
                                        ;         Child Loop BB16_877 Depth 4
	;; [unrolled: 1-line block ×3, first 2 shown]
	v_and_b32_e32 v2, 12, v30
	s_mov_b32 s17, -1
	s_mov_b32 s16, exec_lo
	s_delay_alu instid0(VALU_DEP_1)
	v_cmpx_ne_u32_e32 0, v2
	s_cbranch_execz .LBB16_853
; %bb.840:                              ;   in Loop: Header=BB16_839 Depth=3
	v_dual_mov_b32 v5, 1 :: v_dual_and_b32 v4, 8, v30
	s_mov_b32 s17, exec_lo
	s_delay_alu instid0(VALU_DEP_1) | instskip(SKIP_3) | instid1(VALU_DEP_1)
	v_add_co_u32 v53, vcc_lo, v34, v4
	v_add_co_ci_u32_e32 v54, vcc_lo, 0, v35, vcc_lo
	v_add_co_u32 v2, vcc_lo, v14, 2
	v_add_co_ci_u32_e32 v3, vcc_lo, 0, v15, vcc_lo
	v_cmpx_lt_u64_e64 v[53:54], v[2:3]
	s_cbranch_execz .LBB16_852
; %bb.841:                              ;   in Loop: Header=BB16_839 Depth=3
	v_mov_b32_e32 v5, 0
	s_mov_b32 s29, 0
                                        ; implicit-def: $vcc_hi
	s_branch .LBB16_845
.LBB16_842:                             ;   in Loop: Header=BB16_845 Depth=4
	s_or_b32 exec_lo, exec_lo, s35
	v_mov_b32_e32 v36, 0
	s_or_not1_b32 s34, s34, exec_lo
.LBB16_843:                             ;   in Loop: Header=BB16_845 Depth=4
	s_or_b32 exec_lo, exec_lo, s31
	s_delay_alu instid0(VALU_DEP_1) | instskip(SKIP_2) | instid1(SALU_CYCLE_1)
	v_mov_b32_e32 v5, v36
	s_and_not1_b32 vcc_lo, vcc_hi, exec_lo
	s_and_b32 vcc_hi, s34, exec_lo
	s_or_b32 vcc_hi, vcc_lo, vcc_hi
.LBB16_844:                             ;   in Loop: Header=BB16_845 Depth=4
	s_or_b32 exec_lo, exec_lo, s30
	s_waitcnt vmcnt(0) lgkmcnt(0)
	v_add_co_u32 v53, vcc_lo, v34, v4
	v_add_co_ci_u32_e32 v54, vcc_lo, 0, v35, vcc_lo
	s_delay_alu instid0(VALU_DEP_1) | instskip(SKIP_1) | instid1(SALU_CYCLE_1)
	v_cmp_ge_u64_e32 vcc_lo, v[53:54], v[2:3]
	s_xor_b32 s30, vcc_hi, -1
	s_or_b32 vcc_lo, s30, vcc_lo
	s_delay_alu instid0(SALU_CYCLE_1) | instskip(NEXT) | instid1(SALU_CYCLE_1)
	s_and_b32 vcc_lo, exec_lo, vcc_lo
	s_or_b32 s29, vcc_lo, s29
	s_delay_alu instid0(SALU_CYCLE_1)
	s_and_not1_b32 exec_lo, exec_lo, s29
	s_cbranch_execz .LBB16_851
.LBB16_845:                             ;   Parent Loop BB16_93 Depth=1
                                        ;     Parent Loop BB16_628 Depth=2
                                        ;       Parent Loop BB16_839 Depth=3
                                        ; =>      This Inner Loop Header: Depth=4
	s_sleep 1
	flat_load_b64 v[34:35], v[24:25] glc
	v_and_b32_e32 v36, 64, v30
	s_and_not1_b32 vcc_hi, vcc_hi, exec_lo
	s_mov_b32 s30, exec_lo
	s_delay_alu instid0(VALU_DEP_1)
	v_cmpx_eq_u32_e32 0, v36
	s_cbranch_execz .LBB16_844
; %bb.846:                              ;   in Loop: Header=BB16_845 Depth=4
	v_add_nc_u32_e32 v36, 1, v5
	s_mov_b32 s34, -1
	s_mov_b32 s31, exec_lo
	v_cmpx_lt_i32_e32 0x270e, v5
	s_cbranch_execz .LBB16_843
; %bb.847:                              ;   in Loop: Header=BB16_845 Depth=4
	s_cbranch_execnz .LBB16_1264
; %bb.848:                              ;   in Loop: Header=BB16_845 Depth=4
	ds_load_b64 v[53:54], v0
	s_mov_b32 s35, exec_lo
	s_waitcnt vmcnt(0) lgkmcnt(0)
	s_waitcnt_vscnt null, 0x0
	flat_load_b32 v5, v[53:54] glc
	s_waitcnt vmcnt(0) lgkmcnt(0)
	buffer_gl1_inv
	buffer_gl0_inv
	v_cmpx_ne_u32_e32 0, v5
	s_cbranch_execz .LBB16_842
; %bb.849:                              ;   in Loop: Header=BB16_845 Depth=4
	ds_store_b32 v0, v5
	s_cbranch_execnz .LBB16_1317
; %bb.850:                              ;   in Loop: Header=BB16_845 Depth=4
	v_or_b32_e32 v30, 64, v30
	s_xor_b32 s34, exec_lo, -1
	s_branch .LBB16_842
.LBB16_851:                             ;   in Loop: Header=BB16_839 Depth=3
	s_or_b32 exec_lo, exec_lo, s29
	v_and_b32_e32 v5, 12, v30
.LBB16_852:                             ;   in Loop: Header=BB16_839 Depth=3
	s_or_b32 exec_lo, exec_lo, s17
	s_delay_alu instid0(VALU_DEP_1)
	v_cmp_eq_u32_e32 vcc_lo, 0, v5
	;;#ASMSTART
	s_wakeup
	;;#ASMEND
	s_or_not1_b32 s17, vcc_lo, exec_lo
.LBB16_853:                             ;   in Loop: Header=BB16_839 Depth=3
	s_or_b32 exec_lo, exec_lo, s16
	v_sub_nc_u32_e32 v2, v128, v130
	s_xor_b32 s13, s13, -1
	s_delay_alu instid0(SALU_CYCLE_1) | instskip(NEXT) | instid1(SALU_CYCLE_1)
	s_and_b32 s13, exec_lo, s13
	s_or_b32 s15, s13, s15
	s_delay_alu instid0(VALU_DEP_1) | instskip(SKIP_1) | instid1(SALU_CYCLE_1)
	v_min_i32_e32 v52, v52, v2
	s_xor_b32 s13, s17, -1
	s_and_saveexec_b32 s16, s13
	s_cbranch_execz .LBB16_868
; %bb.854:                              ;   in Loop: Header=BB16_839 Depth=3
	v_and_b32_e32 v2, 0x108, v30
	s_mov_b32 s13, exec_lo
	s_delay_alu instid0(VALU_DEP_1)
	v_cmpx_ne_u32_e32 0x108, v2
	s_xor_b32 s13, exec_lo, s13
                                        ; implicit-def: $vgpr2_vgpr3
; %bb.855:                              ;   in Loop: Header=BB16_839 Depth=3
	v_and_b32_e32 v2, 7, v14
; %bb.856:                              ;   in Loop: Header=BB16_839 Depth=3
	s_and_not1_saveexec_b32 s13, s13
	s_cbranch_execz .LBB16_858
; %bb.857:                              ;   in Loop: Header=BB16_839 Depth=3
	v_and_b32_e32 v2, 7, v14
	v_ashrrev_i32_e32 v53, 31, v52
	s_delay_alu instid0(VALU_DEP_2)
	v_mad_u64_u32 v[3:4], null, v2, 24, v[12:13]
	flat_store_b64 v[3:4], v[52:53] offset:8
.LBB16_858:                             ;   in Loop: Header=BB16_839 Depth=3
	s_or_b32 exec_lo, exec_lo, s13
	v_and_b32_e32 v3, 0x100, v30
	s_mov_b32 s13, -1
	s_delay_alu instid0(VALU_DEP_1)
	v_cmp_ne_u32_e32 vcc_lo, 0, v3
                                        ; implicit-def: $vgpr3_vgpr4
	s_and_saveexec_b32 s17, vcc_lo
	s_cbranch_execnz .LBB16_861
; %bb.859:                              ;   in Loop: Header=BB16_839 Depth=3
	s_or_b32 exec_lo, exec_lo, s17
	s_and_saveexec_b32 s17, s13
	s_cbranch_execnz .LBB16_864
.LBB16_860:                             ;   in Loop: Header=BB16_839 Depth=3
	s_or_b32 exec_lo, exec_lo, s17
	s_cbranch_execnz .LBB16_1260
	s_branch .LBB16_865
.LBB16_861:                             ;   in Loop: Header=BB16_839 Depth=3
	v_mad_u64_u32 v[53:54], null, v2, 24, v[12:13]
	s_delay_alu instid0(VALU_DEP_1) | instskip(NEXT) | instid1(VALU_DEP_1)
	v_mov_b32_e32 v3, v54
	v_mad_u64_u32 v[4:5], null, v37, 24, v[3:4]
	s_delay_alu instid0(VALU_DEP_1) | instskip(SKIP_4) | instid1(VALU_DEP_1)
	v_mov_b32_e32 v54, v4
	flat_load_b32 v3, v[53:54]
	s_waitcnt vmcnt(0) lgkmcnt(0)
	v_cmp_ne_u32_e32 vcc_lo, 1, v3
	v_cmp_eq_u32_e64 s13, 1, v3
                                        ; implicit-def: $vgpr3_vgpr4
	s_and_saveexec_b32 s29, s13
	s_cbranch_execz .LBB16_863
; %bb.862:                              ;   in Loop: Header=BB16_839 Depth=3
	flat_load_b32 v3, v[53:54] offset:4 glc
	s_waitcnt vmcnt(0) lgkmcnt(0)
	v_ashrrev_i32_e32 v4, 31, v3
.LBB16_863:                             ;   in Loop: Header=BB16_839 Depth=3
	s_or_b32 exec_lo, exec_lo, s29
	s_delay_alu instid0(SALU_CYCLE_1)
	s_or_not1_b32 s13, vcc_lo, exec_lo
	s_or_b32 exec_lo, exec_lo, s17
	s_and_saveexec_b32 s17, s13
	s_cbranch_execz .LBB16_860
.LBB16_864:                             ;   in Loop: Header=BB16_839 Depth=3
	v_mul_lo_u32 v5, v37, v68
	v_mul_lo_u32 v36, v2, v80
	v_mad_u64_u32 v[3:4], null, v2, v68, 0
	s_delay_alu instid0(VALU_DEP_1)
	v_add3_u32 v4, v4, v36, v5
	s_or_b32 exec_lo, exec_lo, s17
	s_cbranch_execnz .LBB16_1260
.LBB16_865:                             ;   in Loop: Header=BB16_839 Depth=3
	s_delay_alu instid0(VALU_DEP_2)
	v_add_co_u32 v2, vcc_lo, v26, v3
	v_and_b32_e32 v5, 0x2000, v30
	v_add_co_ci_u32_e32 v3, vcc_lo, v27, v4, vcc_lo
	s_mov_b32 s13, exec_lo
	ds_store_b64 v0, v[2:3]
	v_cmpx_ne_u32_e32 0, v5
	s_cbranch_execz .LBB16_867
; %bb.866:                              ;   in Loop: Header=BB16_839 Depth=3
	ds_load_b64 v[2:3], v0 offset:584
	s_waitcnt lgkmcnt(0)
	v_add_co_u32 v2, vcc_lo, v2, 1
	v_add_co_ci_u32_e32 v3, vcc_lo, 0, v3, vcc_lo
	ds_store_b64 v0, v[2:3] offset:584
.LBB16_867:                             ;   in Loop: Header=BB16_839 Depth=3
	s_or_b32 exec_lo, exec_lo, s13
	v_add_co_u32 v14, vcc_lo, v14, 2
	v_add_co_ci_u32_e32 v15, vcc_lo, 0, v15, vcc_lo
.LBB16_868:                             ;   in Loop: Header=BB16_839 Depth=3
	s_or_b32 exec_lo, exec_lo, s16
	s_and_saveexec_b32 s13, s2
	s_cbranch_execz .LBB16_890
; %bb.869:                              ;   in Loop: Header=BB16_839 Depth=3
	s_and_saveexec_b32 s16, s3
	s_delay_alu instid0(SALU_CYCLE_1)
	s_xor_b32 s16, exec_lo, s16
	s_cbranch_execz .LBB16_887
; %bb.870:                              ;   in Loop: Header=BB16_839 Depth=3
	s_and_saveexec_b32 s17, s1
	s_cbranch_execz .LBB16_886
; %bb.871:                              ;   in Loop: Header=BB16_839 Depth=3
	s_mov_b32 vcc_hi, exec_lo
	s_mov_b32 s29, exec_lo
	v_mbcnt_lo_u32_b32 v2, vcc_hi, 0
	s_waitcnt lgkmcnt(0)
	s_waitcnt_vscnt null, 0x0
	buffer_gl1_inv
	buffer_gl0_inv
	v_cmpx_eq_u32_e32 0, v2
	s_cbranch_execz .LBB16_873
; %bb.872:                              ;   in Loop: Header=BB16_839 Depth=3
	s_bcnt1_i32_b32 vcc_lo, vcc_hi
	s_delay_alu instid0(SALU_CYCLE_1)
	v_mov_b32_e32 v36, vcc_lo
	ds_add_u64 v0, v[36:37]
	s_cbranch_execnz .LBB16_1363
.LBB16_873:                             ;   in Loop: Header=BB16_839 Depth=3
	s_or_b32 exec_lo, exec_lo, s29
	s_cbranch_execnz .LBB16_1341
; %bb.874:                              ;   in Loop: Header=BB16_839 Depth=3
	ds_load_b64 v[2:3], v0
	v_add_co_u32 v28, vcc_lo, v28, v82
	v_add_co_ci_u32_e32 v29, vcc_lo, 0, v29, vcc_lo
	s_mov_b32 s29, exec_lo
	s_waitcnt lgkmcnt(0)
	s_delay_alu instid0(VALU_DEP_1)
	v_cmpx_lt_u64_e64 v[2:3], v[28:29]
	s_cbranch_execz .LBB16_885
; %bb.875:                              ;   in Loop: Header=BB16_839 Depth=3
	s_mov_b32 vcc_hi, 0
	s_mov_b32 s34, 0
                                        ; implicit-def: $sgpr30
                                        ; implicit-def: $sgpr31
	s_branch .LBB16_877
.LBB16_876:                             ;   in Loop: Header=BB16_877 Depth=4
	s_or_b32 exec_lo, exec_lo, s36
	s_delay_alu instid0(SALU_CYCLE_1) | instskip(NEXT) | instid1(SALU_CYCLE_1)
	s_and_b32 vcc_lo, exec_lo, vcc_lo
	s_or_b32 vcc_hi, vcc_lo, vcc_hi
	s_and_not1_b32 vcc_lo, s30, exec_lo
	s_and_b32 s30, s31, exec_lo
	s_delay_alu instid0(SALU_CYCLE_1)
	s_or_b32 s30, vcc_lo, s30
	s_and_not1_b32 exec_lo, exec_lo, vcc_hi
	s_cbranch_execz .LBB16_883
.LBB16_877:                             ;   Parent Loop BB16_93 Depth=1
                                        ;     Parent Loop BB16_628 Depth=2
                                        ;       Parent Loop BB16_839 Depth=3
                                        ; =>      This Inner Loop Header: Depth=4
	s_add_i32 s34, s34, 1
                                        ; implicit-def: $sgpr36
	s_delay_alu instid0(SALU_CYCLE_1) | instskip(SKIP_1) | instid1(SALU_CYCLE_1)
	s_cmpk_lg_i32 s34, 0x2710
	s_cselect_b32 s35, -1, 0
	s_and_b32 vcc_lo, exec_lo, s35
	s_cbranch_vccz .LBB16_881
.LBB16_878:                             ;   in Loop: Header=BB16_877 Depth=4
	s_and_not1_b32 s31, s31, exec_lo
	s_and_b32 s36, s36, exec_lo
	s_mov_b32 vcc_lo, -1
	s_or_b32 s31, s31, s36
	s_and_saveexec_b32 s36, s35
	s_cbranch_execz .LBB16_876
; %bb.879:                              ;   in Loop: Header=BB16_877 Depth=4
	s_sleep 1
	s_cbranch_execnz .LBB16_1419
; %bb.880:                              ;   in Loop: Header=BB16_877 Depth=4
	ds_load_b64 v[2:3], v0
	s_and_not1_b32 s31, s31, exec_lo
	s_waitcnt lgkmcnt(0)
	v_cmp_ge_u64_e32 vcc_lo, v[2:3], v[28:29]
	s_or_not1_b32 vcc_lo, vcc_lo, exec_lo
	s_branch .LBB16_876
.LBB16_881:                             ;   in Loop: Header=BB16_877 Depth=4
	s_cbranch_execnz .LBB16_1441
; %bb.882:                              ;   in Loop: Header=BB16_877 Depth=4
	ds_load_b64 v[2:3], v0
	s_and_not1_b32 s35, s35, exec_lo
	s_mov_b32 s34, 0
	s_mov_b32 s36, -1
	s_waitcnt lgkmcnt(0)
	flat_load_b32 v2, v[2:3] glc
	s_waitcnt vmcnt(0) lgkmcnt(0)
	buffer_gl1_inv
	buffer_gl0_inv
	v_cmp_eq_u32_e32 vcc_lo, 0, v2
	s_and_b32 vcc_lo, vcc_lo, exec_lo
	s_delay_alu instid0(SALU_CYCLE_1)
	s_or_b32 s35, s35, vcc_lo
	s_branch .LBB16_878
.LBB16_883:                             ;   in Loop: Header=BB16_839 Depth=3
	s_or_b32 exec_lo, exec_lo, vcc_hi
	s_and_saveexec_b32 vcc_lo, s30
	s_delay_alu instid0(SALU_CYCLE_1)
	s_xor_b32 vcc_lo, exec_lo, vcc_lo
	s_cbranch_execz .LBB16_885
; %bb.884:                              ;   in Loop: Header=BB16_839 Depth=3
	ds_store_b32 v0, v119
	s_cbranch_execnz .LBB16_1584
.LBB16_885:                             ;   in Loop: Header=BB16_839 Depth=3
	s_or_b32 exec_lo, exec_lo, s29
	;;#ASMSTART
	s_wakeup
	;;#ASMEND
.LBB16_886:                             ;   in Loop: Header=BB16_839 Depth=3
	s_or_b32 exec_lo, exec_lo, s17
.LBB16_887:                             ;   in Loop: Header=BB16_839 Depth=3
	s_and_not1_saveexec_b32 s16, s16
	s_cbranch_execz .LBB16_889
; %bb.888:                              ;   in Loop: Header=BB16_839 Depth=3
	s_waitcnt lgkmcnt(0)
	s_waitcnt_vscnt null, 0x0
	buffer_gl1_inv
	buffer_gl0_inv
	s_barrier
.LBB16_889:                             ;   in Loop: Header=BB16_839 Depth=3
	s_or_b32 exec_lo, exec_lo, s16
.LBB16_890:                             ;   in Loop: Header=BB16_839 Depth=3
	s_delay_alu instid0(SALU_CYCLE_1) | instskip(SKIP_1) | instid1(SALU_CYCLE_1)
	s_or_b32 exec_lo, exec_lo, s13
                                        ; implicit-def: $vgpr2
	s_and_saveexec_b32 s13, s25
	s_xor_b32 s13, exec_lo, s13
	s_cbranch_execz .LBB16_912
; %bb.891:                              ;   in Loop: Header=BB16_839 Depth=3
	s_and_saveexec_b32 s16, s3
	s_delay_alu instid0(SALU_CYCLE_1)
	s_xor_b32 s16, exec_lo, s16
	s_cbranch_execz .LBB16_909
; %bb.892:                              ;   in Loop: Header=BB16_839 Depth=3
	s_and_saveexec_b32 s17, s1
	s_cbranch_execz .LBB16_908
; %bb.893:                              ;   in Loop: Header=BB16_839 Depth=3
	s_mov_b32 vcc_hi, exec_lo
	s_mov_b32 s29, exec_lo
	v_mbcnt_lo_u32_b32 v2, vcc_hi, 0
	;;#ASMSTART
	s_waitcnt lgkmcnt(0) vmcnt(0)
	;;#ASMEND
	s_delay_alu instid0(VALU_DEP_1)
	v_cmpx_eq_u32_e32 0, v2
	s_cbranch_execz .LBB16_895
; %bb.894:                              ;   in Loop: Header=BB16_839 Depth=3
	s_bcnt1_i32_b32 vcc_lo, vcc_hi
	s_delay_alu instid0(SALU_CYCLE_1)
	v_mov_b32_e32 v36, vcc_lo
	ds_add_u64 v0, v[36:37]
	s_cbranch_execnz .LBB16_1367
.LBB16_895:                             ;   in Loop: Header=BB16_839 Depth=3
	s_or_b32 exec_lo, exec_lo, s29
	s_cbranch_execnz .LBB16_1343
; %bb.896:                              ;   in Loop: Header=BB16_839 Depth=3
	ds_load_b64 v[2:3], v0
	v_add_co_u32 v28, vcc_lo, v28, v82
	v_add_co_ci_u32_e32 v29, vcc_lo, 0, v29, vcc_lo
	s_mov_b32 s29, exec_lo
	s_waitcnt lgkmcnt(0)
	s_delay_alu instid0(VALU_DEP_1)
	v_cmpx_lt_u64_e64 v[2:3], v[28:29]
	s_cbranch_execz .LBB16_907
; %bb.897:                              ;   in Loop: Header=BB16_839 Depth=3
	s_mov_b32 vcc_hi, 0
	s_mov_b32 s34, 0
                                        ; implicit-def: $sgpr30
                                        ; implicit-def: $sgpr31
	s_branch .LBB16_899
.LBB16_898:                             ;   in Loop: Header=BB16_899 Depth=4
	s_or_b32 exec_lo, exec_lo, s36
	s_delay_alu instid0(SALU_CYCLE_1) | instskip(NEXT) | instid1(SALU_CYCLE_1)
	s_and_b32 vcc_lo, exec_lo, vcc_lo
	s_or_b32 vcc_hi, vcc_lo, vcc_hi
	s_and_not1_b32 vcc_lo, s30, exec_lo
	s_and_b32 s30, s31, exec_lo
	s_delay_alu instid0(SALU_CYCLE_1)
	s_or_b32 s30, vcc_lo, s30
	s_and_not1_b32 exec_lo, exec_lo, vcc_hi
	s_cbranch_execz .LBB16_905
.LBB16_899:                             ;   Parent Loop BB16_93 Depth=1
                                        ;     Parent Loop BB16_628 Depth=2
                                        ;       Parent Loop BB16_839 Depth=3
                                        ; =>      This Inner Loop Header: Depth=4
	s_add_i32 s34, s34, 1
                                        ; implicit-def: $sgpr36
	s_delay_alu instid0(SALU_CYCLE_1) | instskip(SKIP_1) | instid1(SALU_CYCLE_1)
	s_cmpk_lg_i32 s34, 0x2710
	s_cselect_b32 s35, -1, 0
	s_and_b32 vcc_lo, exec_lo, s35
	s_cbranch_vccz .LBB16_903
.LBB16_900:                             ;   in Loop: Header=BB16_899 Depth=4
	s_and_not1_b32 s31, s31, exec_lo
	s_and_b32 s36, s36, exec_lo
	s_mov_b32 vcc_lo, -1
	s_or_b32 s31, s31, s36
	s_and_saveexec_b32 s36, s35
	s_cbranch_execz .LBB16_898
; %bb.901:                              ;   in Loop: Header=BB16_899 Depth=4
	s_sleep 1
	s_cbranch_execnz .LBB16_1429
; %bb.902:                              ;   in Loop: Header=BB16_899 Depth=4
	ds_load_b64 v[2:3], v0
	s_and_not1_b32 s31, s31, exec_lo
	s_waitcnt lgkmcnt(0)
	v_cmp_ge_u64_e32 vcc_lo, v[2:3], v[28:29]
	s_or_not1_b32 vcc_lo, vcc_lo, exec_lo
	s_branch .LBB16_898
.LBB16_903:                             ;   in Loop: Header=BB16_899 Depth=4
	s_cbranch_execnz .LBB16_1449
; %bb.904:                              ;   in Loop: Header=BB16_899 Depth=4
	ds_load_b64 v[2:3], v0
	s_and_not1_b32 s35, s35, exec_lo
	s_mov_b32 s34, 0
	s_mov_b32 s36, -1
	s_waitcnt lgkmcnt(0)
	s_waitcnt_vscnt null, 0x0
	flat_load_b32 v2, v[2:3] glc
	s_waitcnt vmcnt(0) lgkmcnt(0)
	buffer_gl1_inv
	buffer_gl0_inv
	v_cmp_eq_u32_e32 vcc_lo, 0, v2
	s_and_b32 vcc_lo, vcc_lo, exec_lo
	s_delay_alu instid0(SALU_CYCLE_1)
	s_or_b32 s35, s35, vcc_lo
	s_branch .LBB16_900
.LBB16_905:                             ;   in Loop: Header=BB16_839 Depth=3
	s_or_b32 exec_lo, exec_lo, vcc_hi
	s_and_saveexec_b32 vcc_lo, s30
	s_delay_alu instid0(SALU_CYCLE_1)
	s_xor_b32 vcc_lo, exec_lo, vcc_lo
	s_cbranch_execz .LBB16_907
; %bb.906:                              ;   in Loop: Header=BB16_839 Depth=3
	ds_store_b32 v0, v119
	s_cbranch_execnz .LBB16_1586
.LBB16_907:                             ;   in Loop: Header=BB16_839 Depth=3
	s_or_b32 exec_lo, exec_lo, s29
	;;#ASMSTART
	s_wakeup
	;;#ASMEND
.LBB16_908:                             ;   in Loop: Header=BB16_839 Depth=3
	s_or_b32 exec_lo, exec_lo, s17
.LBB16_909:                             ;   in Loop: Header=BB16_839 Depth=3
	s_and_not1_saveexec_b32 s16, s16
	s_cbranch_execz .LBB16_911
; %bb.910:                              ;   in Loop: Header=BB16_839 Depth=3
	;;#ASMSTART
	s_waitcnt lgkmcnt(0) vmcnt(0)
	;;#ASMEND
	s_waitcnt lgkmcnt(0)
	s_waitcnt_vscnt null, 0x0
	s_barrier
.LBB16_911:                             ;   in Loop: Header=BB16_839 Depth=3
	s_or_b32 exec_lo, exec_lo, s16
	v_and_b32_e32 v2, 16, v30
.LBB16_912:                             ;   in Loop: Header=BB16_839 Depth=3
	s_and_not1_saveexec_b32 s16, s13
	s_cbranch_execz .LBB16_917
; %bb.913:                              ;   in Loop: Header=BB16_839 Depth=3
	s_cbranch_execnz .LBB16_1285
; %bb.914:                              ;   in Loop: Header=BB16_839 Depth=3
	ds_load_b32 v2, v0
	v_cmp_lt_i32_e32 vcc_lo, 0, v52
	s_waitcnt lgkmcnt(0)
	v_readfirstlane_b32 s13, v2
	v_and_b32_e32 v2, 16, v30
	s_delay_alu instid0(VALU_DEP_2) | instskip(NEXT) | instid1(VALU_DEP_1)
	s_cmp_eq_u32 s13, 0
	v_cmp_ne_u32_e64 s13, 0, v2
	s_cselect_b32 s17, -1, 0
	v_and_b32_e32 v2, 16, v30
	s_and_b32 s17, vcc_lo, s17
	s_delay_alu instid0(VALU_DEP_2) | instid1(SALU_CYCLE_1)
	s_and_b32 s17, s13, s17
	s_delay_alu instid0(SALU_CYCLE_1)
	s_and_saveexec_b32 s13, s17
	s_cbranch_execz .LBB16_916
; %bb.915:                              ;   in Loop: Header=BB16_839 Depth=3
	v_mov_b32_e32 v2, 1
	s_waitcnt_vscnt null, 0x0
	buffer_gl1_inv
	buffer_gl0_inv
.LBB16_916:                             ;   in Loop: Header=BB16_839 Depth=3
	s_or_b32 exec_lo, exec_lo, s13
.LBB16_917:                             ;   in Loop: Header=BB16_839 Depth=3
	s_delay_alu instid0(SALU_CYCLE_1) | instskip(NEXT) | instid1(VALU_DEP_1)
	s_or_b32 exec_lo, exec_lo, s16
	v_cmp_ne_u32_e32 vcc_lo, 0, v2
	s_xor_b32 s13, s7, -1
	s_delay_alu instid0(SALU_CYCLE_1) | instskip(NEXT) | instid1(SALU_CYCLE_1)
	s_and_b32 s16, vcc_lo, s13
	s_and_saveexec_b32 s13, s16
	s_cbranch_execz .LBB16_919
; %bb.918:                              ;   in Loop: Header=BB16_839 Depth=3
	s_waitcnt lgkmcnt(0)
	s_waitcnt_vscnt null, 0x0
	flat_store_b32 v[32:33], v119
.LBB16_919:                             ;   in Loop: Header=BB16_839 Depth=3
	s_or_b32 exec_lo, exec_lo, s13
	v_and_b32_e32 v2, 48, v30
	s_mov_b32 s13, exec_lo
	s_delay_alu instid0(VALU_DEP_1)
	v_cmpx_ne_u32_e32 0, v2
	s_cbranch_execz .LBB16_921
; %bb.920:                              ;   in Loop: Header=BB16_839 Depth=3
	v_add_co_u32 v14, vcc_lo, v14, 2
	v_add_co_ci_u32_e32 v15, vcc_lo, 0, v15, vcc_lo
	s_waitcnt lgkmcnt(0)
	s_waitcnt_vscnt null, 0x0
	flat_store_b64 v[24:25], v[14:15]
.LBB16_921:                             ;   in Loop: Header=BB16_839 Depth=3
	s_or_b32 exec_lo, exec_lo, s13
	v_add_nc_u32_e32 v130, v52, v130
	s_mov_b32 s13, 0
	s_and_not1_b32 exec_lo, exec_lo, s15
	s_cbranch_execnz .LBB16_839
; %bb.922:                              ;   in Loop: Header=BB16_628 Depth=2
	s_or_b32 exec_lo, exec_lo, s15
.LBB16_923:                             ;   in Loop: Header=BB16_628 Depth=2
	s_delay_alu instid0(SALU_CYCLE_1)
	s_or_b32 exec_lo, exec_lo, s14
	s_add_i32 s13, s28, 1
	s_cmp_eq_u32 s28, s26
	s_cbranch_scc1 .LBB16_925
; %bb.924:                              ;   in Loop: Header=BB16_628 Depth=2
	s_mov_b32 s28, s13
	s_branch .LBB16_628
.LBB16_925:                             ;   in Loop: Header=BB16_93 Depth=1
	v_mov_b32_e32 v4, 0
	v_mov_b32_e32 v52, 0
	s_mov_b32 s15, 0
	s_and_saveexec_b32 s14, s12
	s_cbranch_execz .LBB16_1086
; %bb.926:                              ;   in Loop: Header=BB16_93 Depth=1
	flat_load_b32 v4, v[18:19] offset:4
	v_mov_b32_e32 v52, 0
	s_mov_b32 s17, 1
	s_mov_b32 s16, -1
	s_waitcnt vmcnt(0) lgkmcnt(0)
	v_ashrrev_i32_e32 v5, 31, v4
	v_mad_u64_u32 v[2:3], null, v66, v4, v[50:51]
	v_mul_lo_u32 v4, v67, v4
	s_delay_alu instid0(VALU_DEP_3) | instskip(NEXT) | instid1(VALU_DEP_1)
	v_mul_lo_u32 v5, v66, v5
	v_add3_u32 v3, v4, v3, v5
.LBB16_927:                             ;   Parent Loop BB16_93 Depth=1
                                        ; =>  This Loop Header: Depth=2
                                        ;       Child Loop BB16_936 Depth 3
                                        ;       Child Loop BB16_963 Depth 3
	;; [unrolled: 1-line block ×9, first 2 shown]
	s_and_saveexec_b32 s13, s0
	s_cbranch_execz .LBB16_930
; %bb.928:                              ;   in Loop: Header=BB16_927 Depth=2
	s_cbranch_execnz .LBB16_1246
; %bb.929:                              ;   in Loop: Header=BB16_927 Depth=2
	ds_load_b128 v[130:133], v0
	v_ashrrev_i32_e32 v5, 31, v52
	s_waitcnt lgkmcnt(0)
	v_add_co_u32 v4, vcc_lo, v132, v2
	v_add_co_ci_u32_e32 v36, vcc_lo, v133, v3, vcc_lo
	v_add_co_u32 v50, vcc_lo, v130, v2
	v_add_co_ci_u32_e32 v51, vcc_lo, v131, v3, vcc_lo
	s_delay_alu instid0(VALU_DEP_4) | instskip(NEXT) | instid1(VALU_DEP_4)
	v_add_co_u32 v53, vcc_lo, v4, v52
	v_add_co_ci_u32_e32 v36, vcc_lo, v36, v5, vcc_lo
	v_cmp_ne_u64_e32 vcc_lo, 0, v[132:133]
	v_add_co_u32 v4, s12, v50, v52
	s_delay_alu instid0(VALU_DEP_1) | instskip(NEXT) | instid1(VALU_DEP_4)
	v_add_co_ci_u32_e64 v5, s12, v51, v5, s12
	v_dual_cndmask_b32 v51, 0, v36 :: v_dual_cndmask_b32 v50, 0, v53
	ds_store_b64 v0, v[4:5]
	ds_store_b64 v0, v[50:51]
.LBB16_930:                             ;   in Loop: Header=BB16_927 Depth=2
	s_or_b32 exec_lo, exec_lo, s13
	v_and_b32_e32 v4, 4, v30
	s_mov_b32 s13, -1
	s_mov_b32 s12, exec_lo
	s_delay_alu instid0(VALU_DEP_1)
	v_cmpx_ne_u32_e32 0, v4
	s_cbranch_execz .LBB16_944
; %bb.931:                              ;   in Loop: Header=BB16_927 Depth=2
	v_add_co_u32 v4, vcc_lo, v14, 2
	v_add_co_ci_u32_e32 v5, vcc_lo, 0, v15, vcc_lo
	v_mov_b32_e32 v36, 1
	s_mov_b32 s13, exec_lo
	s_delay_alu instid0(VALU_DEP_2)
	v_cmpx_lt_u64_e64 v[34:35], v[4:5]
	s_cbranch_execz .LBB16_943
; %bb.932:                              ;   in Loop: Header=BB16_927 Depth=2
	v_mov_b32_e32 v36, 0
	s_mov_b32 s28, 0
                                        ; implicit-def: $sgpr29
	s_branch .LBB16_936
.LBB16_933:                             ;   in Loop: Header=BB16_936 Depth=3
	s_or_b32 exec_lo, exec_lo, s34
	v_mov_b32_e32 v50, 0
	s_or_not1_b32 s31, s31, exec_lo
.LBB16_934:                             ;   in Loop: Header=BB16_936 Depth=3
	s_or_b32 exec_lo, exec_lo, s30
	s_delay_alu instid0(VALU_DEP_1) | instskip(SKIP_2) | instid1(SALU_CYCLE_1)
	v_mov_b32_e32 v36, v50
	s_and_not1_b32 s29, s29, exec_lo
	s_and_b32 vcc_lo, s31, exec_lo
	s_or_b32 s29, s29, vcc_lo
.LBB16_935:                             ;   in Loop: Header=BB16_936 Depth=3
	s_or_b32 exec_lo, exec_lo, vcc_hi
	s_waitcnt vmcnt(0) lgkmcnt(0)
	v_cmp_ge_u64_e32 vcc_lo, v[34:35], v[4:5]
	s_xor_b32 vcc_hi, s29, -1
	s_delay_alu instid0(SALU_CYCLE_1) | instskip(NEXT) | instid1(SALU_CYCLE_1)
	s_or_b32 vcc_lo, vcc_hi, vcc_lo
	s_and_b32 vcc_lo, exec_lo, vcc_lo
	s_delay_alu instid0(SALU_CYCLE_1) | instskip(NEXT) | instid1(SALU_CYCLE_1)
	s_or_b32 s28, vcc_lo, s28
	s_and_not1_b32 exec_lo, exec_lo, s28
	s_cbranch_execz .LBB16_942
.LBB16_936:                             ;   Parent Loop BB16_93 Depth=1
                                        ;     Parent Loop BB16_927 Depth=2
                                        ; =>    This Inner Loop Header: Depth=3
	s_sleep 1
	flat_load_b64 v[34:35], v[24:25] glc
	v_and_b32_e32 v50, 64, v30
	s_and_not1_b32 s29, s29, exec_lo
	s_mov_b32 vcc_hi, exec_lo
	s_delay_alu instid0(VALU_DEP_1)
	v_cmpx_eq_u32_e32 0, v50
	s_cbranch_execz .LBB16_935
; %bb.937:                              ;   in Loop: Header=BB16_936 Depth=3
	v_add_nc_u32_e32 v50, 1, v36
	s_mov_b32 s31, -1
	s_mov_b32 s30, exec_lo
	v_cmpx_lt_i32_e32 0x270e, v36
	s_cbranch_execz .LBB16_934
; %bb.938:                              ;   in Loop: Header=BB16_936 Depth=3
	s_cbranch_execnz .LBB16_1279
; %bb.939:                              ;   in Loop: Header=BB16_936 Depth=3
	ds_load_b64 v[50:51], v0
	s_mov_b32 s34, exec_lo
	s_waitcnt vmcnt(0) lgkmcnt(0)
	s_waitcnt_vscnt null, 0x0
	flat_load_b32 v36, v[50:51] glc
	s_waitcnt vmcnt(0) lgkmcnt(0)
	buffer_gl1_inv
	buffer_gl0_inv
	v_cmpx_ne_u32_e32 0, v36
	s_cbranch_execz .LBB16_933
; %bb.940:                              ;   in Loop: Header=BB16_936 Depth=3
	ds_store_b32 v0, v36
	s_cbranch_execnz .LBB16_1327
; %bb.941:                              ;   in Loop: Header=BB16_936 Depth=3
	v_or_b32_e32 v30, 64, v30
	s_xor_b32 s31, exec_lo, -1
	s_branch .LBB16_933
.LBB16_942:                             ;   in Loop: Header=BB16_927 Depth=2
	s_or_b32 exec_lo, exec_lo, s28
	v_and_b32_e32 v36, 4, v30
.LBB16_943:                             ;   in Loop: Header=BB16_927 Depth=2
	s_or_b32 exec_lo, exec_lo, s13
	s_delay_alu instid0(VALU_DEP_1)
	v_cmp_eq_u32_e32 vcc_lo, 0, v36
	;;#ASMSTART
	s_wakeup
	;;#ASMEND
	s_or_not1_b32 s13, vcc_lo, exec_lo
.LBB16_944:                             ;   in Loop: Header=BB16_927 Depth=2
	s_or_b32 exec_lo, exec_lo, s12
	s_xor_b32 s12, s13, -1
	s_delay_alu instid0(SALU_CYCLE_1)
	s_and_saveexec_b32 s13, s12
	s_cbranch_execz .LBB16_954
; %bb.945:                              ;   in Loop: Header=BB16_927 Depth=2
	v_and_b32_e32 v4, 0x100, v30
	v_and_b32_e32 v36, 7, v14
	s_mov_b32 s12, -1
	s_delay_alu instid0(VALU_DEP_2)
	v_cmp_ne_u32_e32 vcc_lo, 0, v4
                                        ; implicit-def: $vgpr4_vgpr5
	s_and_saveexec_b32 s28, vcc_lo
	s_cbranch_execz .LBB16_949
; %bb.946:                              ;   in Loop: Header=BB16_927 Depth=2
	v_mad_u64_u32 v[50:51], null, v36, 24, v[12:13]
	flat_load_b32 v4, v[50:51]
	s_waitcnt vmcnt(0) lgkmcnt(0)
	v_cmp_ne_u32_e32 vcc_lo, 1, v4
	v_cmp_eq_u32_e64 s12, 1, v4
                                        ; implicit-def: $vgpr4_vgpr5
	s_delay_alu instid0(VALU_DEP_1)
	s_and_saveexec_b32 s29, s12
	s_cbranch_execz .LBB16_948
; %bb.947:                              ;   in Loop: Header=BB16_927 Depth=2
	flat_load_b32 v4, v[50:51] offset:4 glc
	s_waitcnt vmcnt(0) lgkmcnt(0)
	v_ashrrev_i32_e32 v5, 31, v4
.LBB16_948:                             ;   in Loop: Header=BB16_927 Depth=2
	s_or_b32 exec_lo, exec_lo, s29
	s_delay_alu instid0(SALU_CYCLE_1)
	s_or_not1_b32 s12, vcc_lo, exec_lo
.LBB16_949:                             ;   in Loop: Header=BB16_927 Depth=2
	s_or_b32 exec_lo, exec_lo, s28
	s_and_saveexec_b32 s28, s12
; %bb.950:                              ;   in Loop: Header=BB16_927 Depth=2
	v_mad_i64_i32 v[4:5], null, v36, v68, 0
; %bb.951:                              ;   in Loop: Header=BB16_927 Depth=2
	s_or_b32 exec_lo, exec_lo, s28
	s_delay_alu instid0(VALU_DEP_1) | instskip(SKIP_1) | instid1(VALU_DEP_3)
	v_add_co_u32 v4, vcc_lo, v26, v4
	v_and_b32_e32 v36, 0x2000, v30
	v_add_co_ci_u32_e32 v5, vcc_lo, v27, v5, vcc_lo
	s_mov_b32 s12, exec_lo
	ds_store_b64 v0, v[4:5] offset:720
	v_cmpx_ne_u32_e32 0, v36
	s_cbranch_execz .LBB16_953
; %bb.952:                              ;   in Loop: Header=BB16_927 Depth=2
	ds_load_b64 v[4:5], v0 offset:584
	s_waitcnt lgkmcnt(0)
	v_add_co_u32 v4, vcc_lo, v4, 1
	v_add_co_ci_u32_e32 v5, vcc_lo, 0, v5, vcc_lo
	ds_store_b64 v0, v[4:5] offset:584
.LBB16_953:                             ;   in Loop: Header=BB16_927 Depth=2
	s_or_b32 exec_lo, exec_lo, s12
	v_add_co_u32 v14, vcc_lo, v14, 2
	v_add_co_ci_u32_e32 v15, vcc_lo, 0, v15, vcc_lo
.LBB16_954:                             ;   in Loop: Header=BB16_927 Depth=2
	s_or_b32 exec_lo, exec_lo, s13
	s_and_saveexec_b32 s12, s2
	s_cbranch_execz .LBB16_976
; %bb.955:                              ;   in Loop: Header=BB16_927 Depth=2
	s_and_saveexec_b32 s13, s3
	s_delay_alu instid0(SALU_CYCLE_1)
	s_xor_b32 s13, exec_lo, s13
	s_cbranch_execz .LBB16_973
; %bb.956:                              ;   in Loop: Header=BB16_927 Depth=2
	s_and_saveexec_b32 s28, s1
	s_cbranch_execz .LBB16_972
; %bb.957:                              ;   in Loop: Header=BB16_927 Depth=2
	s_mov_b32 vcc_hi, exec_lo
	s_mov_b32 s29, exec_lo
	v_mbcnt_lo_u32_b32 v4, vcc_hi, 0
	s_waitcnt lgkmcnt(0)
	s_waitcnt_vscnt null, 0x0
	buffer_gl1_inv
	buffer_gl0_inv
	v_cmpx_eq_u32_e32 0, v4
	s_cbranch_execz .LBB16_959
; %bb.958:                              ;   in Loop: Header=BB16_927 Depth=2
	s_bcnt1_i32_b32 vcc_lo, vcc_hi
	s_delay_alu instid0(SALU_CYCLE_1)
	v_mov_b32_e32 v36, vcc_lo
	ds_add_u64 v0, v[36:37]
	s_cbranch_execnz .LBB16_1357
.LBB16_959:                             ;   in Loop: Header=BB16_927 Depth=2
	s_or_b32 exec_lo, exec_lo, s29
	s_cbranch_execnz .LBB16_1337
; %bb.960:                              ;   in Loop: Header=BB16_927 Depth=2
	ds_load_b64 v[4:5], v0
	v_add_co_u32 v28, vcc_lo, v28, v82
	v_add_co_ci_u32_e32 v29, vcc_lo, 0, v29, vcc_lo
	s_mov_b32 s29, exec_lo
	s_waitcnt lgkmcnt(0)
	s_delay_alu instid0(VALU_DEP_1)
	v_cmpx_lt_u64_e64 v[4:5], v[28:29]
	s_cbranch_execz .LBB16_971
; %bb.961:                              ;   in Loop: Header=BB16_927 Depth=2
	s_mov_b32 vcc_hi, 0
	s_mov_b32 s34, 0
                                        ; implicit-def: $sgpr30
                                        ; implicit-def: $sgpr31
	s_branch .LBB16_963
.LBB16_962:                             ;   in Loop: Header=BB16_963 Depth=3
	s_or_b32 exec_lo, exec_lo, s36
	s_delay_alu instid0(SALU_CYCLE_1) | instskip(NEXT) | instid1(SALU_CYCLE_1)
	s_and_b32 vcc_lo, exec_lo, vcc_lo
	s_or_b32 vcc_hi, vcc_lo, vcc_hi
	s_and_not1_b32 vcc_lo, s30, exec_lo
	s_and_b32 s30, s31, exec_lo
	s_delay_alu instid0(SALU_CYCLE_1)
	s_or_b32 s30, vcc_lo, s30
	s_and_not1_b32 exec_lo, exec_lo, vcc_hi
	s_cbranch_execz .LBB16_969
.LBB16_963:                             ;   Parent Loop BB16_93 Depth=1
                                        ;     Parent Loop BB16_927 Depth=2
                                        ; =>    This Inner Loop Header: Depth=3
	s_add_i32 s34, s34, 1
                                        ; implicit-def: $sgpr36
	s_delay_alu instid0(SALU_CYCLE_1) | instskip(SKIP_1) | instid1(SALU_CYCLE_1)
	s_cmpk_lg_i32 s34, 0x2710
	s_cselect_b32 s35, -1, 0
	s_and_b32 vcc_lo, exec_lo, s35
	s_cbranch_vccz .LBB16_967
.LBB16_964:                             ;   in Loop: Header=BB16_963 Depth=3
	s_and_not1_b32 s31, s31, exec_lo
	s_and_b32 s36, s36, exec_lo
	s_mov_b32 vcc_lo, -1
	s_or_b32 s31, s31, s36
	s_and_saveexec_b32 s36, s35
	s_cbranch_execz .LBB16_962
; %bb.965:                              ;   in Loop: Header=BB16_963 Depth=3
	s_sleep 1
	s_cbranch_execnz .LBB16_1411
; %bb.966:                              ;   in Loop: Header=BB16_963 Depth=3
	ds_load_b64 v[4:5], v0
	s_and_not1_b32 s31, s31, exec_lo
	s_waitcnt lgkmcnt(0)
	v_cmp_ge_u64_e32 vcc_lo, v[4:5], v[28:29]
	s_or_not1_b32 vcc_lo, vcc_lo, exec_lo
	s_branch .LBB16_962
.LBB16_967:                             ;   in Loop: Header=BB16_963 Depth=3
	s_cbranch_execnz .LBB16_1431
; %bb.968:                              ;   in Loop: Header=BB16_963 Depth=3
	ds_load_b64 v[4:5], v0
	s_and_not1_b32 s35, s35, exec_lo
	s_mov_b32 s34, 0
	s_mov_b32 s36, -1
	s_waitcnt lgkmcnt(0)
	flat_load_b32 v4, v[4:5] glc
	s_waitcnt vmcnt(0) lgkmcnt(0)
	buffer_gl1_inv
	buffer_gl0_inv
	v_cmp_eq_u32_e32 vcc_lo, 0, v4
	s_and_b32 vcc_lo, vcc_lo, exec_lo
	s_delay_alu instid0(SALU_CYCLE_1)
	s_or_b32 s35, s35, vcc_lo
	s_branch .LBB16_964
.LBB16_969:                             ;   in Loop: Header=BB16_927 Depth=2
	s_or_b32 exec_lo, exec_lo, vcc_hi
	s_and_saveexec_b32 vcc_lo, s30
	s_delay_alu instid0(SALU_CYCLE_1)
	s_xor_b32 vcc_lo, exec_lo, vcc_lo
	s_cbranch_execz .LBB16_971
; %bb.970:                              ;   in Loop: Header=BB16_927 Depth=2
	ds_store_b32 v0, v119
	s_cbranch_execnz .LBB16_1580
.LBB16_971:                             ;   in Loop: Header=BB16_927 Depth=2
	s_or_b32 exec_lo, exec_lo, s29
	;;#ASMSTART
	s_wakeup
	;;#ASMEND
.LBB16_972:                             ;   in Loop: Header=BB16_927 Depth=2
	s_or_b32 exec_lo, exec_lo, s28
.LBB16_973:                             ;   in Loop: Header=BB16_927 Depth=2
	s_and_not1_saveexec_b32 s13, s13
	s_cbranch_execz .LBB16_975
; %bb.974:                              ;   in Loop: Header=BB16_927 Depth=2
	s_waitcnt lgkmcnt(0)
	s_waitcnt_vscnt null, 0x0
	buffer_gl1_inv
	buffer_gl0_inv
	s_barrier
.LBB16_975:                             ;   in Loop: Header=BB16_927 Depth=2
	s_or_b32 exec_lo, exec_lo, s13
.LBB16_976:                             ;   in Loop: Header=BB16_927 Depth=2
	s_delay_alu instid0(SALU_CYCLE_1)
	s_or_b32 exec_lo, exec_lo, s12
	s_cbranch_execnz .LBB16_1242
; %bb.977:                              ;   in Loop: Header=BB16_927 Depth=2
	ds_load_b32 v4, v0
	v_and_b32_e32 v5, 0x4000, v30
	s_delay_alu instid0(VALU_DEP_1) | instskip(SKIP_1) | instid1(SALU_CYCLE_1)
	v_cmp_ne_u32_e32 vcc_lo, 0, v5
	s_and_b32 s13, s27, vcc_lo
	s_and_saveexec_b32 s12, s13
	s_cbranch_execz .LBB16_999
; %bb.978:                              ;   in Loop: Header=BB16_927 Depth=2
	s_and_saveexec_b32 s13, s3
	s_delay_alu instid0(SALU_CYCLE_1)
	s_xor_b32 s13, exec_lo, s13
	s_cbranch_execz .LBB16_996
; %bb.979:                              ;   in Loop: Header=BB16_927 Depth=2
	s_and_saveexec_b32 s28, s1
	s_cbranch_execz .LBB16_995
; %bb.980:                              ;   in Loop: Header=BB16_927 Depth=2
	s_mov_b32 vcc_hi, exec_lo
	s_mov_b32 s29, exec_lo
	v_mbcnt_lo_u32_b32 v5, vcc_hi, 0
	s_waitcnt lgkmcnt(0)
	s_waitcnt_vscnt null, 0x0
	buffer_gl1_inv
	buffer_gl0_inv
	v_cmpx_eq_u32_e32 0, v5
	s_cbranch_execz .LBB16_982
; %bb.981:                              ;   in Loop: Header=BB16_927 Depth=2
	s_bcnt1_i32_b32 vcc_lo, vcc_hi
	s_delay_alu instid0(SALU_CYCLE_1)
	v_mov_b32_e32 v36, vcc_lo
	ds_add_u64 v0, v[36:37]
	s_cbranch_execnz .LBB16_1403
.LBB16_982:                             ;   in Loop: Header=BB16_927 Depth=2
	s_or_b32 exec_lo, exec_lo, s29
	s_cbranch_execnz .LBB16_1379
; %bb.983:                              ;   in Loop: Header=BB16_927 Depth=2
	ds_load_b64 v[50:51], v0
	v_add_co_u32 v28, vcc_lo, v28, v82
	v_add_co_ci_u32_e32 v29, vcc_lo, 0, v29, vcc_lo
	s_mov_b32 s29, exec_lo
	s_waitcnt lgkmcnt(0)
	s_delay_alu instid0(VALU_DEP_1)
	v_cmpx_lt_u64_e64 v[50:51], v[28:29]
	s_cbranch_execz .LBB16_994
; %bb.984:                              ;   in Loop: Header=BB16_927 Depth=2
	s_mov_b32 vcc_hi, 0
	s_mov_b32 s34, 0
                                        ; implicit-def: $sgpr30
                                        ; implicit-def: $sgpr31
	s_branch .LBB16_986
.LBB16_985:                             ;   in Loop: Header=BB16_986 Depth=3
	s_or_b32 exec_lo, exec_lo, s36
	s_delay_alu instid0(SALU_CYCLE_1) | instskip(NEXT) | instid1(SALU_CYCLE_1)
	s_and_b32 vcc_lo, exec_lo, vcc_lo
	s_or_b32 vcc_hi, vcc_lo, vcc_hi
	s_and_not1_b32 vcc_lo, s30, exec_lo
	s_and_b32 s30, s31, exec_lo
	s_delay_alu instid0(SALU_CYCLE_1)
	s_or_b32 s30, vcc_lo, s30
	s_and_not1_b32 exec_lo, exec_lo, vcc_hi
	s_cbranch_execz .LBB16_992
.LBB16_986:                             ;   Parent Loop BB16_93 Depth=1
                                        ;     Parent Loop BB16_927 Depth=2
                                        ; =>    This Inner Loop Header: Depth=3
	s_add_i32 s34, s34, 1
                                        ; implicit-def: $sgpr36
	s_delay_alu instid0(SALU_CYCLE_1) | instskip(SKIP_1) | instid1(SALU_CYCLE_1)
	s_cmpk_lg_i32 s34, 0x2710
	s_cselect_b32 s35, -1, 0
	s_and_b32 vcc_lo, exec_lo, s35
	s_cbranch_vccz .LBB16_990
.LBB16_987:                             ;   in Loop: Header=BB16_986 Depth=3
	s_and_not1_b32 s31, s31, exec_lo
	s_and_b32 s36, s36, exec_lo
	s_mov_b32 vcc_lo, -1
	s_or_b32 s31, s31, s36
	s_and_saveexec_b32 s36, s35
	s_cbranch_execz .LBB16_985
; %bb.988:                              ;   in Loop: Header=BB16_986 Depth=3
	s_sleep 1
	s_cbranch_execnz .LBB16_1482
; %bb.989:                              ;   in Loop: Header=BB16_986 Depth=3
	ds_load_b64 v[50:51], v0
	s_and_not1_b32 s31, s31, exec_lo
	s_waitcnt lgkmcnt(0)
	v_cmp_ge_u64_e32 vcc_lo, v[50:51], v[28:29]
	s_or_not1_b32 vcc_lo, vcc_lo, exec_lo
	s_branch .LBB16_985
.LBB16_990:                             ;   in Loop: Header=BB16_986 Depth=3
	s_cbranch_execnz .LBB16_1494
; %bb.991:                              ;   in Loop: Header=BB16_986 Depth=3
	ds_load_b64 v[50:51], v0
	s_and_not1_b32 s35, s35, exec_lo
	s_mov_b32 s34, 0
	s_mov_b32 s36, -1
	s_waitcnt lgkmcnt(0)
	flat_load_b32 v5, v[50:51] glc
	s_waitcnt vmcnt(0) lgkmcnt(0)
	buffer_gl1_inv
	buffer_gl0_inv
	v_cmp_eq_u32_e32 vcc_lo, 0, v5
	s_and_b32 vcc_lo, vcc_lo, exec_lo
	s_delay_alu instid0(SALU_CYCLE_1)
	s_or_b32 s35, s35, vcc_lo
	s_branch .LBB16_987
.LBB16_992:                             ;   in Loop: Header=BB16_927 Depth=2
	s_or_b32 exec_lo, exec_lo, vcc_hi
	s_and_saveexec_b32 vcc_lo, s30
	s_delay_alu instid0(SALU_CYCLE_1)
	s_xor_b32 vcc_lo, exec_lo, vcc_lo
	s_cbranch_execz .LBB16_994
; %bb.993:                              ;   in Loop: Header=BB16_927 Depth=2
	ds_store_b32 v0, v119
	s_cbranch_execnz .LBB16_1592
.LBB16_994:                             ;   in Loop: Header=BB16_927 Depth=2
	s_or_b32 exec_lo, exec_lo, s29
	;;#ASMSTART
	s_wakeup
	;;#ASMEND
.LBB16_995:                             ;   in Loop: Header=BB16_927 Depth=2
	s_or_b32 exec_lo, exec_lo, s28
.LBB16_996:                             ;   in Loop: Header=BB16_927 Depth=2
	s_and_not1_saveexec_b32 s13, s13
	s_cbranch_execz .LBB16_998
; %bb.997:                              ;   in Loop: Header=BB16_927 Depth=2
	s_waitcnt lgkmcnt(0)
	s_waitcnt_vscnt null, 0x0
	buffer_gl1_inv
	buffer_gl0_inv
	s_barrier
.LBB16_998:                             ;   in Loop: Header=BB16_927 Depth=2
	s_or_b32 exec_lo, exec_lo, s13
.LBB16_999:                             ;   in Loop: Header=BB16_927 Depth=2
	s_delay_alu instid0(SALU_CYCLE_1)
	s_or_b32 exec_lo, exec_lo, s12
	s_cbranch_execnz .LBB16_1281
; %bb.1000:                             ;   in Loop: Header=BB16_927 Depth=2
	ds_load_b64 v[50:51], v0
	v_sub_nc_u32_e32 v5, v128, v52
	v_mov_b32_e32 v53, 0
	s_delay_alu instid0(VALU_DEP_2) | instskip(SKIP_3) | instid1(SALU_CYCLE_1)
	v_min_i32_e32 v129, v129, v5
	s_waitcnt lgkmcnt(0)
	v_cmp_eq_u64_e32 vcc_lo, 0, v[50:51]
	s_or_b32 s12, vcc_lo, vcc_lo
	s_and_b32 vcc_lo, exec_lo, s12
	s_cbranch_vccnz .LBB16_1034
; %bb.1001:                             ;   in Loop: Header=BB16_927 Depth=2
	s_mov_b32 s12, -1
	s_and_saveexec_b32 s13, s11
	s_cbranch_execz .LBB16_1003
; %bb.1002:                             ;   in Loop: Header=BB16_927 Depth=2
	ds_load_b32 v5, v0 offset:720
	s_waitcnt lgkmcnt(0)
	v_and_b32_e32 v5, 15, v5
	s_delay_alu instid0(VALU_DEP_1)
	v_cmp_eq_u32_e32 vcc_lo, 0, v5
	s_or_not1_b32 s12, vcc_lo, exec_lo
.LBB16_1003:                            ;   in Loop: Header=BB16_927 Depth=2
	s_or_b32 exec_lo, exec_lo, s13
	s_and_saveexec_b32 s13, s4
	s_cbranch_execz .LBB16_1005
; %bb.1004:                             ;   in Loop: Header=BB16_927 Depth=2
	ds_load_b32 v5, v0 offset:784
	s_waitcnt lgkmcnt(0)
	v_and_b32_e32 v5, 15, v5
	s_delay_alu instid0(VALU_DEP_1) | instskip(SKIP_3) | instid1(SALU_CYCLE_1)
	v_cmp_eq_u32_e32 vcc_lo, 0, v5
	s_and_b32 s28, s12, vcc_lo
	s_and_not1_b32 s12, s12, exec_lo
	s_and_b32 s28, s28, exec_lo
	s_or_b32 s12, s12, s28
.LBB16_1005:                            ;   in Loop: Header=BB16_927 Depth=2
	s_or_b32 exec_lo, exec_lo, s13
	v_cmp_eq_u32_e32 vcc_lo, 0, v4
	s_xor_b32 s12, s12, -1
	v_mov_b32_e32 v130, v71
	v_cndmask_b32_e64 v5, 0, 1, s12
	;;#ASMSTART
	;;#ASMEND
	v_dual_cndmask_b32 v53, 0, v129 :: v_dual_mov_b32 v36, 0
	s_delay_alu instid0(VALU_DEP_2) | instskip(SKIP_1) | instid1(VALU_DEP_2)
	v_cmp_ne_u32_e32 vcc_lo, 0, v5
	s_mov_b32 s12, -1
	v_dual_mov_b32 v55, v0 :: v_dual_mov_b32 v54, v53
	s_cbranch_vccnz .LBB16_1021
; %bb.1006:                             ;   in Loop: Header=BB16_927 Depth=2
	v_ashrrev_i32_e32 v4, 31, v53
	s_mov_b32 s12, exec_lo
	s_delay_alu instid0(VALU_DEP_1) | instskip(NEXT) | instid1(VALU_DEP_1)
	v_lshrrev_b32_e32 v4, 20, v4
	v_add_nc_u32_e32 v4, v53, v4
	s_delay_alu instid0(VALU_DEP_1) | instskip(NEXT) | instid1(VALU_DEP_1)
	v_ashrrev_i32_e32 v36, 12, v4
	v_sub_nc_u32_e32 v64, v36, v71
	s_delay_alu instid0(VALU_DEP_1)
	v_cmpx_lt_i32_e32 0, v64
	s_cbranch_execz .LBB16_1011
; %bb.1007:                             ;   in Loop: Header=BB16_927 Depth=2
	s_cbranch_execnz .LBB16_1435
; %bb.1008:                             ;   in Loop: Header=BB16_927 Depth=2
	ds_load_b64 v[4:5], v0
	s_mov_b32 s13, 0
	s_waitcnt lgkmcnt(0)
	v_dual_mov_b32 v51, v5 :: v_dual_mov_b32 v50, v4
.LBB16_1009:                            ;   Parent Loop BB16_93 Depth=1
                                        ;     Parent Loop BB16_927 Depth=2
                                        ; =>    This Inner Loop Header: Depth=3
	s_delay_alu instid0(VALU_DEP_1) | instskip(NEXT) | instid1(VALU_DEP_2)
	v_add_co_u32 v54, vcc_lo, v113, v50
	v_add_co_ci_u32_e32 v55, vcc_lo, v116, v51, vcc_lo
	v_sub_nc_u32_e32 v64, v64, v82
	s_clause 0x7
	global_load_b128 v[130:133], v[54:55], off slc dlc
	global_load_b128 v[144:147], v[54:55], off offset:512 slc dlc
	global_load_b128 v[148:151], v[54:55], off offset:1024 slc dlc
	;; [unrolled: 1-line block ×7, first 2 shown]
	v_add_co_u32 v54, vcc_lo, v113, v4
	v_add_co_ci_u32_e32 v55, vcc_lo, v116, v5, vcc_lo
	v_add_co_u32 v50, vcc_lo, v50, v117
	v_add_co_ci_u32_e32 v51, vcc_lo, v51, v118, vcc_lo
	;; [unrolled: 2-line block ×3, first 2 shown]
	v_cmp_gt_i32_e32 vcc_lo, 1, v64
	s_waitcnt vmcnt(7)
	global_store_b128 v[54:55], v[130:133], off glc slc dlc
	s_waitcnt vmcnt(6)
	global_store_b128 v[54:55], v[144:147], off offset:512 glc slc dlc
	s_waitcnt vmcnt(5)
	global_store_b128 v[54:55], v[148:151], off offset:1024 glc slc dlc
	s_waitcnt vmcnt(4)
	global_store_b128 v[54:55], v[160:163], off offset:1536 glc slc dlc
	s_waitcnt vmcnt(3)
	global_store_b128 v[54:55], v[164:167], off offset:2048 glc slc dlc
	s_waitcnt vmcnt(2)
	global_store_b128 v[54:55], v[176:179], off offset:2560 glc slc dlc
	s_waitcnt vmcnt(1)
	global_store_b128 v[54:55], v[180:183], off offset:3072 glc slc dlc
	s_waitcnt vmcnt(0)
	global_store_b128 v[54:55], v[40:43], off offset:3584 glc slc dlc
	s_or_b32 s13, vcc_lo, s13
	s_delay_alu instid0(SALU_CYCLE_1)
	s_and_not1_b32 exec_lo, exec_lo, s13
	s_cbranch_execnz .LBB16_1009
; %bb.1010:                             ;   in Loop: Header=BB16_927 Depth=2
	s_or_b32 exec_lo, exec_lo, s13
.LBB16_1011:                            ;   in Loop: Header=BB16_927 Depth=2
	s_delay_alu instid0(SALU_CYCLE_1) | instskip(SKIP_4) | instid1(VALU_DEP_2)
	s_or_b32 exec_lo, exec_lo, s12
	v_lshlrev_b32_e32 v50, 12, v36
	v_mov_b32_e32 v36, 0
	s_mov_b32 s12, 0
	s_mov_b32 s28, exec_lo
                                        ; implicit-def: $vgpr54
                                        ; implicit-def: $vgpr55
                                        ; implicit-def: $vgpr130
	v_cmpx_ne_u32_e64 v53, v50
	s_cbranch_execz .LBB16_1020
; %bb.1012:                             ;   in Loop: Header=BB16_927 Depth=2
	v_lshlrev_b32_e32 v4, 5, v64
	v_sub_nc_u32_e32 v36, v53, v50
	s_mov_b32 s29, exec_lo
	s_delay_alu instid0(VALU_DEP_2) | instskip(NEXT) | instid1(VALU_DEP_2)
	v_sub_nc_u32_e32 v4, v81, v4
	v_ashrrev_i32_e32 v51, 31, v36
	s_delay_alu instid0(VALU_DEP_2) | instskip(NEXT) | instid1(VALU_DEP_2)
	v_ashrrev_i32_e32 v5, 31, v4
	v_lshrrev_b32_e32 v51, 23, v51
	s_delay_alu instid0(VALU_DEP_2) | instskip(NEXT) | instid1(VALU_DEP_2)
	v_lshrrev_b32_e32 v5, 27, v5
	v_add_nc_u32_e32 v55, v36, v51
	s_delay_alu instid0(VALU_DEP_2) | instskip(NEXT) | instid1(VALU_DEP_2)
	v_add_nc_u32_e32 v5, v4, v5
	v_and_b32_e32 v51, 0xfffffe00, v55
	v_ashrrev_i32_e32 v55, 9, v55
	s_delay_alu instid0(VALU_DEP_3) | instskip(NEXT) | instid1(VALU_DEP_3)
	v_and_b32_e32 v54, 0xffffffe0, v5
	v_sub_nc_u32_e32 v65, v36, v51
	s_delay_alu instid0(VALU_DEP_2) | instskip(SKIP_1) | instid1(VALU_DEP_3)
	v_sub_nc_u32_e32 v64, v4, v54
	v_ashrrev_i32_e32 v4, 5, v5
	v_cmp_lt_i32_e32 vcc_lo, 15, v65
	s_delay_alu instid0(VALU_DEP_3) | instskip(NEXT) | instid1(VALU_DEP_1)
	v_lshlrev_b32_e32 v5, 4, v64
	v_lshl_add_u32 v54, v4, 9, v5
	v_add_co_ci_u32_e64 v5, s12, 0, v55, vcc_lo
	s_delay_alu instid0(VALU_DEP_2) | instskip(NEXT) | instid1(VALU_DEP_2)
	v_sub_nc_u32_e32 v36, v36, v54
	v_sub_nc_u32_e32 v131, v5, v4
	s_delay_alu instid0(VALU_DEP_2)
	v_cmpx_lt_i32_e32 15, v36
	s_cbranch_execz .LBB16_1017
; %bb.1013:                             ;   in Loop: Header=BB16_927 Depth=2
	s_cbranch_execnz .LBB16_1508
; %bb.1014:                             ;   in Loop: Header=BB16_927 Depth=2
	ds_load_b64 v[4:5], v0
	v_add_nc_u32_e32 v54, v54, v50
	s_mov_b32 vcc_hi, 0
	s_delay_alu instid0(VALU_DEP_1)
	v_ashrrev_i32_e32 v55, 31, v54
.LBB16_1015:                            ;   Parent Loop BB16_93 Depth=1
                                        ;     Parent Loop BB16_927 Depth=2
                                        ; =>    This Inner Loop Header: Depth=3
	s_waitcnt lgkmcnt(0)
	v_add_co_u32 v144, s12, v4, v54
	s_delay_alu instid0(VALU_DEP_1)
	v_add_co_ci_u32_e64 v145, s12, v5, v55, s12
	v_sub_nc_u32_e32 v36, v36, v84
	v_add_co_u32 v54, s13, v54, v99
	global_load_b128 v[132:135], v[144:145], off slc dlc
	v_sub_nc_u32_e32 v131, v131, v82
	v_cmp_gt_i32_e64 s12, 16, v36
	v_add_co_ci_u32_e64 v55, s13, v55, v100, s13
	s_delay_alu instid0(VALU_DEP_2)
	s_or_b32 vcc_hi, s12, vcc_hi
	s_waitcnt vmcnt(0)
	global_store_b128 v[144:145], v[132:135], off glc slc dlc
	s_and_not1_b32 exec_lo, exec_lo, vcc_hi
	s_cbranch_execnz .LBB16_1015
; %bb.1016:                             ;   in Loop: Header=BB16_927 Depth=2
	s_or_b32 exec_lo, exec_lo, vcc_hi
.LBB16_1017:                            ;   in Loop: Header=BB16_927 Depth=2
	s_delay_alu instid0(SALU_CYCLE_1) | instskip(SKIP_4) | instid1(VALU_DEP_2)
	s_or_b32 exec_lo, exec_lo, s29
	v_and_b32_e32 v4, 15, v53
	v_mov_b32_e32 v36, 0
	s_mov_b32 s13, 0
	s_mov_b32 s29, exec_lo
                                        ; implicit-def: $vgpr55
                                        ; implicit-def: $vgpr130
	v_cndmask_b32_e32 v54, v65, v4, vcc_lo
	s_delay_alu instid0(VALU_DEP_1)
	v_cmpx_ne_u32_e32 0, v54
; %bb.1018:                             ;   in Loop: Header=BB16_927 Depth=2
	v_cmp_lt_i32_e64 s12, 0, v131
	v_sub_nc_u32_e32 v4, v65, v4
	s_mov_b32 s13, exec_lo
	s_delay_alu instid0(VALU_DEP_2) | instskip(NEXT) | instid1(VALU_DEP_1)
	v_cndmask_b32_e64 v5, 0, v82, s12
	v_sub_nc_u32_e32 v5, v5, v131
	s_delay_alu instid0(VALU_DEP_1) | instskip(NEXT) | instid1(VALU_DEP_1)
	v_lshl_add_u32 v55, v5, 5, v64
	v_ashrrev_i32_e32 v5, 31, v55
	s_delay_alu instid0(VALU_DEP_1) | instskip(NEXT) | instid1(VALU_DEP_1)
	v_lshrrev_b32_e32 v5, 27, v5
	v_dual_cndmask_b32 v4, 0, v4 :: v_dual_add_nc_u32 v5, v55, v5
	s_delay_alu instid0(VALU_DEP_1) | instskip(NEXT) | instid1(VALU_DEP_2)
	v_add3_u32 v36, v51, v50, v4
	v_ashrrev_i32_e32 v130, 5, v5
; %bb.1019:                             ;   in Loop: Header=BB16_927 Depth=2
	s_or_b32 exec_lo, exec_lo, s29
	s_delay_alu instid0(SALU_CYCLE_1)
	s_and_b32 s12, s13, exec_lo
.LBB16_1020:                            ;   in Loop: Header=BB16_927 Depth=2
	s_or_b32 exec_lo, exec_lo, s28
.LBB16_1021:                            ;   in Loop: Header=BB16_927 Depth=2
	s_and_saveexec_b32 s13, s12
	s_cbranch_execz .LBB16_1033
; %bb.1022:                             ;   in Loop: Header=BB16_927 Depth=2
	s_delay_alu instid0(VALU_DEP_1) | instskip(SKIP_1) | instid1(VALU_DEP_1)
	v_ashrrev_i32_e32 v4, 31, v54
	s_mov_b32 s12, exec_lo
	v_lshrrev_b32_e32 v4, 22, v4
	s_delay_alu instid0(VALU_DEP_1) | instskip(NEXT) | instid1(VALU_DEP_1)
	v_add_nc_u32_e32 v4, v54, v4
	v_ashrrev_i32_e32 v65, 10, v4
	s_delay_alu instid0(VALU_DEP_1) | instskip(NEXT) | instid1(VALU_DEP_1)
	v_sub_nc_u32_e32 v64, v65, v130
	v_cmpx_lt_i32_e32 0, v64
	s_cbranch_execz .LBB16_1027
; %bb.1023:                             ;   in Loop: Header=BB16_927 Depth=2
	s_cbranch_execnz .LBB16_1423
; %bb.1024:                             ;   in Loop: Header=BB16_927 Depth=2
	v_ashrrev_i32_e32 v4, 31, v55
	s_mov_b32 s28, 0
	s_delay_alu instid0(VALU_DEP_1) | instskip(NEXT) | instid1(VALU_DEP_1)
	v_lshrrev_b32_e32 v4, 27, v4
	v_add_nc_u32_e32 v50, v55, v4
	ds_load_b64 v[4:5], v0
	v_lshlrev_b32_e32 v51, 10, v130
	v_and_b32_e32 v50, 0xffffffe0, v50
	s_delay_alu instid0(VALU_DEP_1) | instskip(NEXT) | instid1(VALU_DEP_1)
	v_sub_nc_u32_e32 v50, v55, v50
	v_add3_u32 v130, v36, v50, v51
	s_delay_alu instid0(VALU_DEP_1)
	v_ashrrev_i32_e32 v131, 31, v130
	s_waitcnt lgkmcnt(0)
	v_dual_mov_b32 v51, v5 :: v_dual_mov_b32 v50, v4
.LBB16_1025:                            ;   Parent Loop BB16_93 Depth=1
                                        ;     Parent Loop BB16_927 Depth=2
                                        ; =>    This Inner Loop Header: Depth=3
	s_delay_alu instid0(VALU_DEP_1) | instskip(NEXT) | instid1(VALU_DEP_2)
	v_add_co_u32 v132, vcc_lo, v130, v50
	v_add_co_ci_u32_e32 v133, vcc_lo, v131, v51, vcc_lo
	v_sub_nc_u32_e32 v64, v64, v82
	s_clause 0x1f
	flat_load_u8 v134, v[132:133] slc dlc
	flat_load_u8 v135, v[132:133] offset:32 slc dlc
	flat_load_u8 v144, v[132:133] offset:64 slc dlc
	;; [unrolled: 1-line block ×31, first 2 shown]
	v_add_co_u32 v132, vcc_lo, v130, v4
	v_add_co_ci_u32_e32 v133, vcc_lo, v131, v5, vcc_lo
	v_add_co_u32 v50, vcc_lo, v50, v102
	v_add_co_ci_u32_e32 v51, vcc_lo, v51, v103, vcc_lo
	;; [unrolled: 2-line block ×3, first 2 shown]
	v_cmp_gt_i32_e32 vcc_lo, 1, v64
	s_waitcnt vmcnt(31) lgkmcnt(31)
	flat_store_b8 v[132:133], v134 glc slc dlc
	s_waitcnt vmcnt(30) lgkmcnt(31)
	flat_store_b8 v[132:133], v135 offset:32 glc slc dlc
	s_waitcnt vmcnt(29) lgkmcnt(31)
	flat_store_b8 v[132:133], v144 offset:64 glc slc dlc
	;; [unrolled: 2-line block ×31, first 2 shown]
	s_or_b32 s28, vcc_lo, s28
	s_delay_alu instid0(SALU_CYCLE_1)
	s_and_not1_b32 exec_lo, exec_lo, s28
	s_cbranch_execnz .LBB16_1025
; %bb.1026:                             ;   in Loop: Header=BB16_927 Depth=2
	s_or_b32 exec_lo, exec_lo, s28
.LBB16_1027:                            ;   in Loop: Header=BB16_927 Depth=2
	s_delay_alu instid0(SALU_CYCLE_1) | instskip(SKIP_2) | instid1(VALU_DEP_1)
	s_or_b32 exec_lo, exec_lo, s12
	v_lshlrev_b32_e32 v4, 10, v65
	s_mov_b32 s28, exec_lo
	v_cmpx_ne_u32_e64 v54, v4
	s_cbranch_execz .LBB16_1032
; %bb.1028:                             ;   in Loop: Header=BB16_927 Depth=2
	v_ashrrev_i32_e32 v5, 31, v55
	v_lshlrev_b32_e32 v50, 5, v64
	s_delay_alu instid0(VALU_DEP_2) | instskip(NEXT) | instid1(VALU_DEP_1)
	v_lshrrev_b32_e32 v5, 27, v5
	v_add_nc_u32_e32 v5, v55, v5
	s_delay_alu instid0(VALU_DEP_1) | instskip(NEXT) | instid1(VALU_DEP_1)
	v_and_b32_e32 v5, 0xffffffe0, v5
	v_sub_nc_u32_e32 v5, v55, v5
	s_delay_alu instid0(VALU_DEP_1) | instskip(NEXT) | instid1(VALU_DEP_1)
	v_sub_nc_u32_e32 v5, v5, v50
	v_add_nc_u32_e32 v51, v4, v5
	s_delay_alu instid0(VALU_DEP_1) | instskip(NEXT) | instid1(VALU_DEP_1)
	v_sub_nc_u32_e32 v50, v54, v51
	v_cmp_lt_i32_e32 vcc_lo, 0, v50
	s_and_b32 exec_lo, exec_lo, vcc_lo
	s_cbranch_execz .LBB16_1032
; %bb.1029:                             ;   in Loop: Header=BB16_927 Depth=2
	s_cbranch_execnz .LBB16_1500
; %bb.1030:                             ;   in Loop: Header=BB16_927 Depth=2
	ds_load_b64 v[4:5], v0
	v_add_nc_u32_e32 v36, v51, v36
	s_mov_b32 s29, 0
	s_delay_alu instid0(VALU_DEP_1)
	v_ashrrev_i32_e32 v51, 31, v36
.LBB16_1031:                            ;   Parent Loop BB16_93 Depth=1
                                        ;     Parent Loop BB16_927 Depth=2
                                        ; =>    This Inner Loop Header: Depth=3
	s_waitcnt lgkmcnt(0)
	v_add_co_u32 v54, vcc_lo, v4, v36
	s_delay_alu instid0(VALU_DEP_2)
	v_add_co_ci_u32_e32 v55, vcc_lo, v5, v51, vcc_lo
	v_sub_nc_u32_e32 v50, v50, v98
	v_add_co_u32 v36, s12, v36, v114
	flat_load_u8 v64, v[54:55] slc dlc
	v_add_co_ci_u32_e64 v51, s12, v51, v115, s12
	v_cmp_gt_i32_e32 vcc_lo, 1, v50
	s_or_b32 s29, vcc_lo, s29
	s_waitcnt vmcnt(0) lgkmcnt(0)
	flat_store_b8 v[54:55], v64 glc slc dlc
	s_and_not1_b32 exec_lo, exec_lo, s29
	s_cbranch_execnz .LBB16_1031
.LBB16_1032:                            ;   in Loop: Header=BB16_927 Depth=2
	s_or_b32 exec_lo, exec_lo, s28
.LBB16_1033:                            ;   in Loop: Header=BB16_927 Depth=2
	s_delay_alu instid0(SALU_CYCLE_1)
	s_or_b32 exec_lo, exec_lo, s13
.LBB16_1034:                            ;   in Loop: Header=BB16_927 Depth=2
	s_and_saveexec_b32 s12, s2
	s_cbranch_execz .LBB16_1056
; %bb.1035:                             ;   in Loop: Header=BB16_927 Depth=2
	s_and_saveexec_b32 s13, s3
	s_delay_alu instid0(SALU_CYCLE_1)
	s_xor_b32 s13, exec_lo, s13
	s_cbranch_execz .LBB16_1053
; %bb.1036:                             ;   in Loop: Header=BB16_927 Depth=2
	s_and_saveexec_b32 s28, s1
	s_cbranch_execz .LBB16_1052
; %bb.1037:                             ;   in Loop: Header=BB16_927 Depth=2
	s_mov_b32 vcc_hi, exec_lo
	s_mov_b32 s29, exec_lo
	v_mbcnt_lo_u32_b32 v4, vcc_hi, 0
	s_waitcnt lgkmcnt(0)
	s_waitcnt_vscnt null, 0x0
	buffer_gl1_inv
	buffer_gl0_inv
	v_cmpx_eq_u32_e32 0, v4
	s_cbranch_execz .LBB16_1039
; %bb.1038:                             ;   in Loop: Header=BB16_927 Depth=2
	s_bcnt1_i32_b32 vcc_lo, vcc_hi
	s_delay_alu instid0(SALU_CYCLE_1)
	v_mov_b32_e32 v36, vcc_lo
	ds_add_u64 v0, v[36:37]
	s_cbranch_execnz .LBB16_1486
.LBB16_1039:                            ;   in Loop: Header=BB16_927 Depth=2
	s_or_b32 exec_lo, exec_lo, s29
	s_cbranch_execnz .LBB16_1462
; %bb.1040:                             ;   in Loop: Header=BB16_927 Depth=2
	ds_load_b64 v[4:5], v0
	v_add_co_u32 v28, vcc_lo, v28, v82
	v_add_co_ci_u32_e32 v29, vcc_lo, 0, v29, vcc_lo
	s_mov_b32 s29, exec_lo
	s_waitcnt lgkmcnt(0)
	s_delay_alu instid0(VALU_DEP_1)
	v_cmpx_lt_u64_e64 v[4:5], v[28:29]
	s_cbranch_execz .LBB16_1051
; %bb.1041:                             ;   in Loop: Header=BB16_927 Depth=2
	s_mov_b32 vcc_hi, 0
	s_mov_b32 s34, 0
                                        ; implicit-def: $sgpr30
                                        ; implicit-def: $sgpr31
	s_branch .LBB16_1043
.LBB16_1042:                            ;   in Loop: Header=BB16_1043 Depth=3
	s_or_b32 exec_lo, exec_lo, s36
	s_delay_alu instid0(SALU_CYCLE_1) | instskip(NEXT) | instid1(SALU_CYCLE_1)
	s_and_b32 vcc_lo, exec_lo, vcc_lo
	s_or_b32 vcc_hi, vcc_lo, vcc_hi
	s_and_not1_b32 vcc_lo, s30, exec_lo
	s_and_b32 s30, s31, exec_lo
	s_delay_alu instid0(SALU_CYCLE_1)
	s_or_b32 s30, vcc_lo, s30
	s_and_not1_b32 exec_lo, exec_lo, vcc_hi
	s_cbranch_execz .LBB16_1049
.LBB16_1043:                            ;   Parent Loop BB16_93 Depth=1
                                        ;     Parent Loop BB16_927 Depth=2
                                        ; =>    This Inner Loop Header: Depth=3
	s_add_i32 s34, s34, 1
                                        ; implicit-def: $sgpr36
	s_delay_alu instid0(SALU_CYCLE_1) | instskip(SKIP_1) | instid1(SALU_CYCLE_1)
	s_cmpk_lg_i32 s34, 0x2710
	s_cselect_b32 s35, -1, 0
	s_and_b32 vcc_lo, exec_lo, s35
	s_cbranch_vccz .LBB16_1047
.LBB16_1044:                            ;   in Loop: Header=BB16_1043 Depth=3
	s_and_not1_b32 s31, s31, exec_lo
	s_and_b32 s36, s36, exec_lo
	s_mov_b32 vcc_lo, -1
	s_or_b32 s31, s31, s36
	s_and_saveexec_b32 s36, s35
	s_cbranch_execz .LBB16_1042
; %bb.1045:                             ;   in Loop: Header=BB16_1043 Depth=3
	s_sleep 1
	s_cbranch_execnz .LBB16_1532
; %bb.1046:                             ;   in Loop: Header=BB16_1043 Depth=3
	ds_load_b64 v[4:5], v0
	s_and_not1_b32 s31, s31, exec_lo
	s_waitcnt lgkmcnt(0)
	v_cmp_ge_u64_e32 vcc_lo, v[4:5], v[28:29]
	s_or_not1_b32 vcc_lo, vcc_lo, exec_lo
	s_branch .LBB16_1042
.LBB16_1047:                            ;   in Loop: Header=BB16_1043 Depth=3
	s_cbranch_execnz .LBB16_1544
; %bb.1048:                             ;   in Loop: Header=BB16_1043 Depth=3
	ds_load_b64 v[4:5], v0
	s_and_not1_b32 s35, s35, exec_lo
	s_mov_b32 s34, 0
	s_mov_b32 s36, -1
	s_waitcnt lgkmcnt(0)
	flat_load_b32 v4, v[4:5] glc
	s_waitcnt vmcnt(0) lgkmcnt(0)
	buffer_gl1_inv
	buffer_gl0_inv
	v_cmp_eq_u32_e32 vcc_lo, 0, v4
	s_and_b32 vcc_lo, vcc_lo, exec_lo
	s_delay_alu instid0(SALU_CYCLE_1)
	s_or_b32 s35, s35, vcc_lo
	s_branch .LBB16_1044
.LBB16_1049:                            ;   in Loop: Header=BB16_927 Depth=2
	s_or_b32 exec_lo, exec_lo, vcc_hi
	s_and_saveexec_b32 vcc_lo, s30
	s_delay_alu instid0(SALU_CYCLE_1)
	s_xor_b32 vcc_lo, exec_lo, vcc_lo
	s_cbranch_execz .LBB16_1051
; %bb.1050:                             ;   in Loop: Header=BB16_927 Depth=2
	ds_store_b32 v0, v119
	s_cbranch_execnz .LBB16_1604
.LBB16_1051:                            ;   in Loop: Header=BB16_927 Depth=2
	s_or_b32 exec_lo, exec_lo, s29
	;;#ASMSTART
	s_wakeup
	;;#ASMEND
.LBB16_1052:                            ;   in Loop: Header=BB16_927 Depth=2
	s_or_b32 exec_lo, exec_lo, s28
.LBB16_1053:                            ;   in Loop: Header=BB16_927 Depth=2
	s_and_not1_saveexec_b32 s13, s13
	s_cbranch_execz .LBB16_1055
; %bb.1054:                             ;   in Loop: Header=BB16_927 Depth=2
	s_waitcnt lgkmcnt(0)
	s_waitcnt_vscnt null, 0x0
	buffer_gl1_inv
	buffer_gl0_inv
	s_barrier
.LBB16_1055:                            ;   in Loop: Header=BB16_927 Depth=2
	s_or_b32 exec_lo, exec_lo, s13
.LBB16_1056:                            ;   in Loop: Header=BB16_927 Depth=2
	s_delay_alu instid0(SALU_CYCLE_1) | instskip(SKIP_1) | instid1(SALU_CYCLE_1)
	s_or_b32 exec_lo, exec_lo, s12
	s_and_saveexec_b32 s12, s6
	s_xor_b32 s13, exec_lo, s12
	s_cbranch_execz .LBB16_1060
; %bb.1057:                             ;   in Loop: Header=BB16_927 Depth=2
	v_and_b32_e32 v4, 16, v30
	v_cmp_lt_i32_e32 vcc_lo, 0, v53
	s_delay_alu instid0(VALU_DEP_2) | instskip(NEXT) | instid1(VALU_DEP_1)
	v_cmp_ne_u32_e64 s12, 0, v4
	s_and_b32 s28, s12, vcc_lo
	s_delay_alu instid0(SALU_CYCLE_1)
	s_and_saveexec_b32 s12, s28
	s_cbranch_execz .LBB16_1059
; %bb.1058:                             ;   in Loop: Header=BB16_927 Depth=2
	s_waitcnt lgkmcnt(0)
	s_waitcnt_vscnt null, 0x0
	buffer_gl1_inv
	buffer_gl0_inv
.LBB16_1059:                            ;   in Loop: Header=BB16_927 Depth=2
	s_or_b32 exec_lo, exec_lo, s12
.LBB16_1060:                            ;   in Loop: Header=BB16_927 Depth=2
	s_and_not1_saveexec_b32 s12, s13
	s_cbranch_execz .LBB16_1082
; %bb.1061:                             ;   in Loop: Header=BB16_927 Depth=2
	s_and_saveexec_b32 s13, s3
	s_delay_alu instid0(SALU_CYCLE_1)
	s_xor_b32 s13, exec_lo, s13
	s_cbranch_execz .LBB16_1079
; %bb.1062:                             ;   in Loop: Header=BB16_927 Depth=2
	s_and_saveexec_b32 s28, s1
	s_cbranch_execz .LBB16_1078
; %bb.1063:                             ;   in Loop: Header=BB16_927 Depth=2
	s_mov_b32 vcc_hi, exec_lo
	s_mov_b32 s29, exec_lo
	v_mbcnt_lo_u32_b32 v4, vcc_hi, 0
	;;#ASMSTART
	s_waitcnt lgkmcnt(0) vmcnt(0)
	;;#ASMEND
	s_delay_alu instid0(VALU_DEP_1)
	v_cmpx_eq_u32_e32 0, v4
	s_cbranch_execz .LBB16_1065
; %bb.1064:                             ;   in Loop: Header=BB16_927 Depth=2
	s_bcnt1_i32_b32 vcc_lo, vcc_hi
	s_delay_alu instid0(SALU_CYCLE_1)
	v_mov_b32_e32 v36, vcc_lo
	ds_add_u64 v0, v[36:37]
	s_cbranch_execnz .LBB16_1490
.LBB16_1065:                            ;   in Loop: Header=BB16_927 Depth=2
	s_or_b32 exec_lo, exec_lo, s29
	s_cbranch_execnz .LBB16_1468
; %bb.1066:                             ;   in Loop: Header=BB16_927 Depth=2
	ds_load_b64 v[4:5], v0
	v_add_co_u32 v28, vcc_lo, v28, v82
	v_add_co_ci_u32_e32 v29, vcc_lo, 0, v29, vcc_lo
	s_mov_b32 s29, exec_lo
	s_waitcnt lgkmcnt(0)
	s_delay_alu instid0(VALU_DEP_1)
	v_cmpx_lt_u64_e64 v[4:5], v[28:29]
	s_cbranch_execz .LBB16_1077
; %bb.1067:                             ;   in Loop: Header=BB16_927 Depth=2
	s_mov_b32 vcc_hi, 0
	s_mov_b32 s34, 0
                                        ; implicit-def: $sgpr30
                                        ; implicit-def: $sgpr31
	s_branch .LBB16_1069
.LBB16_1068:                            ;   in Loop: Header=BB16_1069 Depth=3
	s_or_b32 exec_lo, exec_lo, s36
	s_delay_alu instid0(SALU_CYCLE_1) | instskip(NEXT) | instid1(SALU_CYCLE_1)
	s_and_b32 vcc_lo, exec_lo, vcc_lo
	s_or_b32 vcc_hi, vcc_lo, vcc_hi
	s_and_not1_b32 vcc_lo, s30, exec_lo
	s_and_b32 s30, s31, exec_lo
	s_delay_alu instid0(SALU_CYCLE_1)
	s_or_b32 s30, vcc_lo, s30
	s_and_not1_b32 exec_lo, exec_lo, vcc_hi
	s_cbranch_execz .LBB16_1075
.LBB16_1069:                            ;   Parent Loop BB16_93 Depth=1
                                        ;     Parent Loop BB16_927 Depth=2
                                        ; =>    This Inner Loop Header: Depth=3
	s_add_i32 s34, s34, 1
                                        ; implicit-def: $sgpr36
	s_delay_alu instid0(SALU_CYCLE_1) | instskip(SKIP_1) | instid1(SALU_CYCLE_1)
	s_cmpk_lg_i32 s34, 0x2710
	s_cselect_b32 s35, -1, 0
	s_and_b32 vcc_lo, exec_lo, s35
	s_cbranch_vccz .LBB16_1073
.LBB16_1070:                            ;   in Loop: Header=BB16_1069 Depth=3
	s_and_not1_b32 s31, s31, exec_lo
	s_and_b32 s36, s36, exec_lo
	s_mov_b32 vcc_lo, -1
	s_or_b32 s31, s31, s36
	s_and_saveexec_b32 s36, s35
	s_cbranch_execz .LBB16_1068
; %bb.1071:                             ;   in Loop: Header=BB16_1069 Depth=3
	s_sleep 1
	s_cbranch_execnz .LBB16_1538
; %bb.1072:                             ;   in Loop: Header=BB16_1069 Depth=3
	ds_load_b64 v[4:5], v0
	s_and_not1_b32 s31, s31, exec_lo
	s_waitcnt lgkmcnt(0)
	v_cmp_ge_u64_e32 vcc_lo, v[4:5], v[28:29]
	s_or_not1_b32 vcc_lo, vcc_lo, exec_lo
	s_branch .LBB16_1068
.LBB16_1073:                            ;   in Loop: Header=BB16_1069 Depth=3
	s_cbranch_execnz .LBB16_1548
; %bb.1074:                             ;   in Loop: Header=BB16_1069 Depth=3
	ds_load_b64 v[4:5], v0
	s_and_not1_b32 s35, s35, exec_lo
	s_mov_b32 s34, 0
	s_mov_b32 s36, -1
	s_waitcnt lgkmcnt(0)
	s_waitcnt_vscnt null, 0x0
	flat_load_b32 v4, v[4:5] glc
	s_waitcnt vmcnt(0) lgkmcnt(0)
	buffer_gl1_inv
	buffer_gl0_inv
	v_cmp_eq_u32_e32 vcc_lo, 0, v4
	s_and_b32 vcc_lo, vcc_lo, exec_lo
	s_delay_alu instid0(SALU_CYCLE_1)
	s_or_b32 s35, s35, vcc_lo
	s_branch .LBB16_1070
.LBB16_1075:                            ;   in Loop: Header=BB16_927 Depth=2
	s_or_b32 exec_lo, exec_lo, vcc_hi
	s_and_saveexec_b32 vcc_lo, s30
	s_delay_alu instid0(SALU_CYCLE_1)
	s_xor_b32 vcc_lo, exec_lo, vcc_lo
	s_cbranch_execz .LBB16_1077
; %bb.1076:                             ;   in Loop: Header=BB16_927 Depth=2
	ds_store_b32 v0, v119
	s_cbranch_execnz .LBB16_1606
.LBB16_1077:                            ;   in Loop: Header=BB16_927 Depth=2
	s_or_b32 exec_lo, exec_lo, s29
	;;#ASMSTART
	s_wakeup
	;;#ASMEND
.LBB16_1078:                            ;   in Loop: Header=BB16_927 Depth=2
	s_or_b32 exec_lo, exec_lo, s28
.LBB16_1079:                            ;   in Loop: Header=BB16_927 Depth=2
	s_and_not1_saveexec_b32 s13, s13
	s_cbranch_execz .LBB16_1081
; %bb.1080:                             ;   in Loop: Header=BB16_927 Depth=2
	;;#ASMSTART
	s_waitcnt lgkmcnt(0) vmcnt(0)
	;;#ASMEND
	s_waitcnt lgkmcnt(0)
	s_waitcnt_vscnt null, 0x0
	s_barrier
.LBB16_1081:                            ;   in Loop: Header=BB16_927 Depth=2
	s_or_b32 exec_lo, exec_lo, s13
.LBB16_1082:                            ;   in Loop: Header=BB16_927 Depth=2
	s_delay_alu instid0(SALU_CYCLE_1) | instskip(SKIP_2) | instid1(VALU_DEP_1)
	s_or_b32 exec_lo, exec_lo, s12
	v_and_b32_e32 v4, 32, v30
	s_mov_b32 s12, exec_lo
	v_cmpx_ne_u32_e32 0, v4
	s_cbranch_execz .LBB16_1084
; %bb.1083:                             ;   in Loop: Header=BB16_927 Depth=2
	v_add_co_u32 v14, vcc_lo, v14, 2
	v_add_co_ci_u32_e32 v15, vcc_lo, 0, v15, vcc_lo
	s_waitcnt lgkmcnt(0)
	s_waitcnt_vscnt null, 0x0
	flat_store_b64 v[24:25], v[14:15]
.LBB16_1084:                            ;   in Loop: Header=BB16_927 Depth=2
	s_or_b32 exec_lo, exec_lo, s12
	v_add_nc_u32_e32 v52, v129, v52
	s_xor_b32 s12, s16, -1
	v_mov_b32_e32 v4, s17
	s_mov_b32 s16, 0
	s_mov_b32 s17, 2
	v_cmp_ge_i32_e32 vcc_lo, v52, v128
	s_or_b32 s12, s12, vcc_lo
	s_delay_alu instid0(SALU_CYCLE_1) | instskip(NEXT) | instid1(SALU_CYCLE_1)
	s_and_b32 s12, exec_lo, s12
	s_or_b32 s15, s12, s15
	s_delay_alu instid0(SALU_CYCLE_1)
	s_and_not1_b32 exec_lo, exec_lo, s15
	s_cbranch_execnz .LBB16_927
; %bb.1085:                             ;   in Loop: Header=BB16_93 Depth=1
	s_or_b32 exec_lo, exec_lo, s15
.LBB16_1086:                            ;   in Loop: Header=BB16_93 Depth=1
	s_delay_alu instid0(SALU_CYCLE_1) | instskip(NEXT) | instid1(SALU_CYCLE_1)
	s_or_b32 exec_lo, exec_lo, s14
	s_mov_b32 s13, exec_lo
	v_cmpx_gt_i32_e32 2, v4
	s_cbranch_execz .LBB16_1165
; %bb.1087:                             ;   in Loop: Header=BB16_93 Depth=1
	v_cmp_eq_u32_e64 s12, 0, v4
	s_mov_b32 s14, 0
.LBB16_1088:                            ;   Parent Loop BB16_93 Depth=1
                                        ; =>  This Loop Header: Depth=2
                                        ;       Child Loop BB16_1094 Depth 3
                                        ;       Child Loop BB16_1121 Depth 3
	;; [unrolled: 1-line block ×3, first 2 shown]
	v_and_b32_e32 v2, 4, v30
	s_mov_b32 s16, -1
	s_mov_b32 s15, exec_lo
	s_delay_alu instid0(VALU_DEP_1)
	v_cmpx_ne_u32_e32 0, v2
	s_cbranch_execz .LBB16_1102
; %bb.1089:                             ;   in Loop: Header=BB16_1088 Depth=2
	v_add_co_u32 v2, vcc_lo, v14, 2
	v_add_co_ci_u32_e32 v3, vcc_lo, 0, v15, vcc_lo
	v_mov_b32_e32 v4, 1
	s_mov_b32 s16, exec_lo
	s_delay_alu instid0(VALU_DEP_2)
	v_cmpx_lt_u64_e64 v[34:35], v[2:3]
	s_cbranch_execz .LBB16_1101
; %bb.1090:                             ;   in Loop: Header=BB16_1088 Depth=2
	v_mov_b32_e32 v4, 0
	s_mov_b32 s17, 0
                                        ; implicit-def: $sgpr28
	s_branch .LBB16_1094
.LBB16_1091:                            ;   in Loop: Header=BB16_1094 Depth=3
	s_or_b32 exec_lo, exec_lo, s31
	v_mov_b32_e32 v5, 0
	s_or_not1_b32 s30, s30, exec_lo
.LBB16_1092:                            ;   in Loop: Header=BB16_1094 Depth=3
	s_or_b32 exec_lo, exec_lo, vcc_hi
	s_delay_alu instid0(VALU_DEP_1) | instskip(SKIP_2) | instid1(SALU_CYCLE_1)
	v_mov_b32_e32 v4, v5
	s_and_not1_b32 s28, s28, exec_lo
	s_and_b32 vcc_lo, s30, exec_lo
	s_or_b32 s28, s28, vcc_lo
.LBB16_1093:                            ;   in Loop: Header=BB16_1094 Depth=3
	s_or_b32 exec_lo, exec_lo, s29
	s_waitcnt vmcnt(0) lgkmcnt(0)
	v_cmp_ge_u64_e32 vcc_lo, v[34:35], v[2:3]
	s_xor_b32 s29, s28, -1
	s_delay_alu instid0(SALU_CYCLE_1) | instskip(NEXT) | instid1(SALU_CYCLE_1)
	s_or_b32 s29, s29, vcc_lo
	s_and_b32 s29, exec_lo, s29
	s_delay_alu instid0(SALU_CYCLE_1) | instskip(NEXT) | instid1(SALU_CYCLE_1)
	s_or_b32 s17, s29, s17
	s_and_not1_b32 exec_lo, exec_lo, s17
	s_cbranch_execz .LBB16_1100
.LBB16_1094:                            ;   Parent Loop BB16_93 Depth=1
                                        ;     Parent Loop BB16_1088 Depth=2
                                        ; =>    This Inner Loop Header: Depth=3
	s_sleep 1
	flat_load_b64 v[34:35], v[24:25] glc
	v_and_b32_e32 v5, 64, v30
	s_and_not1_b32 s28, s28, exec_lo
	s_mov_b32 s29, exec_lo
	s_delay_alu instid0(VALU_DEP_1)
	v_cmpx_eq_u32_e32 0, v5
	s_cbranch_execz .LBB16_1093
; %bb.1095:                             ;   in Loop: Header=BB16_1094 Depth=3
	v_add_nc_u32_e32 v5, 1, v4
	s_mov_b32 s30, -1
	s_mov_b32 vcc_hi, exec_lo
	v_cmpx_lt_i32_e32 0x270e, v4
	s_cbranch_execz .LBB16_1092
; %bb.1096:                             ;   in Loop: Header=BB16_1094 Depth=3
	s_cbranch_execnz .LBB16_1275
; %bb.1097:                             ;   in Loop: Header=BB16_1094 Depth=3
	ds_load_b64 v[4:5], v0
	s_mov_b32 s31, exec_lo
	s_waitcnt vmcnt(0) lgkmcnt(0)
	s_waitcnt_vscnt null, 0x0
	flat_load_b32 v4, v[4:5] glc
	s_waitcnt vmcnt(0) lgkmcnt(0)
	buffer_gl1_inv
	buffer_gl0_inv
	v_cmpx_ne_u32_e32 0, v4
	s_cbranch_execz .LBB16_1091
; %bb.1098:                             ;   in Loop: Header=BB16_1094 Depth=3
	ds_store_b32 v0, v4
	s_cbranch_execnz .LBB16_1319
; %bb.1099:                             ;   in Loop: Header=BB16_1094 Depth=3
	v_or_b32_e32 v30, 64, v30
	s_xor_b32 s30, exec_lo, -1
	s_branch .LBB16_1091
.LBB16_1100:                            ;   in Loop: Header=BB16_1088 Depth=2
	s_or_b32 exec_lo, exec_lo, s17
	v_and_b32_e32 v4, 4, v30
.LBB16_1101:                            ;   in Loop: Header=BB16_1088 Depth=2
	s_or_b32 exec_lo, exec_lo, s16
	s_delay_alu instid0(VALU_DEP_1)
	v_cmp_eq_u32_e32 vcc_lo, 0, v4
	;;#ASMSTART
	s_wakeup
	;;#ASMEND
	s_or_not1_b32 s16, vcc_lo, exec_lo
.LBB16_1102:                            ;   in Loop: Header=BB16_1088 Depth=2
	s_or_b32 exec_lo, exec_lo, s15
	s_xor_b32 s12, s12, -1
	s_delay_alu instid0(SALU_CYCLE_1) | instskip(NEXT) | instid1(SALU_CYCLE_1)
	s_and_b32 s12, exec_lo, s12
	s_or_b32 s14, s12, s14
	s_xor_b32 s12, s16, -1
	s_delay_alu instid0(SALU_CYCLE_1)
	s_and_saveexec_b32 s15, s12
	s_cbranch_execz .LBB16_1112
; %bb.1103:                             ;   in Loop: Header=BB16_1088 Depth=2
	v_and_b32_e32 v2, 0x100, v30
	v_and_b32_e32 v36, 7, v14
	s_mov_b32 s12, -1
	s_delay_alu instid0(VALU_DEP_2)
	v_cmp_ne_u32_e32 vcc_lo, 0, v2
                                        ; implicit-def: $vgpr2_vgpr3
	s_and_saveexec_b32 s16, vcc_lo
	s_cbranch_execz .LBB16_1107
; %bb.1104:                             ;   in Loop: Header=BB16_1088 Depth=2
	v_mad_u64_u32 v[4:5], null, v36, 24, v[12:13]
	flat_load_b32 v2, v[4:5]
	s_waitcnt vmcnt(0) lgkmcnt(0)
	v_cmp_ne_u32_e32 vcc_lo, 1, v2
	v_cmp_eq_u32_e64 s12, 1, v2
                                        ; implicit-def: $vgpr2_vgpr3
	s_delay_alu instid0(VALU_DEP_1)
	s_and_saveexec_b32 s17, s12
	s_cbranch_execz .LBB16_1106
; %bb.1105:                             ;   in Loop: Header=BB16_1088 Depth=2
	flat_load_b32 v2, v[4:5] offset:4 glc
	s_waitcnt vmcnt(0) lgkmcnt(0)
	v_ashrrev_i32_e32 v3, 31, v2
.LBB16_1106:                            ;   in Loop: Header=BB16_1088 Depth=2
	s_or_b32 exec_lo, exec_lo, s17
	s_delay_alu instid0(SALU_CYCLE_1)
	s_or_not1_b32 s12, vcc_lo, exec_lo
.LBB16_1107:                            ;   in Loop: Header=BB16_1088 Depth=2
	s_or_b32 exec_lo, exec_lo, s16
	s_and_saveexec_b32 s16, s12
; %bb.1108:                             ;   in Loop: Header=BB16_1088 Depth=2
	v_mad_i64_i32 v[2:3], null, v36, v68, 0
; %bb.1109:                             ;   in Loop: Header=BB16_1088 Depth=2
	s_or_b32 exec_lo, exec_lo, s16
	s_delay_alu instid0(VALU_DEP_1) | instskip(SKIP_1) | instid1(VALU_DEP_3)
	v_add_co_u32 v2, vcc_lo, v26, v2
	v_and_b32_e32 v4, 0x2000, v30
	v_add_co_ci_u32_e32 v3, vcc_lo, v27, v3, vcc_lo
	s_mov_b32 s12, exec_lo
	ds_store_b64 v0, v[2:3] offset:720
	v_cmpx_ne_u32_e32 0, v4
	s_cbranch_execz .LBB16_1111
; %bb.1110:                             ;   in Loop: Header=BB16_1088 Depth=2
	ds_load_b64 v[2:3], v0 offset:584
	s_waitcnt lgkmcnt(0)
	v_add_co_u32 v2, vcc_lo, v2, 1
	v_add_co_ci_u32_e32 v3, vcc_lo, 0, v3, vcc_lo
	ds_store_b64 v0, v[2:3] offset:584
.LBB16_1111:                            ;   in Loop: Header=BB16_1088 Depth=2
	s_or_b32 exec_lo, exec_lo, s12
	v_add_co_u32 v14, vcc_lo, v14, 2
	v_add_co_ci_u32_e32 v15, vcc_lo, 0, v15, vcc_lo
.LBB16_1112:                            ;   in Loop: Header=BB16_1088 Depth=2
	s_or_b32 exec_lo, exec_lo, s15
	s_and_saveexec_b32 s12, s2
	s_cbranch_execz .LBB16_1134
; %bb.1113:                             ;   in Loop: Header=BB16_1088 Depth=2
	s_and_saveexec_b32 s15, s3
	s_delay_alu instid0(SALU_CYCLE_1)
	s_xor_b32 s15, exec_lo, s15
	s_cbranch_execz .LBB16_1131
; %bb.1114:                             ;   in Loop: Header=BB16_1088 Depth=2
	s_and_saveexec_b32 s16, s1
	s_cbranch_execz .LBB16_1130
; %bb.1115:                             ;   in Loop: Header=BB16_1088 Depth=2
	s_mov_b32 s28, exec_lo
	s_mov_b32 s17, exec_lo
	v_mbcnt_lo_u32_b32 v2, s28, 0
	s_waitcnt lgkmcnt(0)
	s_waitcnt_vscnt null, 0x0
	buffer_gl1_inv
	buffer_gl0_inv
	v_cmpx_eq_u32_e32 0, v2
	s_cbranch_execz .LBB16_1117
; %bb.1116:                             ;   in Loop: Header=BB16_1088 Depth=2
	s_bcnt1_i32_b32 s28, s28
	s_delay_alu instid0(SALU_CYCLE_1)
	v_mov_b32_e32 v36, s28
	ds_add_u64 v0, v[36:37]
	s_cbranch_execnz .LBB16_1349
.LBB16_1117:                            ;   in Loop: Header=BB16_1088 Depth=2
	s_or_b32 exec_lo, exec_lo, s17
	s_cbranch_execnz .LBB16_1329
; %bb.1118:                             ;   in Loop: Header=BB16_1088 Depth=2
	ds_load_b64 v[2:3], v0
	v_add_co_u32 v28, vcc_lo, v28, v82
	v_add_co_ci_u32_e32 v29, vcc_lo, 0, v29, vcc_lo
	s_mov_b32 s17, exec_lo
	s_waitcnt lgkmcnt(0)
	s_delay_alu instid0(VALU_DEP_1)
	v_cmpx_lt_u64_e64 v[2:3], v[28:29]
	s_cbranch_execz .LBB16_1129
; %bb.1119:                             ;   in Loop: Header=BB16_1088 Depth=2
	s_mov_b32 s28, 0
	s_mov_b32 s30, 0
                                        ; implicit-def: $sgpr29
                                        ; implicit-def: $vcc_hi
	s_branch .LBB16_1121
.LBB16_1120:                            ;   in Loop: Header=BB16_1121 Depth=3
	s_or_b32 exec_lo, exec_lo, s34
	s_delay_alu instid0(SALU_CYCLE_1) | instskip(NEXT) | instid1(SALU_CYCLE_1)
	s_and_b32 vcc_lo, exec_lo, vcc_lo
	s_or_b32 s28, vcc_lo, s28
	s_and_not1_b32 s29, s29, exec_lo
	s_and_b32 vcc_lo, vcc_hi, exec_lo
	s_delay_alu instid0(SALU_CYCLE_1)
	s_or_b32 s29, s29, vcc_lo
	s_and_not1_b32 exec_lo, exec_lo, s28
	s_cbranch_execz .LBB16_1127
.LBB16_1121:                            ;   Parent Loop BB16_93 Depth=1
                                        ;     Parent Loop BB16_1088 Depth=2
                                        ; =>    This Inner Loop Header: Depth=3
	s_add_i32 s30, s30, 1
                                        ; implicit-def: $sgpr34
	s_delay_alu instid0(SALU_CYCLE_1) | instskip(SKIP_1) | instid1(SALU_CYCLE_1)
	s_cmpk_lg_i32 s30, 0x2710
	s_cselect_b32 s31, -1, 0
	s_and_b32 vcc_lo, exec_lo, s31
	s_cbranch_vccz .LBB16_1125
.LBB16_1122:                            ;   in Loop: Header=BB16_1121 Depth=3
	s_and_not1_b32 vcc_hi, vcc_hi, exec_lo
	s_and_b32 s34, s34, exec_lo
	s_mov_b32 vcc_lo, -1
	s_or_b32 vcc_hi, vcc_hi, s34
	s_and_saveexec_b32 s34, s31
	s_cbranch_execz .LBB16_1120
; %bb.1123:                             ;   in Loop: Header=BB16_1121 Depth=3
	s_sleep 1
	s_cbranch_execnz .LBB16_1401
; %bb.1124:                             ;   in Loop: Header=BB16_1121 Depth=3
	ds_load_b64 v[2:3], v0
	s_waitcnt lgkmcnt(0)
	v_cmp_ge_u64_e32 vcc_lo, v[2:3], v[28:29]
	s_and_not1_b32 vcc_hi, vcc_hi, exec_lo
	s_or_not1_b32 vcc_lo, vcc_lo, exec_lo
	s_branch .LBB16_1120
.LBB16_1125:                            ;   in Loop: Header=BB16_1121 Depth=3
	s_cbranch_execnz .LBB16_1421
; %bb.1126:                             ;   in Loop: Header=BB16_1121 Depth=3
	ds_load_b64 v[2:3], v0
	s_and_not1_b32 s31, s31, exec_lo
	s_mov_b32 s30, 0
	s_mov_b32 s34, -1
	s_waitcnt lgkmcnt(0)
	flat_load_b32 v2, v[2:3] glc
	s_waitcnt vmcnt(0) lgkmcnt(0)
	buffer_gl1_inv
	buffer_gl0_inv
	v_cmp_eq_u32_e32 vcc_lo, 0, v2
	s_and_b32 vcc_lo, vcc_lo, exec_lo
	s_delay_alu instid0(SALU_CYCLE_1)
	s_or_b32 s31, s31, vcc_lo
	s_branch .LBB16_1122
.LBB16_1127:                            ;   in Loop: Header=BB16_1088 Depth=2
	s_or_b32 exec_lo, exec_lo, s28
	s_and_saveexec_b32 s28, s29
	s_delay_alu instid0(SALU_CYCLE_1)
	s_xor_b32 s28, exec_lo, s28
	s_cbranch_execz .LBB16_1129
; %bb.1128:                             ;   in Loop: Header=BB16_1088 Depth=2
	ds_store_b32 v0, v119
	s_cbranch_execnz .LBB16_1576
.LBB16_1129:                            ;   in Loop: Header=BB16_1088 Depth=2
	s_or_b32 exec_lo, exec_lo, s17
	;;#ASMSTART
	s_wakeup
	;;#ASMEND
.LBB16_1130:                            ;   in Loop: Header=BB16_1088 Depth=2
	s_or_b32 exec_lo, exec_lo, s16
.LBB16_1131:                            ;   in Loop: Header=BB16_1088 Depth=2
	s_and_not1_saveexec_b32 s15, s15
	s_cbranch_execz .LBB16_1133
; %bb.1132:                             ;   in Loop: Header=BB16_1088 Depth=2
	s_waitcnt lgkmcnt(0)
	s_waitcnt_vscnt null, 0x0
	buffer_gl1_inv
	buffer_gl0_inv
	s_barrier
.LBB16_1133:                            ;   in Loop: Header=BB16_1088 Depth=2
	s_or_b32 exec_lo, exec_lo, s15
.LBB16_1134:                            ;   in Loop: Header=BB16_1088 Depth=2
	s_delay_alu instid0(SALU_CYCLE_1) | instskip(SKIP_1) | instid1(VALU_DEP_1)
	s_or_b32 exec_lo, exec_lo, s12
	v_sub_nc_u32_e32 v2, v128, v52
	v_min_i32_e32 v129, v129, v2
	s_and_saveexec_b32 s12, s6
	s_delay_alu instid0(SALU_CYCLE_1)
	s_xor_b32 s15, exec_lo, s12
	s_cbranch_execz .LBB16_1139
; %bb.1135:                             ;   in Loop: Header=BB16_1088 Depth=2
	s_cbranch_execnz .LBB16_1273
; %bb.1136:                             ;   in Loop: Header=BB16_1088 Depth=2
	ds_load_b32 v2, v0
	v_cmp_lt_i32_e32 vcc_lo, 0, v129
	s_waitcnt lgkmcnt(0)
	v_readfirstlane_b32 s12, v2
	v_and_b32_e32 v2, 16, v30
	s_delay_alu instid0(VALU_DEP_2) | instskip(NEXT) | instid1(VALU_DEP_1)
	s_cmp_eq_u32 s12, 0
	v_cmp_ne_u32_e64 s12, 0, v2
	s_cselect_b32 s16, -1, 0
	s_delay_alu instid0(SALU_CYCLE_1)
	s_and_b32 s16, vcc_lo, s16
	s_delay_alu instid0(VALU_DEP_1) | instid1(SALU_CYCLE_1)
	s_and_b32 s16, s12, s16
	s_delay_alu instid0(SALU_CYCLE_1)
	s_and_saveexec_b32 s12, s16
	s_cbranch_execz .LBB16_1138
; %bb.1137:                             ;   in Loop: Header=BB16_1088 Depth=2
	s_waitcnt_vscnt null, 0x0
	buffer_gl1_inv
	buffer_gl0_inv
.LBB16_1138:                            ;   in Loop: Header=BB16_1088 Depth=2
	s_or_b32 exec_lo, exec_lo, s12
.LBB16_1139:                            ;   in Loop: Header=BB16_1088 Depth=2
	s_and_not1_saveexec_b32 s12, s15
	s_cbranch_execz .LBB16_1161
; %bb.1140:                             ;   in Loop: Header=BB16_1088 Depth=2
	s_and_saveexec_b32 s15, s3
	s_delay_alu instid0(SALU_CYCLE_1)
	s_xor_b32 s15, exec_lo, s15
	s_cbranch_execz .LBB16_1158
; %bb.1141:                             ;   in Loop: Header=BB16_1088 Depth=2
	s_and_saveexec_b32 s16, s1
	s_cbranch_execz .LBB16_1157
; %bb.1142:                             ;   in Loop: Header=BB16_1088 Depth=2
	s_mov_b32 s28, exec_lo
	s_mov_b32 s17, exec_lo
	v_mbcnt_lo_u32_b32 v2, s28, 0
	;;#ASMSTART
	s_waitcnt lgkmcnt(0) vmcnt(0)
	;;#ASMEND
	s_delay_alu instid0(VALU_DEP_1)
	v_cmpx_eq_u32_e32 0, v2
	s_cbranch_execz .LBB16_1144
; %bb.1143:                             ;   in Loop: Header=BB16_1088 Depth=2
	s_bcnt1_i32_b32 s28, s28
	s_delay_alu instid0(SALU_CYCLE_1)
	v_mov_b32_e32 v36, s28
	ds_add_u64 v0, v[36:37]
	s_cbranch_execnz .LBB16_1371
.LBB16_1144:                            ;   in Loop: Header=BB16_1088 Depth=2
	s_or_b32 exec_lo, exec_lo, s17
	s_cbranch_execnz .LBB16_1347
; %bb.1145:                             ;   in Loop: Header=BB16_1088 Depth=2
	ds_load_b64 v[2:3], v0
	v_add_co_u32 v28, vcc_lo, v28, v82
	v_add_co_ci_u32_e32 v29, vcc_lo, 0, v29, vcc_lo
	s_mov_b32 s17, exec_lo
	s_waitcnt lgkmcnt(0)
	s_delay_alu instid0(VALU_DEP_1)
	v_cmpx_lt_u64_e64 v[2:3], v[28:29]
	s_cbranch_execz .LBB16_1156
; %bb.1146:                             ;   in Loop: Header=BB16_1088 Depth=2
	s_mov_b32 s28, 0
	s_mov_b32 s30, 0
                                        ; implicit-def: $sgpr29
                                        ; implicit-def: $vcc_hi
	s_branch .LBB16_1148
.LBB16_1147:                            ;   in Loop: Header=BB16_1148 Depth=3
	s_or_b32 exec_lo, exec_lo, s34
	s_delay_alu instid0(SALU_CYCLE_1) | instskip(NEXT) | instid1(SALU_CYCLE_1)
	s_and_b32 vcc_lo, exec_lo, vcc_lo
	s_or_b32 s28, vcc_lo, s28
	s_and_not1_b32 s29, s29, exec_lo
	s_and_b32 vcc_lo, vcc_hi, exec_lo
	s_delay_alu instid0(SALU_CYCLE_1)
	s_or_b32 s29, s29, vcc_lo
	s_and_not1_b32 exec_lo, exec_lo, s28
	s_cbranch_execz .LBB16_1154
.LBB16_1148:                            ;   Parent Loop BB16_93 Depth=1
                                        ;     Parent Loop BB16_1088 Depth=2
                                        ; =>    This Inner Loop Header: Depth=3
	s_add_i32 s30, s30, 1
                                        ; implicit-def: $sgpr34
	s_delay_alu instid0(SALU_CYCLE_1) | instskip(SKIP_1) | instid1(SALU_CYCLE_1)
	s_cmpk_lg_i32 s30, 0x2710
	s_cselect_b32 s31, -1, 0
	s_and_b32 vcc_lo, exec_lo, s31
	s_cbranch_vccz .LBB16_1152
.LBB16_1149:                            ;   in Loop: Header=BB16_1148 Depth=3
	s_and_not1_b32 vcc_hi, vcc_hi, exec_lo
	s_and_b32 s34, s34, exec_lo
	s_mov_b32 vcc_lo, -1
	s_or_b32 vcc_hi, vcc_hi, s34
	s_and_saveexec_b32 s34, s31
	s_cbranch_execz .LBB16_1147
; %bb.1150:                             ;   in Loop: Header=BB16_1148 Depth=3
	s_sleep 1
	s_cbranch_execnz .LBB16_1433
; %bb.1151:                             ;   in Loop: Header=BB16_1148 Depth=3
	ds_load_b64 v[2:3], v0
	s_waitcnt lgkmcnt(0)
	v_cmp_ge_u64_e32 vcc_lo, v[2:3], v[28:29]
	s_and_not1_b32 vcc_hi, vcc_hi, exec_lo
	s_or_not1_b32 vcc_lo, vcc_lo, exec_lo
	s_branch .LBB16_1147
.LBB16_1152:                            ;   in Loop: Header=BB16_1148 Depth=3
	s_cbranch_execnz .LBB16_1466
; %bb.1153:                             ;   in Loop: Header=BB16_1148 Depth=3
	ds_load_b64 v[2:3], v0
	s_and_not1_b32 s31, s31, exec_lo
	s_mov_b32 s30, 0
	s_mov_b32 s34, -1
	s_waitcnt lgkmcnt(0)
	s_waitcnt_vscnt null, 0x0
	flat_load_b32 v2, v[2:3] glc
	s_waitcnt vmcnt(0) lgkmcnt(0)
	buffer_gl1_inv
	buffer_gl0_inv
	v_cmp_eq_u32_e32 vcc_lo, 0, v2
	s_and_b32 vcc_lo, vcc_lo, exec_lo
	s_delay_alu instid0(SALU_CYCLE_1)
	s_or_b32 s31, s31, vcc_lo
	s_branch .LBB16_1149
.LBB16_1154:                            ;   in Loop: Header=BB16_1088 Depth=2
	s_or_b32 exec_lo, exec_lo, s28
	s_and_saveexec_b32 s28, s29
	s_delay_alu instid0(SALU_CYCLE_1)
	s_xor_b32 s28, exec_lo, s28
	s_cbranch_execz .LBB16_1156
; %bb.1155:                             ;   in Loop: Header=BB16_1088 Depth=2
	ds_store_b32 v0, v119
	s_cbranch_execnz .LBB16_1588
.LBB16_1156:                            ;   in Loop: Header=BB16_1088 Depth=2
	s_or_b32 exec_lo, exec_lo, s17
	;;#ASMSTART
	s_wakeup
	;;#ASMEND
.LBB16_1157:                            ;   in Loop: Header=BB16_1088 Depth=2
	s_or_b32 exec_lo, exec_lo, s16
.LBB16_1158:                            ;   in Loop: Header=BB16_1088 Depth=2
	s_and_not1_saveexec_b32 s15, s15
	s_cbranch_execz .LBB16_1160
; %bb.1159:                             ;   in Loop: Header=BB16_1088 Depth=2
	;;#ASMSTART
	s_waitcnt lgkmcnt(0) vmcnt(0)
	;;#ASMEND
	s_waitcnt lgkmcnt(0)
	s_waitcnt_vscnt null, 0x0
	s_barrier
.LBB16_1160:                            ;   in Loop: Header=BB16_1088 Depth=2
	s_or_b32 exec_lo, exec_lo, s15
.LBB16_1161:                            ;   in Loop: Header=BB16_1088 Depth=2
	s_delay_alu instid0(SALU_CYCLE_1) | instskip(SKIP_2) | instid1(VALU_DEP_1)
	s_or_b32 exec_lo, exec_lo, s12
	v_and_b32_e32 v2, 32, v30
	s_mov_b32 s12, exec_lo
	v_cmpx_ne_u32_e32 0, v2
	s_cbranch_execz .LBB16_1163
; %bb.1162:                             ;   in Loop: Header=BB16_1088 Depth=2
	v_add_co_u32 v14, vcc_lo, v14, 2
	v_add_co_ci_u32_e32 v15, vcc_lo, 0, v15, vcc_lo
	s_waitcnt lgkmcnt(0)
	s_waitcnt_vscnt null, 0x0
	flat_store_b64 v[24:25], v[14:15]
.LBB16_1163:                            ;   in Loop: Header=BB16_1088 Depth=2
	s_or_b32 exec_lo, exec_lo, s12
	v_add_nc_u32_e32 v52, v129, v52
	s_mov_b32 s12, 0
	s_and_not1_b32 exec_lo, exec_lo, s14
	s_cbranch_execnz .LBB16_1088
; %bb.1164:                             ;   in Loop: Header=BB16_93 Depth=1
	s_or_b32 exec_lo, exec_lo, s14
.LBB16_1165:                            ;   in Loop: Header=BB16_93 Depth=1
	s_delay_alu instid0(SALU_CYCLE_1) | instskip(SKIP_2) | instid1(VALU_DEP_1)
	s_or_b32 exec_lo, exec_lo, s13
	v_add_co_u32 v48, vcc_lo, v48, v70
	v_add_co_ci_u32_e32 v49, vcc_lo, 0, v49, vcc_lo
	v_cmp_ge_u64_e32 vcc_lo, v[48:49], v[6:7]
	s_or_b32 s22, vcc_lo, s22
	s_delay_alu instid0(SALU_CYCLE_1)
	s_and_not1_b32 exec_lo, exec_lo, s22
	s_cbranch_execnz .LBB16_93
; %bb.1166:
	s_or_b32 exec_lo, exec_lo, s22
.LBB16_1167:
	s_delay_alu instid0(SALU_CYCLE_1)
	s_or_b32 exec_lo, exec_lo, s20
; %bb.1168:
	v_and_b32_e32 v0, 0x800, v30
	s_mov_b32 s0, exec_lo
	s_delay_alu instid0(VALU_DEP_1)
	v_cmpx_eq_u32_e32 0, v0
	s_cbranch_execz .LBB16_1457
; %bb.1169:
	v_and_b32_e32 v0, 48, v30
	s_mov_b32 s1, exec_lo
	s_delay_alu instid0(VALU_DEP_1)
	v_cmpx_ne_u32_e32 0, v0
	s_cbranch_execz .LBB16_1171
; %bb.1170:
	flat_store_b64 v[22:23], v[14:15] offset:104
.LBB16_1171:
	s_or_b32 exec_lo, exec_lo, s1
	v_and_b32_e32 v0, 0x88, v30
	s_mov_b32 s1, exec_lo
	s_delay_alu instid0(VALU_DEP_1)
	v_cmpx_eq_u32_e32 0x88, v0
	s_cbranch_execz .LBB16_1209
; %bb.1172:
	v_add_nc_u32_e32 v0, 6, v14
	s_mov_b32 s2, 0
                                        ; implicit-def: $sgpr3
	s_delay_alu instid0(VALU_DEP_1) | instskip(NEXT) | instid1(VALU_DEP_1)
	v_and_b32_e32 v0, 7, v0
	v_mad_u64_u32 v[2:3], null, v0, 24, v[12:13]
	v_mov_b32_e32 v0, 0
	s_delay_alu instid0(VALU_DEP_2) | instskip(NEXT) | instid1(VALU_DEP_3)
	v_add_co_u32 v2, vcc_lo, v2, 8
	v_add_co_ci_u32_e32 v3, vcc_lo, 0, v3, vcc_lo
	s_branch .LBB16_1199
.LBB16_1173:
	s_trap 2
	s_sendmsg_rtn_b32 s0, sendmsg(MSG_RTN_GET_DOORBELL)
	s_mov_b32 ttmp2, m0
	s_waitcnt lgkmcnt(0)
	s_and_b32 s0, s0, 0x3ff
	s_delay_alu instid0(SALU_CYCLE_1) | instskip(NEXT) | instid1(SALU_CYCLE_1)
	s_bitset1_b32 s0, 10
	s_mov_b32 m0, s0
	s_sendmsg sendmsg(MSG_INTERRUPT)
	s_mov_b32 m0, ttmp2
.LBB16_1174:                            ; =>This Inner Loop Header: Depth=1
	s_sethalt 5
	s_branch .LBB16_1174
.LBB16_1175:
	s_trap 2
	s_sendmsg_rtn_b32 s0, sendmsg(MSG_RTN_GET_DOORBELL)
	s_mov_b32 ttmp2, m0
	s_waitcnt lgkmcnt(0)
	s_and_b32 s0, s0, 0x3ff
	s_delay_alu instid0(SALU_CYCLE_1) | instskip(NEXT) | instid1(SALU_CYCLE_1)
	s_bitset1_b32 s0, 10
	s_mov_b32 m0, s0
	s_sendmsg sendmsg(MSG_INTERRUPT)
	s_mov_b32 m0, ttmp2
.LBB16_1176:                            ; =>This Inner Loop Header: Depth=1
	s_sethalt 5
	s_branch .LBB16_1176
.LBB16_1177:
	s_trap 2
	s_sendmsg_rtn_b32 s0, sendmsg(MSG_RTN_GET_DOORBELL)
	s_mov_b32 ttmp2, m0
	s_waitcnt lgkmcnt(0)
	s_and_b32 s0, s0, 0x3ff
	s_delay_alu instid0(SALU_CYCLE_1) | instskip(NEXT) | instid1(SALU_CYCLE_1)
	s_bitset1_b32 s0, 10
	s_mov_b32 m0, s0
	s_sendmsg sendmsg(MSG_INTERRUPT)
	s_mov_b32 m0, ttmp2
.LBB16_1178:                            ; =>This Inner Loop Header: Depth=1
	s_sethalt 5
	s_branch .LBB16_1178
.LBB16_1179:
	s_trap 2
	s_sendmsg_rtn_b32 s0, sendmsg(MSG_RTN_GET_DOORBELL)
	s_mov_b32 ttmp2, m0
	s_waitcnt lgkmcnt(0)
	s_and_b32 s0, s0, 0x3ff
	s_delay_alu instid0(SALU_CYCLE_1) | instskip(NEXT) | instid1(SALU_CYCLE_1)
	s_bitset1_b32 s0, 10
	s_mov_b32 m0, s0
	s_sendmsg sendmsg(MSG_INTERRUPT)
	s_mov_b32 m0, ttmp2
.LBB16_1180:                            ; =>This Inner Loop Header: Depth=1
	s_sethalt 5
	s_branch .LBB16_1180
.LBB16_1181:
	s_trap 2
	s_sendmsg_rtn_b32 s0, sendmsg(MSG_RTN_GET_DOORBELL)
	s_mov_b32 ttmp2, m0
	s_waitcnt lgkmcnt(0)
	s_and_b32 s0, s0, 0x3ff
	s_delay_alu instid0(SALU_CYCLE_1) | instskip(NEXT) | instid1(SALU_CYCLE_1)
	s_bitset1_b32 s0, 10
	s_mov_b32 m0, s0
	s_sendmsg sendmsg(MSG_INTERRUPT)
	s_mov_b32 m0, ttmp2
.LBB16_1182:                            ; =>This Inner Loop Header: Depth=1
	s_sethalt 5
	s_branch .LBB16_1182
.LBB16_1183:
	s_trap 2
	s_sendmsg_rtn_b32 s0, sendmsg(MSG_RTN_GET_DOORBELL)
	s_mov_b32 ttmp2, m0
	s_waitcnt lgkmcnt(0)
	s_and_b32 s0, s0, 0x3ff
	s_delay_alu instid0(SALU_CYCLE_1) | instskip(NEXT) | instid1(SALU_CYCLE_1)
	s_bitset1_b32 s0, 10
	s_mov_b32 m0, s0
	s_sendmsg sendmsg(MSG_INTERRUPT)
	s_mov_b32 m0, ttmp2
.LBB16_1184:                            ; =>This Inner Loop Header: Depth=1
	s_sethalt 5
	s_branch .LBB16_1184
.LBB16_1185:
	s_trap 2
	s_sendmsg_rtn_b32 s0, sendmsg(MSG_RTN_GET_DOORBELL)
	s_mov_b32 ttmp2, m0
	s_waitcnt lgkmcnt(0)
	s_and_b32 s0, s0, 0x3ff
	s_delay_alu instid0(SALU_CYCLE_1) | instskip(NEXT) | instid1(SALU_CYCLE_1)
	s_bitset1_b32 s0, 10
	s_mov_b32 m0, s0
	s_sendmsg sendmsg(MSG_INTERRUPT)
	s_mov_b32 m0, ttmp2
.LBB16_1186:                            ; =>This Inner Loop Header: Depth=1
	s_sethalt 5
	s_branch .LBB16_1186
.LBB16_1187:
	s_trap 2
	s_sendmsg_rtn_b32 s0, sendmsg(MSG_RTN_GET_DOORBELL)
	s_mov_b32 ttmp2, m0
	s_waitcnt lgkmcnt(0)
	s_and_b32 s0, s0, 0x3ff
	s_delay_alu instid0(SALU_CYCLE_1) | instskip(NEXT) | instid1(SALU_CYCLE_1)
	s_bitset1_b32 s0, 10
	s_mov_b32 m0, s0
	s_sendmsg sendmsg(MSG_INTERRUPT)
	s_mov_b32 m0, ttmp2
.LBB16_1188:                            ; =>This Inner Loop Header: Depth=1
	s_sethalt 5
	s_branch .LBB16_1188
.LBB16_1189:
	s_trap 2
	s_sendmsg_rtn_b32 s0, sendmsg(MSG_RTN_GET_DOORBELL)
	s_mov_b32 ttmp2, m0
	s_waitcnt lgkmcnt(0)
	s_and_b32 s0, s0, 0x3ff
	s_delay_alu instid0(SALU_CYCLE_1) | instskip(NEXT) | instid1(SALU_CYCLE_1)
	s_bitset1_b32 s0, 10
	s_mov_b32 m0, s0
	s_sendmsg sendmsg(MSG_INTERRUPT)
	s_mov_b32 m0, ttmp2
.LBB16_1190:                            ; =>This Inner Loop Header: Depth=1
	s_sethalt 5
	s_branch .LBB16_1190
.LBB16_1191:
	s_trap 2
	s_sendmsg_rtn_b32 s0, sendmsg(MSG_RTN_GET_DOORBELL)
	s_mov_b32 ttmp2, m0
	s_waitcnt lgkmcnt(0)
	s_and_b32 s0, s0, 0x3ff
	s_delay_alu instid0(SALU_CYCLE_1) | instskip(NEXT) | instid1(SALU_CYCLE_1)
	s_bitset1_b32 s0, 10
	s_mov_b32 m0, s0
	s_sendmsg sendmsg(MSG_INTERRUPT)
	s_mov_b32 m0, ttmp2
.LBB16_1192:                            ; =>This Inner Loop Header: Depth=1
	s_sethalt 5
	s_branch .LBB16_1192
.LBB16_1193:
	s_trap 2
	s_sendmsg_rtn_b32 s0, sendmsg(MSG_RTN_GET_DOORBELL)
	s_mov_b32 ttmp2, m0
	s_waitcnt lgkmcnt(0)
	s_and_b32 s0, s0, 0x3ff
	s_delay_alu instid0(SALU_CYCLE_1) | instskip(NEXT) | instid1(SALU_CYCLE_1)
	s_bitset1_b32 s0, 10
	s_mov_b32 m0, s0
	s_sendmsg sendmsg(MSG_INTERRUPT)
	s_mov_b32 m0, ttmp2
.LBB16_1194:                            ; =>This Inner Loop Header: Depth=1
	s_sethalt 5
	s_branch .LBB16_1194
.LBB16_1195:                            ;   in Loop: Header=BB16_1199 Depth=1
	s_or_b32 exec_lo, exec_lo, s10
	v_mov_b32_e32 v4, 0
	s_or_not1_b32 s7, s7, exec_lo
.LBB16_1196:                            ;   in Loop: Header=BB16_1199 Depth=1
	s_or_b32 exec_lo, exec_lo, s6
	s_delay_alu instid0(VALU_DEP_1)
	v_mov_b32_e32 v0, v4
	s_and_b32 s6, s7, exec_lo
.LBB16_1197:                            ;   in Loop: Header=BB16_1199 Depth=1
	s_or_b32 exec_lo, exec_lo, s5
	s_xor_b32 s5, s6, -1
	s_and_not1_b32 s3, s3, exec_lo
	s_and_b32 s5, s5, exec_lo
	s_delay_alu instid0(SALU_CYCLE_1)
	s_or_b32 s3, s3, s5
.LBB16_1198:                            ;   in Loop: Header=BB16_1199 Depth=1
	s_or_b32 exec_lo, exec_lo, s4
	s_delay_alu instid0(SALU_CYCLE_1) | instskip(NEXT) | instid1(SALU_CYCLE_1)
	s_and_b32 s4, exec_lo, s3
	s_or_b32 s2, s4, s2
	s_delay_alu instid0(SALU_CYCLE_1)
	s_and_not1_b32 exec_lo, exec_lo, s2
	s_cbranch_execz .LBB16_1208
.LBB16_1199:                            ; =>This Inner Loop Header: Depth=1
	flat_load_b64 v[4:5], v[2:3] glc dlc
	s_waitcnt vmcnt(0)
	s_or_b32 s3, s3, exec_lo
	s_mov_b32 s4, exec_lo
	s_waitcnt lgkmcnt(0)
	v_cmpx_ne_u64_e32 -1, v[4:5]
	s_cbranch_execz .LBB16_1198
; %bb.1200:                             ;   in Loop: Header=BB16_1199 Depth=1
	v_and_b32_e32 v4, 64, v30
	s_mov_b32 s6, 0
	s_mov_b32 s5, exec_lo
	s_delay_alu instid0(VALU_DEP_1)
	v_cmpx_eq_u32_e32 0, v4
	s_cbranch_execz .LBB16_1197
; %bb.1201:                             ;   in Loop: Header=BB16_1199 Depth=1
	v_add_nc_u32_e32 v4, 1, v0
	s_mov_b32 s7, -1
	s_mov_b32 s6, exec_lo
	v_cmpx_lt_i32_e32 0x270e, v0
	s_cbranch_execz .LBB16_1196
; %bb.1202:                             ;   in Loop: Header=BB16_1199 Depth=1
	s_cbranch_execnz .LBB16_1206
; %bb.1203:                             ;   in Loop: Header=BB16_1199 Depth=1
	ds_load_b64 v[4:5], v0
	s_mov_b32 s10, exec_lo
	s_waitcnt lgkmcnt(0)
	s_waitcnt_vscnt null, 0x0
	flat_load_b32 v0, v[4:5] glc
	s_waitcnt vmcnt(0) lgkmcnt(0)
	buffer_gl1_inv
	buffer_gl0_inv
	v_cmpx_ne_u32_e32 0, v0
	s_cbranch_execz .LBB16_1195
; %bb.1204:                             ;   in Loop: Header=BB16_1199 Depth=1
	ds_store_b32 v0, v0
	s_cbranch_execnz .LBB16_1224
; %bb.1205:                             ;   in Loop: Header=BB16_1199 Depth=1
	v_or_b32_e32 v30, 64, v30
	s_xor_b32 s7, exec_lo, -1
	s_branch .LBB16_1195
.LBB16_1206:
	s_trap 2
	s_sendmsg_rtn_b32 s0, sendmsg(MSG_RTN_GET_DOORBELL)
	s_mov_b32 ttmp2, m0
	s_waitcnt lgkmcnt(0)
	s_and_b32 s0, s0, 0x3ff
	s_delay_alu instid0(SALU_CYCLE_1) | instskip(NEXT) | instid1(SALU_CYCLE_1)
	s_bitset1_b32 s0, 10
	s_mov_b32 m0, s0
	s_sendmsg sendmsg(MSG_INTERRUPT)
	s_mov_b32 m0, ttmp2
.LBB16_1207:                            ; =>This Inner Loop Header: Depth=1
	s_sethalt 5
	s_branch .LBB16_1207
.LBB16_1208:
	s_or_b32 exec_lo, exec_lo, s2
.LBB16_1209:
	s_delay_alu instid0(SALU_CYCLE_1) | instskip(SKIP_2) | instid1(VALU_DEP_1)
	s_or_b32 exec_lo, exec_lo, s1
	v_and_b32_e32 v0, 0x2000, v30
	s_mov_b32 s1, exec_lo
	v_cmpx_ne_u32_e32 0, v0
	s_cbranch_execz .LBB16_1212
; %bb.1210:
	s_cbranch_execnz .LBB16_1220
; %bb.1211:
	ds_load_b64 v[2:3], v0
	s_waitcnt lgkmcnt(0)
	flat_store_b64 v[20:21], v[2:3] offset:16
.LBB16_1212:
	s_or_b32 exec_lo, exec_lo, s1
	v_cmp_ne_u32_e32 vcc_lo, 32, v1
	s_and_b32 exec_lo, exec_lo, vcc_lo
	s_cbranch_execz .LBB16_1457
; %bb.1213:
	s_mov_b32 s1, exec_lo
	v_cmpx_ne_u32_e64 v69, v1
	s_xor_b32 s1, exec_lo, s1
	s_cbranch_execz .LBB16_1455
; %bb.1214:
	v_and_b32_e32 v0, 31, v31
	s_mov_b32 s2, exec_lo
	s_delay_alu instid0(VALU_DEP_1)
	v_cmpx_eq_u32_e32 0, v0
	s_cbranch_execz .LBB16_1454
; %bb.1215:
	s_mov_b32 s4, exec_lo
	s_mov_b32 s3, exec_lo
	v_mbcnt_lo_u32_b32 v0, s4, 0
	s_waitcnt lgkmcnt(0)
	s_waitcnt_vscnt null, 0x0
	buffer_gl1_inv
	buffer_gl0_inv
	v_cmpx_eq_u32_e32 0, v0
	s_cbranch_execz .LBB16_1217
; %bb.1216:
	s_bcnt1_i32_b32 s4, s4
	s_delay_alu instid0(SALU_CYCLE_1)
	v_dual_mov_b32 v3, 0 :: v_dual_mov_b32 v2, s4
	ds_add_u64 v0, v[2:3]
	s_cbranch_execnz .LBB16_1277
.LBB16_1217:
	s_or_b32 exec_lo, exec_lo, s3
	s_cbranch_execnz .LBB16_1254
; %bb.1218:
	v_ashrrev_i32_e32 v0, 31, v1
	s_mov_b32 s3, exec_lo
	s_delay_alu instid0(VALU_DEP_1) | instskip(NEXT) | instid1(VALU_DEP_1)
	v_lshrrev_b32_e32 v0, 27, v0
	v_add_nc_u32_e32 v0, v1, v0
	ds_load_b64 v[2:3], v0
	v_ashrrev_i32_e32 v0, 5, v0
	s_delay_alu instid0(VALU_DEP_1) | instskip(SKIP_1) | instid1(VALU_DEP_2)
	v_ashrrev_i32_e32 v1, 31, v0
	v_add_co_u32 v0, vcc_lo, v28, v0
	v_add_co_ci_u32_e32 v1, vcc_lo, v29, v1, vcc_lo
	s_waitcnt lgkmcnt(0)
	s_delay_alu instid0(VALU_DEP_1)
	v_cmpx_lt_u64_e64 v[2:3], v[0:1]
	s_cbranch_execz .LBB16_1453
; %bb.1219:
	s_mov_b32 s4, 0
	s_mov_b32 s7, 0
                                        ; implicit-def: $sgpr5
                                        ; implicit-def: $sgpr6
	s_branch .LBB16_1267
.LBB16_1220:
	s_trap 2
	s_sendmsg_rtn_b32 s0, sendmsg(MSG_RTN_GET_DOORBELL)
	s_mov_b32 ttmp2, m0
	s_waitcnt lgkmcnt(0)
	s_and_b32 s0, s0, 0x3ff
	s_delay_alu instid0(SALU_CYCLE_1) | instskip(NEXT) | instid1(SALU_CYCLE_1)
	s_bitset1_b32 s0, 10
	s_mov_b32 m0, s0
	s_sendmsg sendmsg(MSG_INTERRUPT)
	s_mov_b32 m0, ttmp2
.LBB16_1221:                            ; =>This Inner Loop Header: Depth=1
	s_sethalt 5
	s_branch .LBB16_1221
.LBB16_1222:
	s_trap 2
	s_sendmsg_rtn_b32 s0, sendmsg(MSG_RTN_GET_DOORBELL)
	s_mov_b32 ttmp2, m0
	s_waitcnt lgkmcnt(0)
	s_and_b32 s0, s0, 0x3ff
	s_delay_alu instid0(SALU_CYCLE_1) | instskip(NEXT) | instid1(SALU_CYCLE_1)
	s_bitset1_b32 s0, 10
	s_mov_b32 m0, s0
	s_sendmsg sendmsg(MSG_INTERRUPT)
	s_mov_b32 m0, ttmp2
.LBB16_1223:                            ; =>This Inner Loop Header: Depth=1
	s_sethalt 5
	s_branch .LBB16_1223
.LBB16_1224:
	s_trap 2
	s_sendmsg_rtn_b32 s0, sendmsg(MSG_RTN_GET_DOORBELL)
	s_mov_b32 ttmp2, m0
	s_waitcnt lgkmcnt(0)
	s_and_b32 s0, s0, 0x3ff
	s_delay_alu instid0(SALU_CYCLE_1) | instskip(NEXT) | instid1(SALU_CYCLE_1)
	s_bitset1_b32 s0, 10
	s_mov_b32 m0, s0
	s_sendmsg sendmsg(MSG_INTERRUPT)
	s_mov_b32 m0, ttmp2
.LBB16_1225:                            ; =>This Inner Loop Header: Depth=1
	s_sethalt 5
	s_branch .LBB16_1225
.LBB16_1226:
	s_trap 2
	s_sendmsg_rtn_b32 s0, sendmsg(MSG_RTN_GET_DOORBELL)
	s_mov_b32 ttmp2, m0
	s_waitcnt lgkmcnt(0)
	s_and_b32 s0, s0, 0x3ff
	s_delay_alu instid0(SALU_CYCLE_1) | instskip(NEXT) | instid1(SALU_CYCLE_1)
	s_bitset1_b32 s0, 10
	s_mov_b32 m0, s0
	s_sendmsg sendmsg(MSG_INTERRUPT)
	s_mov_b32 m0, ttmp2
.LBB16_1227:                            ; =>This Inner Loop Header: Depth=1
	s_sethalt 5
	s_branch .LBB16_1227
.LBB16_1228:
	s_trap 2
	s_sendmsg_rtn_b32 s0, sendmsg(MSG_RTN_GET_DOORBELL)
	s_mov_b32 ttmp2, m0
	s_waitcnt lgkmcnt(0)
	s_and_b32 s0, s0, 0x3ff
	s_delay_alu instid0(SALU_CYCLE_1) | instskip(NEXT) | instid1(SALU_CYCLE_1)
	s_bitset1_b32 s0, 10
	s_mov_b32 m0, s0
	s_sendmsg sendmsg(MSG_INTERRUPT)
	s_mov_b32 m0, ttmp2
.LBB16_1229:                            ; =>This Inner Loop Header: Depth=1
	s_sethalt 5
	s_branch .LBB16_1229
.LBB16_1230:
	s_trap 2
	s_sendmsg_rtn_b32 s0, sendmsg(MSG_RTN_GET_DOORBELL)
	s_mov_b32 ttmp2, m0
	s_waitcnt lgkmcnt(0)
	s_and_b32 s0, s0, 0x3ff
	s_delay_alu instid0(SALU_CYCLE_1) | instskip(NEXT) | instid1(SALU_CYCLE_1)
	s_bitset1_b32 s0, 10
	s_mov_b32 m0, s0
	s_sendmsg sendmsg(MSG_INTERRUPT)
	s_mov_b32 m0, ttmp2
.LBB16_1231:                            ; =>This Inner Loop Header: Depth=1
	s_sethalt 5
	s_branch .LBB16_1231
.LBB16_1232:
	s_trap 2
	s_sendmsg_rtn_b32 s0, sendmsg(MSG_RTN_GET_DOORBELL)
	s_mov_b32 ttmp2, m0
	s_waitcnt lgkmcnt(0)
	s_and_b32 s0, s0, 0x3ff
	s_delay_alu instid0(SALU_CYCLE_1) | instskip(NEXT) | instid1(SALU_CYCLE_1)
	s_bitset1_b32 s0, 10
	s_mov_b32 m0, s0
	s_sendmsg sendmsg(MSG_INTERRUPT)
	s_mov_b32 m0, ttmp2
.LBB16_1233:                            ; =>This Inner Loop Header: Depth=1
	s_sethalt 5
	s_branch .LBB16_1233
.LBB16_1234:
	s_trap 2
	s_sendmsg_rtn_b32 s0, sendmsg(MSG_RTN_GET_DOORBELL)
	s_mov_b32 ttmp2, m0
	s_waitcnt lgkmcnt(0)
	s_and_b32 s0, s0, 0x3ff
	s_delay_alu instid0(SALU_CYCLE_1) | instskip(NEXT) | instid1(SALU_CYCLE_1)
	s_bitset1_b32 s0, 10
	s_mov_b32 m0, s0
	s_sendmsg sendmsg(MSG_INTERRUPT)
	s_mov_b32 m0, ttmp2
.LBB16_1235:                            ; =>This Inner Loop Header: Depth=1
	s_sethalt 5
	s_branch .LBB16_1235
.LBB16_1236:
	s_trap 2
	s_sendmsg_rtn_b32 s0, sendmsg(MSG_RTN_GET_DOORBELL)
	s_mov_b32 ttmp2, m0
	s_waitcnt lgkmcnt(0)
	s_and_b32 s0, s0, 0x3ff
	s_delay_alu instid0(SALU_CYCLE_1) | instskip(NEXT) | instid1(SALU_CYCLE_1)
	s_bitset1_b32 s0, 10
	s_mov_b32 m0, s0
	s_sendmsg sendmsg(MSG_INTERRUPT)
	s_mov_b32 m0, ttmp2
.LBB16_1237:                            ; =>This Inner Loop Header: Depth=1
	s_sethalt 5
	s_branch .LBB16_1237
.LBB16_1238:
	s_trap 2
	s_sendmsg_rtn_b32 s0, sendmsg(MSG_RTN_GET_DOORBELL)
	s_mov_b32 ttmp2, m0
	s_waitcnt lgkmcnt(0)
	s_and_b32 s0, s0, 0x3ff
	s_delay_alu instid0(SALU_CYCLE_1) | instskip(NEXT) | instid1(SALU_CYCLE_1)
	s_bitset1_b32 s0, 10
	s_mov_b32 m0, s0
	s_sendmsg sendmsg(MSG_INTERRUPT)
	s_mov_b32 m0, ttmp2
.LBB16_1239:                            ; =>This Inner Loop Header: Depth=1
	s_sethalt 5
	s_branch .LBB16_1239
.LBB16_1240:
	s_trap 2
	s_sendmsg_rtn_b32 s0, sendmsg(MSG_RTN_GET_DOORBELL)
	s_mov_b32 ttmp2, m0
	s_waitcnt lgkmcnt(0)
	s_and_b32 s0, s0, 0x3ff
	s_delay_alu instid0(SALU_CYCLE_1) | instskip(NEXT) | instid1(SALU_CYCLE_1)
	s_bitset1_b32 s0, 10
	s_mov_b32 m0, s0
	s_sendmsg sendmsg(MSG_INTERRUPT)
	s_mov_b32 m0, ttmp2
.LBB16_1241:                            ; =>This Inner Loop Header: Depth=1
	s_sethalt 5
	s_branch .LBB16_1241
.LBB16_1242:
	s_trap 2
	s_sendmsg_rtn_b32 s0, sendmsg(MSG_RTN_GET_DOORBELL)
	s_mov_b32 ttmp2, m0
	s_waitcnt lgkmcnt(0)
	s_and_b32 s0, s0, 0x3ff
	s_delay_alu instid0(SALU_CYCLE_1) | instskip(NEXT) | instid1(SALU_CYCLE_1)
	s_bitset1_b32 s0, 10
	s_mov_b32 m0, s0
	s_sendmsg sendmsg(MSG_INTERRUPT)
	s_mov_b32 m0, ttmp2
.LBB16_1243:                            ; =>This Inner Loop Header: Depth=1
	s_sethalt 5
	s_branch .LBB16_1243
.LBB16_1244:
	s_trap 2
	s_sendmsg_rtn_b32 s0, sendmsg(MSG_RTN_GET_DOORBELL)
	s_mov_b32 ttmp2, m0
	s_waitcnt lgkmcnt(0)
	s_and_b32 s0, s0, 0x3ff
	s_delay_alu instid0(SALU_CYCLE_1) | instskip(NEXT) | instid1(SALU_CYCLE_1)
	s_bitset1_b32 s0, 10
	s_mov_b32 m0, s0
	s_sendmsg sendmsg(MSG_INTERRUPT)
	s_mov_b32 m0, ttmp2
.LBB16_1245:                            ; =>This Inner Loop Header: Depth=1
	s_sethalt 5
	s_branch .LBB16_1245
.LBB16_1246:
	s_trap 2
	s_sendmsg_rtn_b32 s0, sendmsg(MSG_RTN_GET_DOORBELL)
	s_mov_b32 ttmp2, m0
	s_waitcnt lgkmcnt(0)
	s_and_b32 s0, s0, 0x3ff
	s_delay_alu instid0(SALU_CYCLE_1) | instskip(NEXT) | instid1(SALU_CYCLE_1)
	s_bitset1_b32 s0, 10
	s_mov_b32 m0, s0
	s_sendmsg sendmsg(MSG_INTERRUPT)
	s_mov_b32 m0, ttmp2
.LBB16_1247:                            ; =>This Inner Loop Header: Depth=1
	s_sethalt 5
	s_branch .LBB16_1247
.LBB16_1248:
	s_trap 2
	s_sendmsg_rtn_b32 s0, sendmsg(MSG_RTN_GET_DOORBELL)
	s_mov_b32 ttmp2, m0
	s_waitcnt lgkmcnt(0)
	s_and_b32 s0, s0, 0x3ff
	s_delay_alu instid0(SALU_CYCLE_1) | instskip(NEXT) | instid1(SALU_CYCLE_1)
	s_bitset1_b32 s0, 10
	s_mov_b32 m0, s0
	s_sendmsg sendmsg(MSG_INTERRUPT)
	s_mov_b32 m0, ttmp2
.LBB16_1249:                            ; =>This Inner Loop Header: Depth=1
	s_sethalt 5
	s_branch .LBB16_1249
.LBB16_1250:
	s_trap 2
	s_sendmsg_rtn_b32 s0, sendmsg(MSG_RTN_GET_DOORBELL)
	s_mov_b32 ttmp2, m0
	s_waitcnt lgkmcnt(0)
	s_and_b32 s0, s0, 0x3ff
	s_delay_alu instid0(SALU_CYCLE_1) | instskip(NEXT) | instid1(SALU_CYCLE_1)
	s_bitset1_b32 s0, 10
	s_mov_b32 m0, s0
	s_sendmsg sendmsg(MSG_INTERRUPT)
	s_mov_b32 m0, ttmp2
.LBB16_1251:                            ; =>This Inner Loop Header: Depth=1
	s_sethalt 5
	s_branch .LBB16_1251
.LBB16_1252:
	s_trap 2
	s_sendmsg_rtn_b32 s0, sendmsg(MSG_RTN_GET_DOORBELL)
	s_mov_b32 ttmp2, m0
	s_waitcnt lgkmcnt(0)
	s_and_b32 s0, s0, 0x3ff
	s_delay_alu instid0(SALU_CYCLE_1) | instskip(NEXT) | instid1(SALU_CYCLE_1)
	s_bitset1_b32 s0, 10
	s_mov_b32 m0, s0
	s_sendmsg sendmsg(MSG_INTERRUPT)
	s_mov_b32 m0, ttmp2
.LBB16_1253:                            ; =>This Inner Loop Header: Depth=1
	s_sethalt 5
	s_branch .LBB16_1253
.LBB16_1254:
	s_trap 2
	s_sendmsg_rtn_b32 s0, sendmsg(MSG_RTN_GET_DOORBELL)
	s_mov_b32 ttmp2, m0
	s_waitcnt lgkmcnt(0)
	s_and_b32 s0, s0, 0x3ff
	s_delay_alu instid0(SALU_CYCLE_1) | instskip(NEXT) | instid1(SALU_CYCLE_1)
	s_bitset1_b32 s0, 10
	s_mov_b32 m0, s0
	s_sendmsg sendmsg(MSG_INTERRUPT)
	s_mov_b32 m0, ttmp2
.LBB16_1255:                            ; =>This Inner Loop Header: Depth=1
	s_sethalt 5
	s_branch .LBB16_1255
.LBB16_1256:
	s_trap 2
	s_sendmsg_rtn_b32 s0, sendmsg(MSG_RTN_GET_DOORBELL)
	s_mov_b32 ttmp2, m0
	s_waitcnt lgkmcnt(0)
	s_and_b32 s0, s0, 0x3ff
	s_delay_alu instid0(SALU_CYCLE_1) | instskip(NEXT) | instid1(SALU_CYCLE_1)
	s_bitset1_b32 s0, 10
	s_mov_b32 m0, s0
	s_sendmsg sendmsg(MSG_INTERRUPT)
	s_mov_b32 m0, ttmp2
.LBB16_1257:                            ; =>This Inner Loop Header: Depth=1
	s_sethalt 5
	s_branch .LBB16_1257
.LBB16_1258:
	s_trap 2
	s_sendmsg_rtn_b32 s0, sendmsg(MSG_RTN_GET_DOORBELL)
	s_mov_b32 ttmp2, m0
	s_waitcnt lgkmcnt(0)
	s_and_b32 s0, s0, 0x3ff
	s_delay_alu instid0(SALU_CYCLE_1) | instskip(NEXT) | instid1(SALU_CYCLE_1)
	s_bitset1_b32 s0, 10
	s_mov_b32 m0, s0
	s_sendmsg sendmsg(MSG_INTERRUPT)
	s_mov_b32 m0, ttmp2
.LBB16_1259:                            ; =>This Inner Loop Header: Depth=1
	s_sethalt 5
	s_branch .LBB16_1259
.LBB16_1260:
	s_trap 2
	s_sendmsg_rtn_b32 s0, sendmsg(MSG_RTN_GET_DOORBELL)
	s_mov_b32 ttmp2, m0
	s_waitcnt lgkmcnt(0)
	s_and_b32 s0, s0, 0x3ff
	s_delay_alu instid0(SALU_CYCLE_1) | instskip(NEXT) | instid1(SALU_CYCLE_1)
	s_bitset1_b32 s0, 10
	s_mov_b32 m0, s0
	s_sendmsg sendmsg(MSG_INTERRUPT)
	s_mov_b32 m0, ttmp2
.LBB16_1261:                            ; =>This Inner Loop Header: Depth=1
	s_sethalt 5
	s_branch .LBB16_1261
.LBB16_1262:
	s_trap 2
	s_sendmsg_rtn_b32 s0, sendmsg(MSG_RTN_GET_DOORBELL)
	s_mov_b32 ttmp2, m0
	s_waitcnt lgkmcnt(0)
	s_and_b32 s0, s0, 0x3ff
	s_delay_alu instid0(SALU_CYCLE_1) | instskip(NEXT) | instid1(SALU_CYCLE_1)
	s_bitset1_b32 s0, 10
	s_mov_b32 m0, s0
	s_sendmsg sendmsg(MSG_INTERRUPT)
	s_mov_b32 m0, ttmp2
.LBB16_1263:                            ; =>This Inner Loop Header: Depth=1
	s_sethalt 5
	s_branch .LBB16_1263
.LBB16_1264:
	s_trap 2
	s_sendmsg_rtn_b32 s0, sendmsg(MSG_RTN_GET_DOORBELL)
	s_mov_b32 ttmp2, m0
	s_waitcnt lgkmcnt(0)
	s_and_b32 s0, s0, 0x3ff
	s_delay_alu instid0(SALU_CYCLE_1) | instskip(NEXT) | instid1(SALU_CYCLE_1)
	s_bitset1_b32 s0, 10
	s_mov_b32 m0, s0
	s_sendmsg sendmsg(MSG_INTERRUPT)
	s_mov_b32 m0, ttmp2
.LBB16_1265:                            ; =>This Inner Loop Header: Depth=1
	s_sethalt 5
	s_branch .LBB16_1265
.LBB16_1266:                            ;   in Loop: Header=BB16_1267 Depth=1
	s_or_b32 exec_lo, exec_lo, s12
	s_delay_alu instid0(SALU_CYCLE_1) | instskip(NEXT) | instid1(SALU_CYCLE_1)
	s_and_b32 s10, exec_lo, s11
	s_or_b32 s4, s10, s4
	s_and_not1_b32 s5, s5, exec_lo
	s_and_b32 s10, s6, exec_lo
	s_delay_alu instid0(SALU_CYCLE_1)
	s_or_b32 s5, s5, s10
	s_and_not1_b32 exec_lo, exec_lo, s4
	s_cbranch_execz .LBB16_1451
.LBB16_1267:                            ; =>This Inner Loop Header: Depth=1
	s_add_i32 s7, s7, 1
                                        ; implicit-def: $sgpr11
	s_delay_alu instid0(SALU_CYCLE_1) | instskip(SKIP_1) | instid1(SALU_CYCLE_1)
	s_cmpk_lg_i32 s7, 0x2710
	s_cselect_b32 s10, -1, 0
	s_and_b32 vcc_lo, exec_lo, s10
	s_cbranch_vccz .LBB16_1271
.LBB16_1268:                            ;   in Loop: Header=BB16_1267 Depth=1
	s_and_not1_b32 s6, s6, exec_lo
	s_and_b32 s12, s11, exec_lo
	s_mov_b32 s11, -1
	s_or_b32 s6, s6, s12
	s_and_saveexec_b32 s12, s10
	s_cbranch_execz .LBB16_1266
; %bb.1269:                             ;   in Loop: Header=BB16_1267 Depth=1
	s_sleep 1
	s_cbranch_execnz .LBB16_1303
; %bb.1270:                             ;   in Loop: Header=BB16_1267 Depth=1
	ds_load_b64 v[2:3], v0
	s_and_not1_b32 s6, s6, exec_lo
	s_waitcnt lgkmcnt(0)
	v_cmp_ge_u64_e32 vcc_lo, v[2:3], v[0:1]
	s_or_not1_b32 s11, vcc_lo, exec_lo
	s_branch .LBB16_1266
.LBB16_1271:                            ;   in Loop: Header=BB16_1267 Depth=1
	s_cbranch_execnz .LBB16_1313
; %bb.1272:                             ;   in Loop: Header=BB16_1267 Depth=1
	ds_load_b64 v[2:3], v0
	s_and_not1_b32 s10, s10, exec_lo
	s_mov_b32 s7, 0
	s_mov_b32 s11, -1
	s_waitcnt lgkmcnt(0)
	flat_load_b32 v2, v[2:3] glc
	s_waitcnt vmcnt(0) lgkmcnt(0)
	buffer_gl1_inv
	buffer_gl0_inv
	v_cmp_eq_u32_e32 vcc_lo, 0, v2
	s_and_b32 s12, vcc_lo, exec_lo
	s_delay_alu instid0(SALU_CYCLE_1)
	s_or_b32 s10, s10, s12
	s_branch .LBB16_1268
.LBB16_1273:
	s_trap 2
	s_sendmsg_rtn_b32 s0, sendmsg(MSG_RTN_GET_DOORBELL)
	s_mov_b32 ttmp2, m0
	s_waitcnt lgkmcnt(0)
	s_and_b32 s0, s0, 0x3ff
	s_delay_alu instid0(SALU_CYCLE_1) | instskip(NEXT) | instid1(SALU_CYCLE_1)
	s_bitset1_b32 s0, 10
	s_mov_b32 m0, s0
	s_sendmsg sendmsg(MSG_INTERRUPT)
	s_mov_b32 m0, ttmp2
.LBB16_1274:                            ; =>This Inner Loop Header: Depth=1
	s_sethalt 5
	s_branch .LBB16_1274
.LBB16_1275:
	s_trap 2
	s_sendmsg_rtn_b32 s0, sendmsg(MSG_RTN_GET_DOORBELL)
	s_mov_b32 ttmp2, m0
	s_waitcnt lgkmcnt(0)
	s_and_b32 s0, s0, 0x3ff
	s_delay_alu instid0(SALU_CYCLE_1) | instskip(NEXT) | instid1(SALU_CYCLE_1)
	s_bitset1_b32 s0, 10
	s_mov_b32 m0, s0
	s_sendmsg sendmsg(MSG_INTERRUPT)
	s_mov_b32 m0, ttmp2
.LBB16_1276:                            ; =>This Inner Loop Header: Depth=1
	s_sethalt 5
	s_branch .LBB16_1276
.LBB16_1277:
	s_trap 2
	s_sendmsg_rtn_b32 s0, sendmsg(MSG_RTN_GET_DOORBELL)
	s_mov_b32 ttmp2, m0
	s_waitcnt lgkmcnt(0)
	s_and_b32 s0, s0, 0x3ff
	s_delay_alu instid0(SALU_CYCLE_1) | instskip(NEXT) | instid1(SALU_CYCLE_1)
	s_bitset1_b32 s0, 10
	s_mov_b32 m0, s0
	s_sendmsg sendmsg(MSG_INTERRUPT)
	s_mov_b32 m0, ttmp2
.LBB16_1278:                            ; =>This Inner Loop Header: Depth=1
	s_sethalt 5
	s_branch .LBB16_1278
.LBB16_1279:
	s_trap 2
	s_sendmsg_rtn_b32 s0, sendmsg(MSG_RTN_GET_DOORBELL)
	s_mov_b32 ttmp2, m0
	s_waitcnt lgkmcnt(0)
	s_and_b32 s0, s0, 0x3ff
	s_delay_alu instid0(SALU_CYCLE_1) | instskip(NEXT) | instid1(SALU_CYCLE_1)
	s_bitset1_b32 s0, 10
	s_mov_b32 m0, s0
	s_sendmsg sendmsg(MSG_INTERRUPT)
	s_mov_b32 m0, ttmp2
.LBB16_1280:                            ; =>This Inner Loop Header: Depth=1
	s_sethalt 5
	s_branch .LBB16_1280
.LBB16_1281:
	s_trap 2
	s_sendmsg_rtn_b32 s0, sendmsg(MSG_RTN_GET_DOORBELL)
	s_mov_b32 ttmp2, m0
	s_waitcnt lgkmcnt(0)
	s_and_b32 s0, s0, 0x3ff
	s_delay_alu instid0(SALU_CYCLE_1) | instskip(NEXT) | instid1(SALU_CYCLE_1)
	s_bitset1_b32 s0, 10
	s_mov_b32 m0, s0
	s_sendmsg sendmsg(MSG_INTERRUPT)
	s_mov_b32 m0, ttmp2
.LBB16_1282:                            ; =>This Inner Loop Header: Depth=1
	s_sethalt 5
	s_branch .LBB16_1282
.LBB16_1283:
	s_trap 2
	s_sendmsg_rtn_b32 s0, sendmsg(MSG_RTN_GET_DOORBELL)
	s_mov_b32 ttmp2, m0
	s_waitcnt lgkmcnt(0)
	s_and_b32 s0, s0, 0x3ff
	s_delay_alu instid0(SALU_CYCLE_1) | instskip(NEXT) | instid1(SALU_CYCLE_1)
	s_bitset1_b32 s0, 10
	s_mov_b32 m0, s0
	s_sendmsg sendmsg(MSG_INTERRUPT)
	s_mov_b32 m0, ttmp2
.LBB16_1284:                            ; =>This Inner Loop Header: Depth=1
	s_sethalt 5
	s_branch .LBB16_1284
.LBB16_1285:
	s_trap 2
	s_sendmsg_rtn_b32 s0, sendmsg(MSG_RTN_GET_DOORBELL)
	s_mov_b32 ttmp2, m0
	s_waitcnt lgkmcnt(0)
	s_and_b32 s0, s0, 0x3ff
	s_delay_alu instid0(SALU_CYCLE_1) | instskip(NEXT) | instid1(SALU_CYCLE_1)
	s_bitset1_b32 s0, 10
	s_mov_b32 m0, s0
	s_sendmsg sendmsg(MSG_INTERRUPT)
	s_mov_b32 m0, ttmp2
.LBB16_1286:                            ; =>This Inner Loop Header: Depth=1
	s_sethalt 5
	s_branch .LBB16_1286
.LBB16_1287:
	s_trap 2
	s_sendmsg_rtn_b32 s0, sendmsg(MSG_RTN_GET_DOORBELL)
	s_mov_b32 ttmp2, m0
	s_waitcnt lgkmcnt(0)
	s_and_b32 s0, s0, 0x3ff
	s_delay_alu instid0(SALU_CYCLE_1) | instskip(NEXT) | instid1(SALU_CYCLE_1)
	s_bitset1_b32 s0, 10
	s_mov_b32 m0, s0
	s_sendmsg sendmsg(MSG_INTERRUPT)
	s_mov_b32 m0, ttmp2
.LBB16_1288:                            ; =>This Inner Loop Header: Depth=1
	s_sethalt 5
	s_branch .LBB16_1288
.LBB16_1289:
	s_trap 2
	s_sendmsg_rtn_b32 s0, sendmsg(MSG_RTN_GET_DOORBELL)
	s_mov_b32 ttmp2, m0
	s_waitcnt lgkmcnt(0)
	s_and_b32 s0, s0, 0x3ff
	s_delay_alu instid0(SALU_CYCLE_1) | instskip(NEXT) | instid1(SALU_CYCLE_1)
	s_bitset1_b32 s0, 10
	s_mov_b32 m0, s0
	s_sendmsg sendmsg(MSG_INTERRUPT)
	s_mov_b32 m0, ttmp2
.LBB16_1290:                            ; =>This Inner Loop Header: Depth=1
	s_sethalt 5
	s_branch .LBB16_1290
.LBB16_1291:
	s_trap 2
	s_sendmsg_rtn_b32 s0, sendmsg(MSG_RTN_GET_DOORBELL)
	s_mov_b32 ttmp2, m0
	s_waitcnt lgkmcnt(0)
	s_and_b32 s0, s0, 0x3ff
	s_delay_alu instid0(SALU_CYCLE_1) | instskip(NEXT) | instid1(SALU_CYCLE_1)
	s_bitset1_b32 s0, 10
	s_mov_b32 m0, s0
	s_sendmsg sendmsg(MSG_INTERRUPT)
	s_mov_b32 m0, ttmp2
.LBB16_1292:                            ; =>This Inner Loop Header: Depth=1
	s_sethalt 5
	s_branch .LBB16_1292
.LBB16_1293:
	s_trap 2
	s_sendmsg_rtn_b32 s0, sendmsg(MSG_RTN_GET_DOORBELL)
	s_mov_b32 ttmp2, m0
	s_waitcnt lgkmcnt(0)
	s_and_b32 s0, s0, 0x3ff
	s_delay_alu instid0(SALU_CYCLE_1) | instskip(NEXT) | instid1(SALU_CYCLE_1)
	s_bitset1_b32 s0, 10
	s_mov_b32 m0, s0
	s_sendmsg sendmsg(MSG_INTERRUPT)
	s_mov_b32 m0, ttmp2
.LBB16_1294:                            ; =>This Inner Loop Header: Depth=1
	s_sethalt 5
	s_branch .LBB16_1294
.LBB16_1295:
	s_trap 2
	s_sendmsg_rtn_b32 s0, sendmsg(MSG_RTN_GET_DOORBELL)
	s_mov_b32 ttmp2, m0
	s_waitcnt lgkmcnt(0)
	s_and_b32 s0, s0, 0x3ff
	s_delay_alu instid0(SALU_CYCLE_1) | instskip(NEXT) | instid1(SALU_CYCLE_1)
	s_bitset1_b32 s0, 10
	s_mov_b32 m0, s0
	s_sendmsg sendmsg(MSG_INTERRUPT)
	s_mov_b32 m0, ttmp2
.LBB16_1296:                            ; =>This Inner Loop Header: Depth=1
	s_sethalt 5
	s_branch .LBB16_1296
.LBB16_1297:
	s_trap 2
	s_sendmsg_rtn_b32 s0, sendmsg(MSG_RTN_GET_DOORBELL)
	s_mov_b32 ttmp2, m0
	s_waitcnt lgkmcnt(0)
	s_and_b32 s0, s0, 0x3ff
	s_delay_alu instid0(SALU_CYCLE_1) | instskip(NEXT) | instid1(SALU_CYCLE_1)
	s_bitset1_b32 s0, 10
	s_mov_b32 m0, s0
	s_sendmsg sendmsg(MSG_INTERRUPT)
	s_mov_b32 m0, ttmp2
.LBB16_1298:                            ; =>This Inner Loop Header: Depth=1
	s_sethalt 5
	s_branch .LBB16_1298
.LBB16_1299:
	s_trap 2
	s_sendmsg_rtn_b32 s0, sendmsg(MSG_RTN_GET_DOORBELL)
	s_mov_b32 ttmp2, m0
	s_waitcnt lgkmcnt(0)
	s_and_b32 s0, s0, 0x3ff
	s_delay_alu instid0(SALU_CYCLE_1) | instskip(NEXT) | instid1(SALU_CYCLE_1)
	s_bitset1_b32 s0, 10
	s_mov_b32 m0, s0
	s_sendmsg sendmsg(MSG_INTERRUPT)
	s_mov_b32 m0, ttmp2
.LBB16_1300:                            ; =>This Inner Loop Header: Depth=1
	s_sethalt 5
	s_branch .LBB16_1300
.LBB16_1301:
	s_trap 2
	s_sendmsg_rtn_b32 s0, sendmsg(MSG_RTN_GET_DOORBELL)
	s_mov_b32 ttmp2, m0
	s_waitcnt lgkmcnt(0)
	s_and_b32 s0, s0, 0x3ff
	s_delay_alu instid0(SALU_CYCLE_1) | instskip(NEXT) | instid1(SALU_CYCLE_1)
	s_bitset1_b32 s0, 10
	s_mov_b32 m0, s0
	s_sendmsg sendmsg(MSG_INTERRUPT)
	s_mov_b32 m0, ttmp2
.LBB16_1302:                            ; =>This Inner Loop Header: Depth=1
	s_sethalt 5
	s_branch .LBB16_1302
.LBB16_1303:
	s_trap 2
	s_sendmsg_rtn_b32 s0, sendmsg(MSG_RTN_GET_DOORBELL)
	s_mov_b32 ttmp2, m0
	s_waitcnt lgkmcnt(0)
	s_and_b32 s0, s0, 0x3ff
	s_delay_alu instid0(SALU_CYCLE_1) | instskip(NEXT) | instid1(SALU_CYCLE_1)
	s_bitset1_b32 s0, 10
	s_mov_b32 m0, s0
	s_sendmsg sendmsg(MSG_INTERRUPT)
	s_mov_b32 m0, ttmp2
.LBB16_1304:                            ; =>This Inner Loop Header: Depth=1
	s_sethalt 5
	s_branch .LBB16_1304
.LBB16_1305:
	s_trap 2
	s_sendmsg_rtn_b32 s0, sendmsg(MSG_RTN_GET_DOORBELL)
	s_mov_b32 ttmp2, m0
	s_waitcnt lgkmcnt(0)
	s_and_b32 s0, s0, 0x3ff
	s_delay_alu instid0(SALU_CYCLE_1) | instskip(NEXT) | instid1(SALU_CYCLE_1)
	s_bitset1_b32 s0, 10
	s_mov_b32 m0, s0
	s_sendmsg sendmsg(MSG_INTERRUPT)
	s_mov_b32 m0, ttmp2
.LBB16_1306:                            ; =>This Inner Loop Header: Depth=1
	s_sethalt 5
	s_branch .LBB16_1306
.LBB16_1307:
	s_trap 2
	s_sendmsg_rtn_b32 s0, sendmsg(MSG_RTN_GET_DOORBELL)
	s_mov_b32 ttmp2, m0
	s_waitcnt lgkmcnt(0)
	s_and_b32 s0, s0, 0x3ff
	s_delay_alu instid0(SALU_CYCLE_1) | instskip(NEXT) | instid1(SALU_CYCLE_1)
	s_bitset1_b32 s0, 10
	s_mov_b32 m0, s0
	s_sendmsg sendmsg(MSG_INTERRUPT)
	s_mov_b32 m0, ttmp2
.LBB16_1308:                            ; =>This Inner Loop Header: Depth=1
	s_sethalt 5
	s_branch .LBB16_1308
.LBB16_1309:
	s_trap 2
	s_sendmsg_rtn_b32 s0, sendmsg(MSG_RTN_GET_DOORBELL)
	s_mov_b32 ttmp2, m0
	s_waitcnt lgkmcnt(0)
	s_and_b32 s0, s0, 0x3ff
	s_delay_alu instid0(SALU_CYCLE_1) | instskip(NEXT) | instid1(SALU_CYCLE_1)
	s_bitset1_b32 s0, 10
	s_mov_b32 m0, s0
	s_sendmsg sendmsg(MSG_INTERRUPT)
	s_mov_b32 m0, ttmp2
.LBB16_1310:                            ; =>This Inner Loop Header: Depth=1
	s_sethalt 5
	s_branch .LBB16_1310
.LBB16_1311:
	s_trap 2
	s_sendmsg_rtn_b32 s0, sendmsg(MSG_RTN_GET_DOORBELL)
	s_mov_b32 ttmp2, m0
	s_waitcnt lgkmcnt(0)
	s_and_b32 s0, s0, 0x3ff
	s_delay_alu instid0(SALU_CYCLE_1) | instskip(NEXT) | instid1(SALU_CYCLE_1)
	s_bitset1_b32 s0, 10
	s_mov_b32 m0, s0
	s_sendmsg sendmsg(MSG_INTERRUPT)
	s_mov_b32 m0, ttmp2
.LBB16_1312:                            ; =>This Inner Loop Header: Depth=1
	s_sethalt 5
	s_branch .LBB16_1312
.LBB16_1313:
	s_trap 2
	s_sendmsg_rtn_b32 s0, sendmsg(MSG_RTN_GET_DOORBELL)
	s_mov_b32 ttmp2, m0
	s_waitcnt lgkmcnt(0)
	s_and_b32 s0, s0, 0x3ff
	s_delay_alu instid0(SALU_CYCLE_1) | instskip(NEXT) | instid1(SALU_CYCLE_1)
	s_bitset1_b32 s0, 10
	s_mov_b32 m0, s0
	s_sendmsg sendmsg(MSG_INTERRUPT)
	s_mov_b32 m0, ttmp2
.LBB16_1314:                            ; =>This Inner Loop Header: Depth=1
	s_sethalt 5
	s_branch .LBB16_1314
.LBB16_1315:
	s_trap 2
	s_sendmsg_rtn_b32 s0, sendmsg(MSG_RTN_GET_DOORBELL)
	s_mov_b32 ttmp2, m0
	s_waitcnt lgkmcnt(0)
	s_and_b32 s0, s0, 0x3ff
	s_delay_alu instid0(SALU_CYCLE_1) | instskip(NEXT) | instid1(SALU_CYCLE_1)
	s_bitset1_b32 s0, 10
	s_mov_b32 m0, s0
	s_sendmsg sendmsg(MSG_INTERRUPT)
	s_mov_b32 m0, ttmp2
.LBB16_1316:                            ; =>This Inner Loop Header: Depth=1
	s_sethalt 5
	s_branch .LBB16_1316
.LBB16_1317:
	s_trap 2
	s_sendmsg_rtn_b32 s0, sendmsg(MSG_RTN_GET_DOORBELL)
	s_mov_b32 ttmp2, m0
	s_waitcnt lgkmcnt(0)
	s_and_b32 s0, s0, 0x3ff
	s_delay_alu instid0(SALU_CYCLE_1) | instskip(NEXT) | instid1(SALU_CYCLE_1)
	s_bitset1_b32 s0, 10
	s_mov_b32 m0, s0
	s_sendmsg sendmsg(MSG_INTERRUPT)
	s_mov_b32 m0, ttmp2
.LBB16_1318:                            ; =>This Inner Loop Header: Depth=1
	s_sethalt 5
	s_branch .LBB16_1318
.LBB16_1319:
	s_trap 2
	s_sendmsg_rtn_b32 s0, sendmsg(MSG_RTN_GET_DOORBELL)
	s_mov_b32 ttmp2, m0
	s_waitcnt lgkmcnt(0)
	s_and_b32 s0, s0, 0x3ff
	s_delay_alu instid0(SALU_CYCLE_1) | instskip(NEXT) | instid1(SALU_CYCLE_1)
	s_bitset1_b32 s0, 10
	s_mov_b32 m0, s0
	s_sendmsg sendmsg(MSG_INTERRUPT)
	s_mov_b32 m0, ttmp2
.LBB16_1320:                            ; =>This Inner Loop Header: Depth=1
	s_sethalt 5
	s_branch .LBB16_1320
.LBB16_1321:
	s_trap 2
	s_sendmsg_rtn_b32 s0, sendmsg(MSG_RTN_GET_DOORBELL)
	s_mov_b32 ttmp2, m0
	s_waitcnt lgkmcnt(0)
	s_and_b32 s0, s0, 0x3ff
	s_delay_alu instid0(SALU_CYCLE_1) | instskip(NEXT) | instid1(SALU_CYCLE_1)
	s_bitset1_b32 s0, 10
	s_mov_b32 m0, s0
	s_sendmsg sendmsg(MSG_INTERRUPT)
	s_mov_b32 m0, ttmp2
.LBB16_1322:                            ; =>This Inner Loop Header: Depth=1
	s_sethalt 5
	s_branch .LBB16_1322
.LBB16_1323:
	s_trap 2
	s_sendmsg_rtn_b32 s0, sendmsg(MSG_RTN_GET_DOORBELL)
	s_mov_b32 ttmp2, m0
	s_waitcnt lgkmcnt(0)
	s_and_b32 s0, s0, 0x3ff
	s_delay_alu instid0(SALU_CYCLE_1) | instskip(NEXT) | instid1(SALU_CYCLE_1)
	s_bitset1_b32 s0, 10
	s_mov_b32 m0, s0
	s_sendmsg sendmsg(MSG_INTERRUPT)
	s_mov_b32 m0, ttmp2
.LBB16_1324:                            ; =>This Inner Loop Header: Depth=1
	s_sethalt 5
	s_branch .LBB16_1324
.LBB16_1325:
	s_trap 2
	s_sendmsg_rtn_b32 s0, sendmsg(MSG_RTN_GET_DOORBELL)
	s_mov_b32 ttmp2, m0
	s_waitcnt lgkmcnt(0)
	s_and_b32 s0, s0, 0x3ff
	s_delay_alu instid0(SALU_CYCLE_1) | instskip(NEXT) | instid1(SALU_CYCLE_1)
	s_bitset1_b32 s0, 10
	s_mov_b32 m0, s0
	s_sendmsg sendmsg(MSG_INTERRUPT)
	s_mov_b32 m0, ttmp2
.LBB16_1326:                            ; =>This Inner Loop Header: Depth=1
	s_sethalt 5
	s_branch .LBB16_1326
.LBB16_1327:
	s_trap 2
	s_sendmsg_rtn_b32 s0, sendmsg(MSG_RTN_GET_DOORBELL)
	s_mov_b32 ttmp2, m0
	s_waitcnt lgkmcnt(0)
	s_and_b32 s0, s0, 0x3ff
	s_delay_alu instid0(SALU_CYCLE_1) | instskip(NEXT) | instid1(SALU_CYCLE_1)
	s_bitset1_b32 s0, 10
	s_mov_b32 m0, s0
	s_sendmsg sendmsg(MSG_INTERRUPT)
	s_mov_b32 m0, ttmp2
.LBB16_1328:                            ; =>This Inner Loop Header: Depth=1
	s_sethalt 5
	s_branch .LBB16_1328
.LBB16_1329:
	s_trap 2
	s_sendmsg_rtn_b32 s0, sendmsg(MSG_RTN_GET_DOORBELL)
	s_mov_b32 ttmp2, m0
	s_waitcnt lgkmcnt(0)
	s_and_b32 s0, s0, 0x3ff
	s_delay_alu instid0(SALU_CYCLE_1) | instskip(NEXT) | instid1(SALU_CYCLE_1)
	s_bitset1_b32 s0, 10
	s_mov_b32 m0, s0
	s_sendmsg sendmsg(MSG_INTERRUPT)
	s_mov_b32 m0, ttmp2
.LBB16_1330:                            ; =>This Inner Loop Header: Depth=1
	s_sethalt 5
	s_branch .LBB16_1330
.LBB16_1331:
	s_trap 2
	s_sendmsg_rtn_b32 s0, sendmsg(MSG_RTN_GET_DOORBELL)
	s_mov_b32 ttmp2, m0
	s_waitcnt lgkmcnt(0)
	s_and_b32 s0, s0, 0x3ff
	s_delay_alu instid0(SALU_CYCLE_1) | instskip(NEXT) | instid1(SALU_CYCLE_1)
	s_bitset1_b32 s0, 10
	s_mov_b32 m0, s0
	s_sendmsg sendmsg(MSG_INTERRUPT)
	s_mov_b32 m0, ttmp2
.LBB16_1332:                            ; =>This Inner Loop Header: Depth=1
	s_sethalt 5
	s_branch .LBB16_1332
.LBB16_1333:
	s_trap 2
	s_sendmsg_rtn_b32 s0, sendmsg(MSG_RTN_GET_DOORBELL)
	s_mov_b32 ttmp2, m0
	s_waitcnt lgkmcnt(0)
	s_and_b32 s0, s0, 0x3ff
	s_delay_alu instid0(SALU_CYCLE_1) | instskip(NEXT) | instid1(SALU_CYCLE_1)
	s_bitset1_b32 s0, 10
	s_mov_b32 m0, s0
	s_sendmsg sendmsg(MSG_INTERRUPT)
	s_mov_b32 m0, ttmp2
.LBB16_1334:                            ; =>This Inner Loop Header: Depth=1
	s_sethalt 5
	s_branch .LBB16_1334
.LBB16_1335:
	s_trap 2
	s_sendmsg_rtn_b32 s0, sendmsg(MSG_RTN_GET_DOORBELL)
	s_mov_b32 ttmp2, m0
	s_waitcnt lgkmcnt(0)
	s_and_b32 s0, s0, 0x3ff
	s_delay_alu instid0(SALU_CYCLE_1) | instskip(NEXT) | instid1(SALU_CYCLE_1)
	s_bitset1_b32 s0, 10
	s_mov_b32 m0, s0
	s_sendmsg sendmsg(MSG_INTERRUPT)
	s_mov_b32 m0, ttmp2
.LBB16_1336:                            ; =>This Inner Loop Header: Depth=1
	s_sethalt 5
	s_branch .LBB16_1336
.LBB16_1337:
	s_trap 2
	s_sendmsg_rtn_b32 s0, sendmsg(MSG_RTN_GET_DOORBELL)
	s_mov_b32 ttmp2, m0
	s_waitcnt lgkmcnt(0)
	s_and_b32 s0, s0, 0x3ff
	s_delay_alu instid0(SALU_CYCLE_1) | instskip(NEXT) | instid1(SALU_CYCLE_1)
	s_bitset1_b32 s0, 10
	s_mov_b32 m0, s0
	s_sendmsg sendmsg(MSG_INTERRUPT)
	s_mov_b32 m0, ttmp2
.LBB16_1338:                            ; =>This Inner Loop Header: Depth=1
	s_sethalt 5
	s_branch .LBB16_1338
.LBB16_1339:
	s_trap 2
	s_sendmsg_rtn_b32 s0, sendmsg(MSG_RTN_GET_DOORBELL)
	s_mov_b32 ttmp2, m0
	s_waitcnt lgkmcnt(0)
	s_and_b32 s0, s0, 0x3ff
	s_delay_alu instid0(SALU_CYCLE_1) | instskip(NEXT) | instid1(SALU_CYCLE_1)
	s_bitset1_b32 s0, 10
	s_mov_b32 m0, s0
	s_sendmsg sendmsg(MSG_INTERRUPT)
	s_mov_b32 m0, ttmp2
.LBB16_1340:                            ; =>This Inner Loop Header: Depth=1
	s_sethalt 5
	s_branch .LBB16_1340
.LBB16_1341:
	s_trap 2
	s_sendmsg_rtn_b32 s0, sendmsg(MSG_RTN_GET_DOORBELL)
	s_mov_b32 ttmp2, m0
	s_waitcnt lgkmcnt(0)
	s_and_b32 s0, s0, 0x3ff
	s_delay_alu instid0(SALU_CYCLE_1) | instskip(NEXT) | instid1(SALU_CYCLE_1)
	s_bitset1_b32 s0, 10
	s_mov_b32 m0, s0
	s_sendmsg sendmsg(MSG_INTERRUPT)
	s_mov_b32 m0, ttmp2
.LBB16_1342:                            ; =>This Inner Loop Header: Depth=1
	s_sethalt 5
	s_branch .LBB16_1342
.LBB16_1343:
	s_trap 2
	s_sendmsg_rtn_b32 s0, sendmsg(MSG_RTN_GET_DOORBELL)
	s_mov_b32 ttmp2, m0
	s_waitcnt lgkmcnt(0)
	s_and_b32 s0, s0, 0x3ff
	s_delay_alu instid0(SALU_CYCLE_1) | instskip(NEXT) | instid1(SALU_CYCLE_1)
	s_bitset1_b32 s0, 10
	s_mov_b32 m0, s0
	s_sendmsg sendmsg(MSG_INTERRUPT)
	s_mov_b32 m0, ttmp2
.LBB16_1344:                            ; =>This Inner Loop Header: Depth=1
	s_sethalt 5
	s_branch .LBB16_1344
.LBB16_1345:
	s_trap 2
	s_sendmsg_rtn_b32 s0, sendmsg(MSG_RTN_GET_DOORBELL)
	s_mov_b32 ttmp2, m0
	s_waitcnt lgkmcnt(0)
	s_and_b32 s0, s0, 0x3ff
	s_delay_alu instid0(SALU_CYCLE_1) | instskip(NEXT) | instid1(SALU_CYCLE_1)
	s_bitset1_b32 s0, 10
	s_mov_b32 m0, s0
	s_sendmsg sendmsg(MSG_INTERRUPT)
	s_mov_b32 m0, ttmp2
.LBB16_1346:                            ; =>This Inner Loop Header: Depth=1
	s_sethalt 5
	s_branch .LBB16_1346
.LBB16_1347:
	s_trap 2
	s_sendmsg_rtn_b32 s0, sendmsg(MSG_RTN_GET_DOORBELL)
	s_mov_b32 ttmp2, m0
	s_waitcnt lgkmcnt(0)
	s_and_b32 s0, s0, 0x3ff
	s_delay_alu instid0(SALU_CYCLE_1) | instskip(NEXT) | instid1(SALU_CYCLE_1)
	s_bitset1_b32 s0, 10
	s_mov_b32 m0, s0
	s_sendmsg sendmsg(MSG_INTERRUPT)
	s_mov_b32 m0, ttmp2
.LBB16_1348:                            ; =>This Inner Loop Header: Depth=1
	s_sethalt 5
	s_branch .LBB16_1348
.LBB16_1349:
	s_trap 2
	s_sendmsg_rtn_b32 s0, sendmsg(MSG_RTN_GET_DOORBELL)
	s_mov_b32 ttmp2, m0
	s_waitcnt lgkmcnt(0)
	s_and_b32 s0, s0, 0x3ff
	s_delay_alu instid0(SALU_CYCLE_1) | instskip(NEXT) | instid1(SALU_CYCLE_1)
	s_bitset1_b32 s0, 10
	s_mov_b32 m0, s0
	s_sendmsg sendmsg(MSG_INTERRUPT)
	s_mov_b32 m0, ttmp2
.LBB16_1350:                            ; =>This Inner Loop Header: Depth=1
	s_sethalt 5
	s_branch .LBB16_1350
.LBB16_1351:
	s_trap 2
	s_sendmsg_rtn_b32 s0, sendmsg(MSG_RTN_GET_DOORBELL)
	s_mov_b32 ttmp2, m0
	s_waitcnt lgkmcnt(0)
	s_and_b32 s0, s0, 0x3ff
	s_delay_alu instid0(SALU_CYCLE_1) | instskip(NEXT) | instid1(SALU_CYCLE_1)
	s_bitset1_b32 s0, 10
	s_mov_b32 m0, s0
	s_sendmsg sendmsg(MSG_INTERRUPT)
	s_mov_b32 m0, ttmp2
.LBB16_1352:                            ; =>This Inner Loop Header: Depth=1
	s_sethalt 5
	s_branch .LBB16_1352
.LBB16_1353:
	s_trap 2
	s_sendmsg_rtn_b32 s0, sendmsg(MSG_RTN_GET_DOORBELL)
	s_mov_b32 ttmp2, m0
	s_waitcnt lgkmcnt(0)
	s_and_b32 s0, s0, 0x3ff
	s_delay_alu instid0(SALU_CYCLE_1) | instskip(NEXT) | instid1(SALU_CYCLE_1)
	s_bitset1_b32 s0, 10
	s_mov_b32 m0, s0
	s_sendmsg sendmsg(MSG_INTERRUPT)
	s_mov_b32 m0, ttmp2
.LBB16_1354:                            ; =>This Inner Loop Header: Depth=1
	s_sethalt 5
	s_branch .LBB16_1354
.LBB16_1355:
	s_trap 2
	s_sendmsg_rtn_b32 s0, sendmsg(MSG_RTN_GET_DOORBELL)
	s_mov_b32 ttmp2, m0
	s_waitcnt lgkmcnt(0)
	s_and_b32 s0, s0, 0x3ff
	s_delay_alu instid0(SALU_CYCLE_1) | instskip(NEXT) | instid1(SALU_CYCLE_1)
	s_bitset1_b32 s0, 10
	s_mov_b32 m0, s0
	s_sendmsg sendmsg(MSG_INTERRUPT)
	s_mov_b32 m0, ttmp2
.LBB16_1356:                            ; =>This Inner Loop Header: Depth=1
	s_sethalt 5
	s_branch .LBB16_1356
.LBB16_1357:
	s_trap 2
	s_sendmsg_rtn_b32 s0, sendmsg(MSG_RTN_GET_DOORBELL)
	s_mov_b32 ttmp2, m0
	s_waitcnt lgkmcnt(0)
	s_and_b32 s0, s0, 0x3ff
	s_delay_alu instid0(SALU_CYCLE_1) | instskip(NEXT) | instid1(SALU_CYCLE_1)
	s_bitset1_b32 s0, 10
	s_mov_b32 m0, s0
	s_sendmsg sendmsg(MSG_INTERRUPT)
	s_mov_b32 m0, ttmp2
.LBB16_1358:                            ; =>This Inner Loop Header: Depth=1
	s_sethalt 5
	s_branch .LBB16_1358
.LBB16_1359:
	s_trap 2
	s_sendmsg_rtn_b32 s0, sendmsg(MSG_RTN_GET_DOORBELL)
	s_mov_b32 ttmp2, m0
	s_waitcnt lgkmcnt(0)
	s_and_b32 s0, s0, 0x3ff
	s_delay_alu instid0(SALU_CYCLE_1) | instskip(NEXT) | instid1(SALU_CYCLE_1)
	s_bitset1_b32 s0, 10
	s_mov_b32 m0, s0
	s_sendmsg sendmsg(MSG_INTERRUPT)
	s_mov_b32 m0, ttmp2
.LBB16_1360:                            ; =>This Inner Loop Header: Depth=1
	s_sethalt 5
	s_branch .LBB16_1360
.LBB16_1361:
	s_trap 2
	s_sendmsg_rtn_b32 s0, sendmsg(MSG_RTN_GET_DOORBELL)
	s_mov_b32 ttmp2, m0
	s_waitcnt lgkmcnt(0)
	s_and_b32 s0, s0, 0x3ff
	s_delay_alu instid0(SALU_CYCLE_1) | instskip(NEXT) | instid1(SALU_CYCLE_1)
	s_bitset1_b32 s0, 10
	s_mov_b32 m0, s0
	s_sendmsg sendmsg(MSG_INTERRUPT)
	s_mov_b32 m0, ttmp2
.LBB16_1362:                            ; =>This Inner Loop Header: Depth=1
	s_sethalt 5
	s_branch .LBB16_1362
.LBB16_1363:
	s_trap 2
	s_sendmsg_rtn_b32 s0, sendmsg(MSG_RTN_GET_DOORBELL)
	s_mov_b32 ttmp2, m0
	s_waitcnt lgkmcnt(0)
	s_and_b32 s0, s0, 0x3ff
	s_delay_alu instid0(SALU_CYCLE_1) | instskip(NEXT) | instid1(SALU_CYCLE_1)
	s_bitset1_b32 s0, 10
	s_mov_b32 m0, s0
	s_sendmsg sendmsg(MSG_INTERRUPT)
	s_mov_b32 m0, ttmp2
.LBB16_1364:                            ; =>This Inner Loop Header: Depth=1
	s_sethalt 5
	s_branch .LBB16_1364
.LBB16_1365:
	s_trap 2
	s_sendmsg_rtn_b32 s0, sendmsg(MSG_RTN_GET_DOORBELL)
	s_mov_b32 ttmp2, m0
	s_waitcnt lgkmcnt(0)
	s_and_b32 s0, s0, 0x3ff
	s_delay_alu instid0(SALU_CYCLE_1) | instskip(NEXT) | instid1(SALU_CYCLE_1)
	s_bitset1_b32 s0, 10
	s_mov_b32 m0, s0
	s_sendmsg sendmsg(MSG_INTERRUPT)
	s_mov_b32 m0, ttmp2
.LBB16_1366:                            ; =>This Inner Loop Header: Depth=1
	s_sethalt 5
	s_branch .LBB16_1366
.LBB16_1367:
	s_trap 2
	s_sendmsg_rtn_b32 s0, sendmsg(MSG_RTN_GET_DOORBELL)
	s_mov_b32 ttmp2, m0
	s_waitcnt lgkmcnt(0)
	s_and_b32 s0, s0, 0x3ff
	s_delay_alu instid0(SALU_CYCLE_1) | instskip(NEXT) | instid1(SALU_CYCLE_1)
	s_bitset1_b32 s0, 10
	s_mov_b32 m0, s0
	s_sendmsg sendmsg(MSG_INTERRUPT)
	s_mov_b32 m0, ttmp2
.LBB16_1368:                            ; =>This Inner Loop Header: Depth=1
	s_sethalt 5
	s_branch .LBB16_1368
.LBB16_1369:
	s_trap 2
	s_sendmsg_rtn_b32 s0, sendmsg(MSG_RTN_GET_DOORBELL)
	s_mov_b32 ttmp2, m0
	s_waitcnt lgkmcnt(0)
	s_and_b32 s0, s0, 0x3ff
	s_delay_alu instid0(SALU_CYCLE_1) | instskip(NEXT) | instid1(SALU_CYCLE_1)
	s_bitset1_b32 s0, 10
	s_mov_b32 m0, s0
	s_sendmsg sendmsg(MSG_INTERRUPT)
	s_mov_b32 m0, ttmp2
.LBB16_1370:                            ; =>This Inner Loop Header: Depth=1
	s_sethalt 5
	s_branch .LBB16_1370
.LBB16_1371:
	s_trap 2
	s_sendmsg_rtn_b32 s0, sendmsg(MSG_RTN_GET_DOORBELL)
	s_mov_b32 ttmp2, m0
	s_waitcnt lgkmcnt(0)
	s_and_b32 s0, s0, 0x3ff
	s_delay_alu instid0(SALU_CYCLE_1) | instskip(NEXT) | instid1(SALU_CYCLE_1)
	s_bitset1_b32 s0, 10
	s_mov_b32 m0, s0
	s_sendmsg sendmsg(MSG_INTERRUPT)
	s_mov_b32 m0, ttmp2
.LBB16_1372:                            ; =>This Inner Loop Header: Depth=1
	s_sethalt 5
	s_branch .LBB16_1372
.LBB16_1373:
	s_trap 2
	s_sendmsg_rtn_b32 s0, sendmsg(MSG_RTN_GET_DOORBELL)
	s_mov_b32 ttmp2, m0
	s_waitcnt lgkmcnt(0)
	s_and_b32 s0, s0, 0x3ff
	s_delay_alu instid0(SALU_CYCLE_1) | instskip(NEXT) | instid1(SALU_CYCLE_1)
	s_bitset1_b32 s0, 10
	s_mov_b32 m0, s0
	s_sendmsg sendmsg(MSG_INTERRUPT)
	s_mov_b32 m0, ttmp2
.LBB16_1374:                            ; =>This Inner Loop Header: Depth=1
	s_sethalt 5
	s_branch .LBB16_1374
.LBB16_1375:
	s_trap 2
	s_sendmsg_rtn_b32 s0, sendmsg(MSG_RTN_GET_DOORBELL)
	s_mov_b32 ttmp2, m0
	s_waitcnt lgkmcnt(0)
	s_and_b32 s0, s0, 0x3ff
	s_delay_alu instid0(SALU_CYCLE_1) | instskip(NEXT) | instid1(SALU_CYCLE_1)
	s_bitset1_b32 s0, 10
	s_mov_b32 m0, s0
	s_sendmsg sendmsg(MSG_INTERRUPT)
	s_mov_b32 m0, ttmp2
.LBB16_1376:                            ; =>This Inner Loop Header: Depth=1
	s_sethalt 5
	s_branch .LBB16_1376
.LBB16_1377:
	s_trap 2
	s_sendmsg_rtn_b32 s0, sendmsg(MSG_RTN_GET_DOORBELL)
	s_mov_b32 ttmp2, m0
	s_waitcnt lgkmcnt(0)
	s_and_b32 s0, s0, 0x3ff
	s_delay_alu instid0(SALU_CYCLE_1) | instskip(NEXT) | instid1(SALU_CYCLE_1)
	s_bitset1_b32 s0, 10
	s_mov_b32 m0, s0
	s_sendmsg sendmsg(MSG_INTERRUPT)
	s_mov_b32 m0, ttmp2
.LBB16_1378:                            ; =>This Inner Loop Header: Depth=1
	s_sethalt 5
	s_branch .LBB16_1378
.LBB16_1379:
	s_trap 2
	s_sendmsg_rtn_b32 s0, sendmsg(MSG_RTN_GET_DOORBELL)
	s_mov_b32 ttmp2, m0
	s_waitcnt lgkmcnt(0)
	s_and_b32 s0, s0, 0x3ff
	s_delay_alu instid0(SALU_CYCLE_1) | instskip(NEXT) | instid1(SALU_CYCLE_1)
	s_bitset1_b32 s0, 10
	s_mov_b32 m0, s0
	s_sendmsg sendmsg(MSG_INTERRUPT)
	s_mov_b32 m0, ttmp2
.LBB16_1380:                            ; =>This Inner Loop Header: Depth=1
	s_sethalt 5
	s_branch .LBB16_1380
.LBB16_1381:
	s_trap 2
	s_sendmsg_rtn_b32 s0, sendmsg(MSG_RTN_GET_DOORBELL)
	s_mov_b32 ttmp2, m0
	s_waitcnt lgkmcnt(0)
	s_and_b32 s0, s0, 0x3ff
	s_delay_alu instid0(SALU_CYCLE_1) | instskip(NEXT) | instid1(SALU_CYCLE_1)
	s_bitset1_b32 s0, 10
	s_mov_b32 m0, s0
	s_sendmsg sendmsg(MSG_INTERRUPT)
	s_mov_b32 m0, ttmp2
.LBB16_1382:                            ; =>This Inner Loop Header: Depth=1
	s_sethalt 5
	s_branch .LBB16_1382
.LBB16_1383:
	s_trap 2
	s_sendmsg_rtn_b32 s0, sendmsg(MSG_RTN_GET_DOORBELL)
	s_mov_b32 ttmp2, m0
	s_waitcnt lgkmcnt(0)
	s_and_b32 s0, s0, 0x3ff
	s_delay_alu instid0(SALU_CYCLE_1) | instskip(NEXT) | instid1(SALU_CYCLE_1)
	s_bitset1_b32 s0, 10
	s_mov_b32 m0, s0
	s_sendmsg sendmsg(MSG_INTERRUPT)
	s_mov_b32 m0, ttmp2
.LBB16_1384:                            ; =>This Inner Loop Header: Depth=1
	s_sethalt 5
	s_branch .LBB16_1384
.LBB16_1385:
	s_trap 2
	s_sendmsg_rtn_b32 s0, sendmsg(MSG_RTN_GET_DOORBELL)
	s_mov_b32 ttmp2, m0
	s_waitcnt lgkmcnt(0)
	s_and_b32 s0, s0, 0x3ff
	s_delay_alu instid0(SALU_CYCLE_1) | instskip(NEXT) | instid1(SALU_CYCLE_1)
	s_bitset1_b32 s0, 10
	s_mov_b32 m0, s0
	s_sendmsg sendmsg(MSG_INTERRUPT)
	s_mov_b32 m0, ttmp2
.LBB16_1386:                            ; =>This Inner Loop Header: Depth=1
	s_sethalt 5
	s_branch .LBB16_1386
.LBB16_1387:
	s_trap 2
	s_sendmsg_rtn_b32 s0, sendmsg(MSG_RTN_GET_DOORBELL)
	s_mov_b32 ttmp2, m0
	s_waitcnt lgkmcnt(0)
	s_and_b32 s0, s0, 0x3ff
	s_delay_alu instid0(SALU_CYCLE_1) | instskip(NEXT) | instid1(SALU_CYCLE_1)
	s_bitset1_b32 s0, 10
	s_mov_b32 m0, s0
	s_sendmsg sendmsg(MSG_INTERRUPT)
	s_mov_b32 m0, ttmp2
.LBB16_1388:                            ; =>This Inner Loop Header: Depth=1
	s_sethalt 5
	s_branch .LBB16_1388
.LBB16_1389:
	s_trap 2
	s_sendmsg_rtn_b32 s0, sendmsg(MSG_RTN_GET_DOORBELL)
	s_mov_b32 ttmp2, m0
	s_waitcnt lgkmcnt(0)
	s_and_b32 s0, s0, 0x3ff
	s_delay_alu instid0(SALU_CYCLE_1) | instskip(NEXT) | instid1(SALU_CYCLE_1)
	s_bitset1_b32 s0, 10
	s_mov_b32 m0, s0
	s_sendmsg sendmsg(MSG_INTERRUPT)
	s_mov_b32 m0, ttmp2
.LBB16_1390:                            ; =>This Inner Loop Header: Depth=1
	s_sethalt 5
	s_branch .LBB16_1390
.LBB16_1391:
	s_trap 2
	s_sendmsg_rtn_b32 s0, sendmsg(MSG_RTN_GET_DOORBELL)
	s_mov_b32 ttmp2, m0
	s_waitcnt lgkmcnt(0)
	s_and_b32 s0, s0, 0x3ff
	s_delay_alu instid0(SALU_CYCLE_1) | instskip(NEXT) | instid1(SALU_CYCLE_1)
	s_bitset1_b32 s0, 10
	s_mov_b32 m0, s0
	s_sendmsg sendmsg(MSG_INTERRUPT)
	s_mov_b32 m0, ttmp2
.LBB16_1392:                            ; =>This Inner Loop Header: Depth=1
	s_sethalt 5
	s_branch .LBB16_1392
.LBB16_1393:
	s_trap 2
	s_sendmsg_rtn_b32 s0, sendmsg(MSG_RTN_GET_DOORBELL)
	s_mov_b32 ttmp2, m0
	s_waitcnt lgkmcnt(0)
	s_and_b32 s0, s0, 0x3ff
	s_delay_alu instid0(SALU_CYCLE_1) | instskip(NEXT) | instid1(SALU_CYCLE_1)
	s_bitset1_b32 s0, 10
	s_mov_b32 m0, s0
	s_sendmsg sendmsg(MSG_INTERRUPT)
	s_mov_b32 m0, ttmp2
.LBB16_1394:                            ; =>This Inner Loop Header: Depth=1
	s_sethalt 5
	s_branch .LBB16_1394
.LBB16_1395:
	s_trap 2
	s_sendmsg_rtn_b32 s0, sendmsg(MSG_RTN_GET_DOORBELL)
	s_mov_b32 ttmp2, m0
	s_waitcnt lgkmcnt(0)
	s_and_b32 s0, s0, 0x3ff
	s_delay_alu instid0(SALU_CYCLE_1) | instskip(NEXT) | instid1(SALU_CYCLE_1)
	s_bitset1_b32 s0, 10
	s_mov_b32 m0, s0
	s_sendmsg sendmsg(MSG_INTERRUPT)
	s_mov_b32 m0, ttmp2
.LBB16_1396:                            ; =>This Inner Loop Header: Depth=1
	s_sethalt 5
	s_branch .LBB16_1396
.LBB16_1397:
	s_trap 2
	s_sendmsg_rtn_b32 s0, sendmsg(MSG_RTN_GET_DOORBELL)
	s_mov_b32 ttmp2, m0
	s_waitcnt lgkmcnt(0)
	s_and_b32 s0, s0, 0x3ff
	s_delay_alu instid0(SALU_CYCLE_1) | instskip(NEXT) | instid1(SALU_CYCLE_1)
	s_bitset1_b32 s0, 10
	s_mov_b32 m0, s0
	s_sendmsg sendmsg(MSG_INTERRUPT)
	s_mov_b32 m0, ttmp2
.LBB16_1398:                            ; =>This Inner Loop Header: Depth=1
	s_sethalt 5
	s_branch .LBB16_1398
.LBB16_1399:
	s_trap 2
	s_sendmsg_rtn_b32 s0, sendmsg(MSG_RTN_GET_DOORBELL)
	s_mov_b32 ttmp2, m0
	s_waitcnt lgkmcnt(0)
	s_and_b32 s0, s0, 0x3ff
	s_delay_alu instid0(SALU_CYCLE_1) | instskip(NEXT) | instid1(SALU_CYCLE_1)
	s_bitset1_b32 s0, 10
	s_mov_b32 m0, s0
	s_sendmsg sendmsg(MSG_INTERRUPT)
	s_mov_b32 m0, ttmp2
.LBB16_1400:                            ; =>This Inner Loop Header: Depth=1
	s_sethalt 5
	s_branch .LBB16_1400
.LBB16_1401:
	s_trap 2
	s_sendmsg_rtn_b32 s0, sendmsg(MSG_RTN_GET_DOORBELL)
	s_mov_b32 ttmp2, m0
	s_waitcnt lgkmcnt(0)
	s_and_b32 s0, s0, 0x3ff
	s_delay_alu instid0(SALU_CYCLE_1) | instskip(NEXT) | instid1(SALU_CYCLE_1)
	s_bitset1_b32 s0, 10
	s_mov_b32 m0, s0
	s_sendmsg sendmsg(MSG_INTERRUPT)
	s_mov_b32 m0, ttmp2
.LBB16_1402:                            ; =>This Inner Loop Header: Depth=1
	s_sethalt 5
	s_branch .LBB16_1402
.LBB16_1403:
	s_trap 2
	s_sendmsg_rtn_b32 s0, sendmsg(MSG_RTN_GET_DOORBELL)
	s_mov_b32 ttmp2, m0
	s_waitcnt lgkmcnt(0)
	s_and_b32 s0, s0, 0x3ff
	s_delay_alu instid0(SALU_CYCLE_1) | instskip(NEXT) | instid1(SALU_CYCLE_1)
	s_bitset1_b32 s0, 10
	s_mov_b32 m0, s0
	s_sendmsg sendmsg(MSG_INTERRUPT)
	s_mov_b32 m0, ttmp2
.LBB16_1404:                            ; =>This Inner Loop Header: Depth=1
	s_sethalt 5
	s_branch .LBB16_1404
.LBB16_1405:
	s_trap 2
	s_sendmsg_rtn_b32 s0, sendmsg(MSG_RTN_GET_DOORBELL)
	s_mov_b32 ttmp2, m0
	s_waitcnt lgkmcnt(0)
	s_and_b32 s0, s0, 0x3ff
	s_delay_alu instid0(SALU_CYCLE_1) | instskip(NEXT) | instid1(SALU_CYCLE_1)
	s_bitset1_b32 s0, 10
	s_mov_b32 m0, s0
	s_sendmsg sendmsg(MSG_INTERRUPT)
	s_mov_b32 m0, ttmp2
.LBB16_1406:                            ; =>This Inner Loop Header: Depth=1
	s_sethalt 5
	s_branch .LBB16_1406
.LBB16_1407:
	s_trap 2
	s_sendmsg_rtn_b32 s0, sendmsg(MSG_RTN_GET_DOORBELL)
	s_mov_b32 ttmp2, m0
	s_waitcnt lgkmcnt(0)
	s_and_b32 s0, s0, 0x3ff
	s_delay_alu instid0(SALU_CYCLE_1) | instskip(NEXT) | instid1(SALU_CYCLE_1)
	s_bitset1_b32 s0, 10
	s_mov_b32 m0, s0
	s_sendmsg sendmsg(MSG_INTERRUPT)
	s_mov_b32 m0, ttmp2
.LBB16_1408:                            ; =>This Inner Loop Header: Depth=1
	s_sethalt 5
	s_branch .LBB16_1408
.LBB16_1409:
	s_trap 2
	s_sendmsg_rtn_b32 s0, sendmsg(MSG_RTN_GET_DOORBELL)
	s_mov_b32 ttmp2, m0
	s_waitcnt lgkmcnt(0)
	s_and_b32 s0, s0, 0x3ff
	s_delay_alu instid0(SALU_CYCLE_1) | instskip(NEXT) | instid1(SALU_CYCLE_1)
	s_bitset1_b32 s0, 10
	s_mov_b32 m0, s0
	s_sendmsg sendmsg(MSG_INTERRUPT)
	s_mov_b32 m0, ttmp2
.LBB16_1410:                            ; =>This Inner Loop Header: Depth=1
	s_sethalt 5
	s_branch .LBB16_1410
.LBB16_1411:
	s_trap 2
	s_sendmsg_rtn_b32 s0, sendmsg(MSG_RTN_GET_DOORBELL)
	s_mov_b32 ttmp2, m0
	s_waitcnt lgkmcnt(0)
	s_and_b32 s0, s0, 0x3ff
	s_delay_alu instid0(SALU_CYCLE_1) | instskip(NEXT) | instid1(SALU_CYCLE_1)
	s_bitset1_b32 s0, 10
	s_mov_b32 m0, s0
	s_sendmsg sendmsg(MSG_INTERRUPT)
	s_mov_b32 m0, ttmp2
.LBB16_1412:                            ; =>This Inner Loop Header: Depth=1
	s_sethalt 5
	s_branch .LBB16_1412
.LBB16_1413:
	s_trap 2
	s_sendmsg_rtn_b32 s0, sendmsg(MSG_RTN_GET_DOORBELL)
	s_mov_b32 ttmp2, m0
	s_waitcnt lgkmcnt(0)
	s_and_b32 s0, s0, 0x3ff
	s_delay_alu instid0(SALU_CYCLE_1) | instskip(NEXT) | instid1(SALU_CYCLE_1)
	s_bitset1_b32 s0, 10
	s_mov_b32 m0, s0
	s_sendmsg sendmsg(MSG_INTERRUPT)
	s_mov_b32 m0, ttmp2
.LBB16_1414:                            ; =>This Inner Loop Header: Depth=1
	s_sethalt 5
	s_branch .LBB16_1414
.LBB16_1415:
	s_trap 2
	s_sendmsg_rtn_b32 s0, sendmsg(MSG_RTN_GET_DOORBELL)
	s_mov_b32 ttmp2, m0
	s_waitcnt lgkmcnt(0)
	s_and_b32 s0, s0, 0x3ff
	s_delay_alu instid0(SALU_CYCLE_1) | instskip(NEXT) | instid1(SALU_CYCLE_1)
	s_bitset1_b32 s0, 10
	s_mov_b32 m0, s0
	s_sendmsg sendmsg(MSG_INTERRUPT)
	s_mov_b32 m0, ttmp2
.LBB16_1416:                            ; =>This Inner Loop Header: Depth=1
	s_sethalt 5
	s_branch .LBB16_1416
.LBB16_1417:
	s_trap 2
	s_sendmsg_rtn_b32 s0, sendmsg(MSG_RTN_GET_DOORBELL)
	s_mov_b32 ttmp2, m0
	s_waitcnt lgkmcnt(0)
	s_and_b32 s0, s0, 0x3ff
	s_delay_alu instid0(SALU_CYCLE_1) | instskip(NEXT) | instid1(SALU_CYCLE_1)
	s_bitset1_b32 s0, 10
	s_mov_b32 m0, s0
	s_sendmsg sendmsg(MSG_INTERRUPT)
	s_mov_b32 m0, ttmp2
.LBB16_1418:                            ; =>This Inner Loop Header: Depth=1
	s_sethalt 5
	s_branch .LBB16_1418
.LBB16_1419:
	s_trap 2
	s_sendmsg_rtn_b32 s0, sendmsg(MSG_RTN_GET_DOORBELL)
	s_mov_b32 ttmp2, m0
	s_waitcnt lgkmcnt(0)
	s_and_b32 s0, s0, 0x3ff
	s_delay_alu instid0(SALU_CYCLE_1) | instskip(NEXT) | instid1(SALU_CYCLE_1)
	s_bitset1_b32 s0, 10
	s_mov_b32 m0, s0
	s_sendmsg sendmsg(MSG_INTERRUPT)
	s_mov_b32 m0, ttmp2
.LBB16_1420:                            ; =>This Inner Loop Header: Depth=1
	s_sethalt 5
	s_branch .LBB16_1420
.LBB16_1421:
	s_trap 2
	s_sendmsg_rtn_b32 s0, sendmsg(MSG_RTN_GET_DOORBELL)
	s_mov_b32 ttmp2, m0
	s_waitcnt lgkmcnt(0)
	s_and_b32 s0, s0, 0x3ff
	s_delay_alu instid0(SALU_CYCLE_1) | instskip(NEXT) | instid1(SALU_CYCLE_1)
	s_bitset1_b32 s0, 10
	s_mov_b32 m0, s0
	s_sendmsg sendmsg(MSG_INTERRUPT)
	s_mov_b32 m0, ttmp2
.LBB16_1422:                            ; =>This Inner Loop Header: Depth=1
	s_sethalt 5
	s_branch .LBB16_1422
.LBB16_1423:
	s_trap 2
	s_sendmsg_rtn_b32 s0, sendmsg(MSG_RTN_GET_DOORBELL)
	s_mov_b32 ttmp2, m0
	s_waitcnt lgkmcnt(0)
	s_and_b32 s0, s0, 0x3ff
	s_delay_alu instid0(SALU_CYCLE_1) | instskip(NEXT) | instid1(SALU_CYCLE_1)
	s_bitset1_b32 s0, 10
	s_mov_b32 m0, s0
	s_sendmsg sendmsg(MSG_INTERRUPT)
	s_mov_b32 m0, ttmp2
.LBB16_1424:                            ; =>This Inner Loop Header: Depth=1
	s_sethalt 5
	s_branch .LBB16_1424
.LBB16_1425:
	s_trap 2
	s_sendmsg_rtn_b32 s0, sendmsg(MSG_RTN_GET_DOORBELL)
	s_mov_b32 ttmp2, m0
	s_waitcnt lgkmcnt(0)
	s_and_b32 s0, s0, 0x3ff
	s_delay_alu instid0(SALU_CYCLE_1) | instskip(NEXT) | instid1(SALU_CYCLE_1)
	s_bitset1_b32 s0, 10
	s_mov_b32 m0, s0
	s_sendmsg sendmsg(MSG_INTERRUPT)
	s_mov_b32 m0, ttmp2
.LBB16_1426:                            ; =>This Inner Loop Header: Depth=1
	s_sethalt 5
	s_branch .LBB16_1426
.LBB16_1427:
	s_trap 2
	s_sendmsg_rtn_b32 s0, sendmsg(MSG_RTN_GET_DOORBELL)
	s_mov_b32 ttmp2, m0
	s_waitcnt lgkmcnt(0)
	s_and_b32 s0, s0, 0x3ff
	s_delay_alu instid0(SALU_CYCLE_1) | instskip(NEXT) | instid1(SALU_CYCLE_1)
	s_bitset1_b32 s0, 10
	s_mov_b32 m0, s0
	s_sendmsg sendmsg(MSG_INTERRUPT)
	s_mov_b32 m0, ttmp2
.LBB16_1428:                            ; =>This Inner Loop Header: Depth=1
	s_sethalt 5
	s_branch .LBB16_1428
.LBB16_1429:
	s_trap 2
	s_sendmsg_rtn_b32 s0, sendmsg(MSG_RTN_GET_DOORBELL)
	s_mov_b32 ttmp2, m0
	s_waitcnt lgkmcnt(0)
	s_and_b32 s0, s0, 0x3ff
	s_delay_alu instid0(SALU_CYCLE_1) | instskip(NEXT) | instid1(SALU_CYCLE_1)
	s_bitset1_b32 s0, 10
	s_mov_b32 m0, s0
	s_sendmsg sendmsg(MSG_INTERRUPT)
	s_mov_b32 m0, ttmp2
.LBB16_1430:                            ; =>This Inner Loop Header: Depth=1
	s_sethalt 5
	s_branch .LBB16_1430
.LBB16_1431:
	s_trap 2
	s_sendmsg_rtn_b32 s0, sendmsg(MSG_RTN_GET_DOORBELL)
	s_mov_b32 ttmp2, m0
	s_waitcnt lgkmcnt(0)
	s_and_b32 s0, s0, 0x3ff
	s_delay_alu instid0(SALU_CYCLE_1) | instskip(NEXT) | instid1(SALU_CYCLE_1)
	s_bitset1_b32 s0, 10
	s_mov_b32 m0, s0
	s_sendmsg sendmsg(MSG_INTERRUPT)
	s_mov_b32 m0, ttmp2
.LBB16_1432:                            ; =>This Inner Loop Header: Depth=1
	s_sethalt 5
	s_branch .LBB16_1432
.LBB16_1433:
	s_trap 2
	s_sendmsg_rtn_b32 s0, sendmsg(MSG_RTN_GET_DOORBELL)
	s_mov_b32 ttmp2, m0
	s_waitcnt lgkmcnt(0)
	s_and_b32 s0, s0, 0x3ff
	s_delay_alu instid0(SALU_CYCLE_1) | instskip(NEXT) | instid1(SALU_CYCLE_1)
	s_bitset1_b32 s0, 10
	s_mov_b32 m0, s0
	s_sendmsg sendmsg(MSG_INTERRUPT)
	s_mov_b32 m0, ttmp2
.LBB16_1434:                            ; =>This Inner Loop Header: Depth=1
	s_sethalt 5
	s_branch .LBB16_1434
.LBB16_1435:
	s_trap 2
	s_sendmsg_rtn_b32 s0, sendmsg(MSG_RTN_GET_DOORBELL)
	s_mov_b32 ttmp2, m0
	s_waitcnt lgkmcnt(0)
	s_and_b32 s0, s0, 0x3ff
	s_delay_alu instid0(SALU_CYCLE_1) | instskip(NEXT) | instid1(SALU_CYCLE_1)
	s_bitset1_b32 s0, 10
	s_mov_b32 m0, s0
	s_sendmsg sendmsg(MSG_INTERRUPT)
	s_mov_b32 m0, ttmp2
.LBB16_1436:                            ; =>This Inner Loop Header: Depth=1
	s_sethalt 5
	s_branch .LBB16_1436
.LBB16_1437:
	s_trap 2
	s_sendmsg_rtn_b32 s0, sendmsg(MSG_RTN_GET_DOORBELL)
	s_mov_b32 ttmp2, m0
	s_waitcnt lgkmcnt(0)
	s_and_b32 s0, s0, 0x3ff
	s_delay_alu instid0(SALU_CYCLE_1) | instskip(NEXT) | instid1(SALU_CYCLE_1)
	s_bitset1_b32 s0, 10
	s_mov_b32 m0, s0
	s_sendmsg sendmsg(MSG_INTERRUPT)
	s_mov_b32 m0, ttmp2
.LBB16_1438:                            ; =>This Inner Loop Header: Depth=1
	s_sethalt 5
	s_branch .LBB16_1438
.LBB16_1439:
	s_trap 2
	s_sendmsg_rtn_b32 s0, sendmsg(MSG_RTN_GET_DOORBELL)
	s_mov_b32 ttmp2, m0
	s_waitcnt lgkmcnt(0)
	s_and_b32 s0, s0, 0x3ff
	s_delay_alu instid0(SALU_CYCLE_1) | instskip(NEXT) | instid1(SALU_CYCLE_1)
	s_bitset1_b32 s0, 10
	s_mov_b32 m0, s0
	s_sendmsg sendmsg(MSG_INTERRUPT)
	s_mov_b32 m0, ttmp2
.LBB16_1440:                            ; =>This Inner Loop Header: Depth=1
	s_sethalt 5
	s_branch .LBB16_1440
.LBB16_1441:
	s_trap 2
	s_sendmsg_rtn_b32 s0, sendmsg(MSG_RTN_GET_DOORBELL)
	s_mov_b32 ttmp2, m0
	s_waitcnt lgkmcnt(0)
	s_and_b32 s0, s0, 0x3ff
	s_delay_alu instid0(SALU_CYCLE_1) | instskip(NEXT) | instid1(SALU_CYCLE_1)
	s_bitset1_b32 s0, 10
	s_mov_b32 m0, s0
	s_sendmsg sendmsg(MSG_INTERRUPT)
	s_mov_b32 m0, ttmp2
.LBB16_1442:                            ; =>This Inner Loop Header: Depth=1
	s_sethalt 5
	s_branch .LBB16_1442
.LBB16_1443:
	s_trap 2
	s_sendmsg_rtn_b32 s0, sendmsg(MSG_RTN_GET_DOORBELL)
	s_mov_b32 ttmp2, m0
	s_waitcnt lgkmcnt(0)
	s_and_b32 s0, s0, 0x3ff
	s_delay_alu instid0(SALU_CYCLE_1) | instskip(NEXT) | instid1(SALU_CYCLE_1)
	s_bitset1_b32 s0, 10
	s_mov_b32 m0, s0
	s_sendmsg sendmsg(MSG_INTERRUPT)
	s_mov_b32 m0, ttmp2
.LBB16_1444:                            ; =>This Inner Loop Header: Depth=1
	s_sethalt 5
	s_branch .LBB16_1444
.LBB16_1445:
	s_trap 2
	s_sendmsg_rtn_b32 s0, sendmsg(MSG_RTN_GET_DOORBELL)
	s_mov_b32 ttmp2, m0
	s_waitcnt lgkmcnt(0)
	s_and_b32 s0, s0, 0x3ff
	s_delay_alu instid0(SALU_CYCLE_1) | instskip(NEXT) | instid1(SALU_CYCLE_1)
	s_bitset1_b32 s0, 10
	s_mov_b32 m0, s0
	s_sendmsg sendmsg(MSG_INTERRUPT)
	s_mov_b32 m0, ttmp2
.LBB16_1446:                            ; =>This Inner Loop Header: Depth=1
	s_sethalt 5
	s_branch .LBB16_1446
.LBB16_1447:
	s_trap 2
	s_sendmsg_rtn_b32 s0, sendmsg(MSG_RTN_GET_DOORBELL)
	s_mov_b32 ttmp2, m0
	s_waitcnt lgkmcnt(0)
	s_and_b32 s0, s0, 0x3ff
	s_delay_alu instid0(SALU_CYCLE_1) | instskip(NEXT) | instid1(SALU_CYCLE_1)
	s_bitset1_b32 s0, 10
	s_mov_b32 m0, s0
	s_sendmsg sendmsg(MSG_INTERRUPT)
	s_mov_b32 m0, ttmp2
.LBB16_1448:                            ; =>This Inner Loop Header: Depth=1
	s_sethalt 5
	s_branch .LBB16_1448
.LBB16_1449:
	s_trap 2
	s_sendmsg_rtn_b32 s0, sendmsg(MSG_RTN_GET_DOORBELL)
	s_mov_b32 ttmp2, m0
	s_waitcnt lgkmcnt(0)
	s_and_b32 s0, s0, 0x3ff
	s_delay_alu instid0(SALU_CYCLE_1) | instskip(NEXT) | instid1(SALU_CYCLE_1)
	s_bitset1_b32 s0, 10
	s_mov_b32 m0, s0
	s_sendmsg sendmsg(MSG_INTERRUPT)
	s_mov_b32 m0, ttmp2
.LBB16_1450:                            ; =>This Inner Loop Header: Depth=1
	s_sethalt 5
	s_branch .LBB16_1450
.LBB16_1451:
	s_or_b32 exec_lo, exec_lo, s4
	s_and_saveexec_b32 s4, s5
	s_delay_alu instid0(SALU_CYCLE_1)
	s_xor_b32 s4, exec_lo, s4
	s_cbranch_execz .LBB16_1453
; %bb.1452:
	v_mov_b32_e32 v0, 1
	ds_store_b32 v0, v0
	s_cbranch_execnz .LBB16_1536
.LBB16_1453:
	s_or_b32 exec_lo, exec_lo, s3
	;;#ASMSTART
	s_wakeup
	;;#ASMEND
.LBB16_1454:
	s_or_b32 exec_lo, exec_lo, s2
.LBB16_1455:
	s_and_not1_saveexec_b32 s1, s1
	s_cbranch_execz .LBB16_1457
; %bb.1456:
	s_waitcnt lgkmcnt(0)
	s_waitcnt_vscnt null, 0x0
	buffer_gl1_inv
	buffer_gl0_inv
	s_barrier
.LBB16_1457:
	s_or_b32 exec_lo, exec_lo, s0
.LBB16_1458:
	s_and_not1_saveexec_b32 s22, s19
	s_cbranch_execz .LBB16_1460
; %bb.1459:
	s_getpc_b64 s[0:1]
	s_add_u32 s0, s0, __PRETTY_FUNCTION__._ZN10PrimitivesIa7FuncSumIaE12FanSymmetricILi1EELi0E11ProtoSimpleILi2ELi2ELi0ELi4ELi0ELi0EELi0ELb0ELi0ELi0ELi0EEC2EiiPKiS8_PKvPvmhhhP15ncclDevWorkCollP14ncclDevWorkP2pii@rel32@lo+4
	s_addc_u32 s1, s1, __PRETTY_FUNCTION__._ZN10PrimitivesIa7FuncSumIaE12FanSymmetricILi1EELi0E11ProtoSimpleILi2ELi2ELi0ELi4ELi0ELi0EELi0ELb0ELi0ELi0ELi0EEC2EiiPKiS8_PKvPvmhhhP15ncclDevWorkCollP14ncclDevWorkP2pii@rel32@hi+12
	s_delay_alu instid0(SALU_CYCLE_1) | instskip(SKIP_3) | instid1(SALU_CYCLE_1)
	v_dual_mov_b32 v0, s0 :: v_dual_mov_b32 v1, s1
	s_getpc_b64 s[2:3]
	s_add_u32 s2, s2, __assert_fail@rel32@lo+4
	s_addc_u32 s3, s3, __assert_fail@rel32@hi+12
	s_swappc_b64 s[30:31], s[2:3]
	; divergent unreachable
.LBB16_1460:
	s_or_b32 exec_lo, exec_lo, s22
.LBB16_1461:
	s_delay_alu instid0(SALU_CYCLE_1)
	s_or_b32 exec_lo, exec_lo, s21
	s_clause 0x8
	scratch_load_b32 v56, off, s33
	scratch_load_b32 v47, off, s33 offset:4
	scratch_load_b32 v46, off, s33 offset:8
	;; [unrolled: 1-line block ×8, first 2 shown]
	v_readlane_b32 s30, v57, 5
	v_readlane_b32 s31, v57, 6
	;; [unrolled: 1-line block ×8, first 2 shown]
	s_or_saveexec_b32 s1, -1
	s_clause 0x1
	scratch_load_b32 v57, off, s33 offset:36
	scratch_load_b32 v58, off, s33 offset:40
	s_mov_b32 exec_lo, s1
	s_addk_i32 s32, 0xffd0
	s_mov_b32 s33, s0
	s_waitcnt vmcnt(0) lgkmcnt(0)
	s_setpc_b64 s[30:31]
.LBB16_1462:
	s_trap 2
	s_sendmsg_rtn_b32 s0, sendmsg(MSG_RTN_GET_DOORBELL)
	s_mov_b32 ttmp2, m0
	s_waitcnt lgkmcnt(0)
	s_and_b32 s0, s0, 0x3ff
	s_delay_alu instid0(SALU_CYCLE_1) | instskip(NEXT) | instid1(SALU_CYCLE_1)
	s_bitset1_b32 s0, 10
	s_mov_b32 m0, s0
	s_sendmsg sendmsg(MSG_INTERRUPT)
	s_mov_b32 m0, ttmp2
.LBB16_1463:                            ; =>This Inner Loop Header: Depth=1
	s_sethalt 5
	s_branch .LBB16_1463
.LBB16_1464:
	s_trap 2
	s_sendmsg_rtn_b32 s0, sendmsg(MSG_RTN_GET_DOORBELL)
	s_mov_b32 ttmp2, m0
	s_waitcnt lgkmcnt(0)
	s_and_b32 s0, s0, 0x3ff
	s_delay_alu instid0(SALU_CYCLE_1) | instskip(NEXT) | instid1(SALU_CYCLE_1)
	s_bitset1_b32 s0, 10
	s_mov_b32 m0, s0
	s_sendmsg sendmsg(MSG_INTERRUPT)
	s_mov_b32 m0, ttmp2
.LBB16_1465:                            ; =>This Inner Loop Header: Depth=1
	s_sethalt 5
	s_branch .LBB16_1465
.LBB16_1466:
	s_trap 2
	s_sendmsg_rtn_b32 s0, sendmsg(MSG_RTN_GET_DOORBELL)
	s_mov_b32 ttmp2, m0
	s_waitcnt lgkmcnt(0)
	s_and_b32 s0, s0, 0x3ff
	s_delay_alu instid0(SALU_CYCLE_1) | instskip(NEXT) | instid1(SALU_CYCLE_1)
	s_bitset1_b32 s0, 10
	s_mov_b32 m0, s0
	s_sendmsg sendmsg(MSG_INTERRUPT)
	s_mov_b32 m0, ttmp2
.LBB16_1467:                            ; =>This Inner Loop Header: Depth=1
	s_sethalt 5
	s_branch .LBB16_1467
.LBB16_1468:
	s_trap 2
	s_sendmsg_rtn_b32 s0, sendmsg(MSG_RTN_GET_DOORBELL)
	s_mov_b32 ttmp2, m0
	s_waitcnt lgkmcnt(0)
	s_and_b32 s0, s0, 0x3ff
	s_delay_alu instid0(SALU_CYCLE_1) | instskip(NEXT) | instid1(SALU_CYCLE_1)
	s_bitset1_b32 s0, 10
	s_mov_b32 m0, s0
	s_sendmsg sendmsg(MSG_INTERRUPT)
	s_mov_b32 m0, ttmp2
.LBB16_1469:                            ; =>This Inner Loop Header: Depth=1
	s_sethalt 5
	s_branch .LBB16_1469
.LBB16_1470:
	s_trap 2
	s_sendmsg_rtn_b32 s0, sendmsg(MSG_RTN_GET_DOORBELL)
	s_mov_b32 ttmp2, m0
	s_waitcnt lgkmcnt(0)
	s_and_b32 s0, s0, 0x3ff
	s_delay_alu instid0(SALU_CYCLE_1) | instskip(NEXT) | instid1(SALU_CYCLE_1)
	s_bitset1_b32 s0, 10
	s_mov_b32 m0, s0
	s_sendmsg sendmsg(MSG_INTERRUPT)
	s_mov_b32 m0, ttmp2
.LBB16_1471:                            ; =>This Inner Loop Header: Depth=1
	s_sethalt 5
	s_branch .LBB16_1471
.LBB16_1472:
	s_trap 2
	s_sendmsg_rtn_b32 s0, sendmsg(MSG_RTN_GET_DOORBELL)
	s_mov_b32 ttmp2, m0
	s_waitcnt lgkmcnt(0)
	s_and_b32 s0, s0, 0x3ff
	s_delay_alu instid0(SALU_CYCLE_1) | instskip(NEXT) | instid1(SALU_CYCLE_1)
	s_bitset1_b32 s0, 10
	s_mov_b32 m0, s0
	s_sendmsg sendmsg(MSG_INTERRUPT)
	s_mov_b32 m0, ttmp2
.LBB16_1473:                            ; =>This Inner Loop Header: Depth=1
	s_sethalt 5
	s_branch .LBB16_1473
.LBB16_1474:
	s_trap 2
	s_sendmsg_rtn_b32 s0, sendmsg(MSG_RTN_GET_DOORBELL)
	s_mov_b32 ttmp2, m0
	s_waitcnt lgkmcnt(0)
	s_and_b32 s0, s0, 0x3ff
	s_delay_alu instid0(SALU_CYCLE_1) | instskip(NEXT) | instid1(SALU_CYCLE_1)
	s_bitset1_b32 s0, 10
	s_mov_b32 m0, s0
	s_sendmsg sendmsg(MSG_INTERRUPT)
	s_mov_b32 m0, ttmp2
.LBB16_1475:                            ; =>This Inner Loop Header: Depth=1
	s_sethalt 5
	s_branch .LBB16_1475
.LBB16_1476:
	s_trap 2
	s_sendmsg_rtn_b32 s0, sendmsg(MSG_RTN_GET_DOORBELL)
	s_mov_b32 ttmp2, m0
	s_waitcnt lgkmcnt(0)
	s_and_b32 s0, s0, 0x3ff
	s_delay_alu instid0(SALU_CYCLE_1) | instskip(NEXT) | instid1(SALU_CYCLE_1)
	s_bitset1_b32 s0, 10
	s_mov_b32 m0, s0
	s_sendmsg sendmsg(MSG_INTERRUPT)
	s_mov_b32 m0, ttmp2
.LBB16_1477:                            ; =>This Inner Loop Header: Depth=1
	s_sethalt 5
	s_branch .LBB16_1477
.LBB16_1478:
	s_trap 2
	s_sendmsg_rtn_b32 s0, sendmsg(MSG_RTN_GET_DOORBELL)
	s_mov_b32 ttmp2, m0
	s_waitcnt lgkmcnt(0)
	s_and_b32 s0, s0, 0x3ff
	s_delay_alu instid0(SALU_CYCLE_1) | instskip(NEXT) | instid1(SALU_CYCLE_1)
	s_bitset1_b32 s0, 10
	s_mov_b32 m0, s0
	s_sendmsg sendmsg(MSG_INTERRUPT)
	s_mov_b32 m0, ttmp2
.LBB16_1479:                            ; =>This Inner Loop Header: Depth=1
	s_sethalt 5
	s_branch .LBB16_1479
.LBB16_1480:
	s_trap 2
	s_sendmsg_rtn_b32 s0, sendmsg(MSG_RTN_GET_DOORBELL)
	s_mov_b32 ttmp2, m0
	s_waitcnt lgkmcnt(0)
	s_and_b32 s0, s0, 0x3ff
	s_delay_alu instid0(SALU_CYCLE_1) | instskip(NEXT) | instid1(SALU_CYCLE_1)
	s_bitset1_b32 s0, 10
	s_mov_b32 m0, s0
	s_sendmsg sendmsg(MSG_INTERRUPT)
	s_mov_b32 m0, ttmp2
.LBB16_1481:                            ; =>This Inner Loop Header: Depth=1
	s_sethalt 5
	s_branch .LBB16_1481
.LBB16_1482:
	s_trap 2
	s_sendmsg_rtn_b32 s0, sendmsg(MSG_RTN_GET_DOORBELL)
	s_mov_b32 ttmp2, m0
	s_waitcnt lgkmcnt(0)
	s_and_b32 s0, s0, 0x3ff
	s_delay_alu instid0(SALU_CYCLE_1) | instskip(NEXT) | instid1(SALU_CYCLE_1)
	s_bitset1_b32 s0, 10
	s_mov_b32 m0, s0
	s_sendmsg sendmsg(MSG_INTERRUPT)
	s_mov_b32 m0, ttmp2
.LBB16_1483:                            ; =>This Inner Loop Header: Depth=1
	s_sethalt 5
	s_branch .LBB16_1483
.LBB16_1484:
	s_trap 2
	s_sendmsg_rtn_b32 s0, sendmsg(MSG_RTN_GET_DOORBELL)
	s_mov_b32 ttmp2, m0
	s_waitcnt lgkmcnt(0)
	s_and_b32 s0, s0, 0x3ff
	s_delay_alu instid0(SALU_CYCLE_1) | instskip(NEXT) | instid1(SALU_CYCLE_1)
	s_bitset1_b32 s0, 10
	s_mov_b32 m0, s0
	s_sendmsg sendmsg(MSG_INTERRUPT)
	s_mov_b32 m0, ttmp2
.LBB16_1485:                            ; =>This Inner Loop Header: Depth=1
	s_sethalt 5
	s_branch .LBB16_1485
.LBB16_1486:
	s_trap 2
	s_sendmsg_rtn_b32 s0, sendmsg(MSG_RTN_GET_DOORBELL)
	s_mov_b32 ttmp2, m0
	s_waitcnt lgkmcnt(0)
	s_and_b32 s0, s0, 0x3ff
	s_delay_alu instid0(SALU_CYCLE_1) | instskip(NEXT) | instid1(SALU_CYCLE_1)
	s_bitset1_b32 s0, 10
	s_mov_b32 m0, s0
	s_sendmsg sendmsg(MSG_INTERRUPT)
	s_mov_b32 m0, ttmp2
.LBB16_1487:                            ; =>This Inner Loop Header: Depth=1
	s_sethalt 5
	s_branch .LBB16_1487
.LBB16_1488:
	s_trap 2
	s_sendmsg_rtn_b32 s0, sendmsg(MSG_RTN_GET_DOORBELL)
	s_mov_b32 ttmp2, m0
	s_waitcnt lgkmcnt(0)
	s_and_b32 s0, s0, 0x3ff
	s_delay_alu instid0(SALU_CYCLE_1) | instskip(NEXT) | instid1(SALU_CYCLE_1)
	s_bitset1_b32 s0, 10
	s_mov_b32 m0, s0
	s_sendmsg sendmsg(MSG_INTERRUPT)
	s_mov_b32 m0, ttmp2
.LBB16_1489:                            ; =>This Inner Loop Header: Depth=1
	s_sethalt 5
	s_branch .LBB16_1489
.LBB16_1490:
	s_trap 2
	s_sendmsg_rtn_b32 s0, sendmsg(MSG_RTN_GET_DOORBELL)
	s_mov_b32 ttmp2, m0
	s_waitcnt lgkmcnt(0)
	s_and_b32 s0, s0, 0x3ff
	s_delay_alu instid0(SALU_CYCLE_1) | instskip(NEXT) | instid1(SALU_CYCLE_1)
	s_bitset1_b32 s0, 10
	s_mov_b32 m0, s0
	s_sendmsg sendmsg(MSG_INTERRUPT)
	s_mov_b32 m0, ttmp2
.LBB16_1491:                            ; =>This Inner Loop Header: Depth=1
	s_sethalt 5
	s_branch .LBB16_1491
.LBB16_1492:
	s_trap 2
	s_sendmsg_rtn_b32 s0, sendmsg(MSG_RTN_GET_DOORBELL)
	s_mov_b32 ttmp2, m0
	s_waitcnt lgkmcnt(0)
	s_and_b32 s0, s0, 0x3ff
	s_delay_alu instid0(SALU_CYCLE_1) | instskip(NEXT) | instid1(SALU_CYCLE_1)
	s_bitset1_b32 s0, 10
	s_mov_b32 m0, s0
	s_sendmsg sendmsg(MSG_INTERRUPT)
	s_mov_b32 m0, ttmp2
.LBB16_1493:                            ; =>This Inner Loop Header: Depth=1
	s_sethalt 5
	s_branch .LBB16_1493
.LBB16_1494:
	s_trap 2
	s_sendmsg_rtn_b32 s0, sendmsg(MSG_RTN_GET_DOORBELL)
	s_mov_b32 ttmp2, m0
	s_waitcnt lgkmcnt(0)
	s_and_b32 s0, s0, 0x3ff
	s_delay_alu instid0(SALU_CYCLE_1) | instskip(NEXT) | instid1(SALU_CYCLE_1)
	s_bitset1_b32 s0, 10
	s_mov_b32 m0, s0
	s_sendmsg sendmsg(MSG_INTERRUPT)
	s_mov_b32 m0, ttmp2
.LBB16_1495:                            ; =>This Inner Loop Header: Depth=1
	s_sethalt 5
	s_branch .LBB16_1495
.LBB16_1496:
	s_trap 2
	s_sendmsg_rtn_b32 s0, sendmsg(MSG_RTN_GET_DOORBELL)
	s_mov_b32 ttmp2, m0
	s_waitcnt lgkmcnt(0)
	s_and_b32 s0, s0, 0x3ff
	s_delay_alu instid0(SALU_CYCLE_1) | instskip(NEXT) | instid1(SALU_CYCLE_1)
	s_bitset1_b32 s0, 10
	s_mov_b32 m0, s0
	s_sendmsg sendmsg(MSG_INTERRUPT)
	s_mov_b32 m0, ttmp2
.LBB16_1497:                            ; =>This Inner Loop Header: Depth=1
	s_sethalt 5
	s_branch .LBB16_1497
.LBB16_1498:
	s_trap 2
	s_sendmsg_rtn_b32 s0, sendmsg(MSG_RTN_GET_DOORBELL)
	s_mov_b32 ttmp2, m0
	s_waitcnt lgkmcnt(0)
	s_and_b32 s0, s0, 0x3ff
	s_delay_alu instid0(SALU_CYCLE_1) | instskip(NEXT) | instid1(SALU_CYCLE_1)
	s_bitset1_b32 s0, 10
	s_mov_b32 m0, s0
	s_sendmsg sendmsg(MSG_INTERRUPT)
	s_mov_b32 m0, ttmp2
.LBB16_1499:                            ; =>This Inner Loop Header: Depth=1
	s_sethalt 5
	s_branch .LBB16_1499
.LBB16_1500:
	s_trap 2
	s_sendmsg_rtn_b32 s0, sendmsg(MSG_RTN_GET_DOORBELL)
	s_mov_b32 ttmp2, m0
	s_waitcnt lgkmcnt(0)
	s_and_b32 s0, s0, 0x3ff
	s_delay_alu instid0(SALU_CYCLE_1) | instskip(NEXT) | instid1(SALU_CYCLE_1)
	s_bitset1_b32 s0, 10
	s_mov_b32 m0, s0
	s_sendmsg sendmsg(MSG_INTERRUPT)
	s_mov_b32 m0, ttmp2
.LBB16_1501:                            ; =>This Inner Loop Header: Depth=1
	s_sethalt 5
	s_branch .LBB16_1501
.LBB16_1502:
	s_trap 2
	s_sendmsg_rtn_b32 s0, sendmsg(MSG_RTN_GET_DOORBELL)
	s_mov_b32 ttmp2, m0
	s_waitcnt lgkmcnt(0)
	s_and_b32 s0, s0, 0x3ff
	s_delay_alu instid0(SALU_CYCLE_1) | instskip(NEXT) | instid1(SALU_CYCLE_1)
	s_bitset1_b32 s0, 10
	s_mov_b32 m0, s0
	s_sendmsg sendmsg(MSG_INTERRUPT)
	s_mov_b32 m0, ttmp2
.LBB16_1503:                            ; =>This Inner Loop Header: Depth=1
	s_sethalt 5
	s_branch .LBB16_1503
.LBB16_1504:
	s_trap 2
	s_sendmsg_rtn_b32 s0, sendmsg(MSG_RTN_GET_DOORBELL)
	s_mov_b32 ttmp2, m0
	s_waitcnt lgkmcnt(0)
	s_and_b32 s0, s0, 0x3ff
	s_delay_alu instid0(SALU_CYCLE_1) | instskip(NEXT) | instid1(SALU_CYCLE_1)
	s_bitset1_b32 s0, 10
	s_mov_b32 m0, s0
	s_sendmsg sendmsg(MSG_INTERRUPT)
	s_mov_b32 m0, ttmp2
.LBB16_1505:                            ; =>This Inner Loop Header: Depth=1
	s_sethalt 5
	s_branch .LBB16_1505
.LBB16_1506:
	s_trap 2
	s_sendmsg_rtn_b32 s0, sendmsg(MSG_RTN_GET_DOORBELL)
	s_mov_b32 ttmp2, m0
	s_waitcnt lgkmcnt(0)
	s_and_b32 s0, s0, 0x3ff
	s_delay_alu instid0(SALU_CYCLE_1) | instskip(NEXT) | instid1(SALU_CYCLE_1)
	s_bitset1_b32 s0, 10
	s_mov_b32 m0, s0
	s_sendmsg sendmsg(MSG_INTERRUPT)
	s_mov_b32 m0, ttmp2
.LBB16_1507:                            ; =>This Inner Loop Header: Depth=1
	s_sethalt 5
	s_branch .LBB16_1507
.LBB16_1508:
	s_trap 2
	s_sendmsg_rtn_b32 s0, sendmsg(MSG_RTN_GET_DOORBELL)
	s_mov_b32 ttmp2, m0
	s_waitcnt lgkmcnt(0)
	s_and_b32 s0, s0, 0x3ff
	s_delay_alu instid0(SALU_CYCLE_1) | instskip(NEXT) | instid1(SALU_CYCLE_1)
	s_bitset1_b32 s0, 10
	s_mov_b32 m0, s0
	s_sendmsg sendmsg(MSG_INTERRUPT)
	s_mov_b32 m0, ttmp2
.LBB16_1509:                            ; =>This Inner Loop Header: Depth=1
	s_sethalt 5
	s_branch .LBB16_1509
.LBB16_1510:
	s_trap 2
	s_sendmsg_rtn_b32 s0, sendmsg(MSG_RTN_GET_DOORBELL)
	s_mov_b32 ttmp2, m0
	s_waitcnt lgkmcnt(0)
	s_and_b32 s0, s0, 0x3ff
	s_delay_alu instid0(SALU_CYCLE_1) | instskip(NEXT) | instid1(SALU_CYCLE_1)
	s_bitset1_b32 s0, 10
	s_mov_b32 m0, s0
	s_sendmsg sendmsg(MSG_INTERRUPT)
	s_mov_b32 m0, ttmp2
.LBB16_1511:                            ; =>This Inner Loop Header: Depth=1
	s_sethalt 5
	s_branch .LBB16_1511
.LBB16_1512:
	s_trap 2
	s_sendmsg_rtn_b32 s0, sendmsg(MSG_RTN_GET_DOORBELL)
	s_mov_b32 ttmp2, m0
	s_waitcnt lgkmcnt(0)
	s_and_b32 s0, s0, 0x3ff
	s_delay_alu instid0(SALU_CYCLE_1) | instskip(NEXT) | instid1(SALU_CYCLE_1)
	s_bitset1_b32 s0, 10
	s_mov_b32 m0, s0
	s_sendmsg sendmsg(MSG_INTERRUPT)
	s_mov_b32 m0, ttmp2
.LBB16_1513:                            ; =>This Inner Loop Header: Depth=1
	s_sethalt 5
	s_branch .LBB16_1513
.LBB16_1514:
	s_trap 2
	s_sendmsg_rtn_b32 s0, sendmsg(MSG_RTN_GET_DOORBELL)
	s_mov_b32 ttmp2, m0
	s_waitcnt lgkmcnt(0)
	s_and_b32 s0, s0, 0x3ff
	s_delay_alu instid0(SALU_CYCLE_1) | instskip(NEXT) | instid1(SALU_CYCLE_1)
	s_bitset1_b32 s0, 10
	s_mov_b32 m0, s0
	s_sendmsg sendmsg(MSG_INTERRUPT)
	s_mov_b32 m0, ttmp2
.LBB16_1515:                            ; =>This Inner Loop Header: Depth=1
	s_sethalt 5
	s_branch .LBB16_1515
.LBB16_1516:
	s_trap 2
	s_sendmsg_rtn_b32 s0, sendmsg(MSG_RTN_GET_DOORBELL)
	s_mov_b32 ttmp2, m0
	s_waitcnt lgkmcnt(0)
	s_and_b32 s0, s0, 0x3ff
	s_delay_alu instid0(SALU_CYCLE_1) | instskip(NEXT) | instid1(SALU_CYCLE_1)
	s_bitset1_b32 s0, 10
	s_mov_b32 m0, s0
	s_sendmsg sendmsg(MSG_INTERRUPT)
	s_mov_b32 m0, ttmp2
.LBB16_1517:                            ; =>This Inner Loop Header: Depth=1
	s_sethalt 5
	s_branch .LBB16_1517
.LBB16_1518:
	s_trap 2
	s_sendmsg_rtn_b32 s0, sendmsg(MSG_RTN_GET_DOORBELL)
	s_mov_b32 ttmp2, m0
	s_waitcnt lgkmcnt(0)
	s_and_b32 s0, s0, 0x3ff
	s_delay_alu instid0(SALU_CYCLE_1) | instskip(NEXT) | instid1(SALU_CYCLE_1)
	s_bitset1_b32 s0, 10
	s_mov_b32 m0, s0
	s_sendmsg sendmsg(MSG_INTERRUPT)
	s_mov_b32 m0, ttmp2
.LBB16_1519:                            ; =>This Inner Loop Header: Depth=1
	s_sethalt 5
	s_branch .LBB16_1519
.LBB16_1520:
	s_trap 2
	s_sendmsg_rtn_b32 s0, sendmsg(MSG_RTN_GET_DOORBELL)
	s_mov_b32 ttmp2, m0
	s_waitcnt lgkmcnt(0)
	s_and_b32 s0, s0, 0x3ff
	s_delay_alu instid0(SALU_CYCLE_1) | instskip(NEXT) | instid1(SALU_CYCLE_1)
	s_bitset1_b32 s0, 10
	s_mov_b32 m0, s0
	s_sendmsg sendmsg(MSG_INTERRUPT)
	s_mov_b32 m0, ttmp2
.LBB16_1521:                            ; =>This Inner Loop Header: Depth=1
	s_sethalt 5
	s_branch .LBB16_1521
.LBB16_1522:
	s_trap 2
	s_sendmsg_rtn_b32 s0, sendmsg(MSG_RTN_GET_DOORBELL)
	s_mov_b32 ttmp2, m0
	s_waitcnt lgkmcnt(0)
	s_and_b32 s0, s0, 0x3ff
	s_delay_alu instid0(SALU_CYCLE_1) | instskip(NEXT) | instid1(SALU_CYCLE_1)
	s_bitset1_b32 s0, 10
	s_mov_b32 m0, s0
	s_sendmsg sendmsg(MSG_INTERRUPT)
	s_mov_b32 m0, ttmp2
.LBB16_1523:                            ; =>This Inner Loop Header: Depth=1
	s_sethalt 5
	s_branch .LBB16_1523
.LBB16_1524:
	s_trap 2
	s_sendmsg_rtn_b32 s0, sendmsg(MSG_RTN_GET_DOORBELL)
	s_mov_b32 ttmp2, m0
	s_waitcnt lgkmcnt(0)
	s_and_b32 s0, s0, 0x3ff
	s_delay_alu instid0(SALU_CYCLE_1) | instskip(NEXT) | instid1(SALU_CYCLE_1)
	s_bitset1_b32 s0, 10
	s_mov_b32 m0, s0
	s_sendmsg sendmsg(MSG_INTERRUPT)
	s_mov_b32 m0, ttmp2
.LBB16_1525:                            ; =>This Inner Loop Header: Depth=1
	s_sethalt 5
	s_branch .LBB16_1525
.LBB16_1526:
	s_trap 2
	s_sendmsg_rtn_b32 s0, sendmsg(MSG_RTN_GET_DOORBELL)
	s_mov_b32 ttmp2, m0
	s_waitcnt lgkmcnt(0)
	s_and_b32 s0, s0, 0x3ff
	s_delay_alu instid0(SALU_CYCLE_1) | instskip(NEXT) | instid1(SALU_CYCLE_1)
	s_bitset1_b32 s0, 10
	s_mov_b32 m0, s0
	s_sendmsg sendmsg(MSG_INTERRUPT)
	s_mov_b32 m0, ttmp2
.LBB16_1527:                            ; =>This Inner Loop Header: Depth=1
	s_sethalt 5
	s_branch .LBB16_1527
.LBB16_1528:
	s_trap 2
	s_sendmsg_rtn_b32 s0, sendmsg(MSG_RTN_GET_DOORBELL)
	s_mov_b32 ttmp2, m0
	s_waitcnt lgkmcnt(0)
	s_and_b32 s0, s0, 0x3ff
	s_delay_alu instid0(SALU_CYCLE_1) | instskip(NEXT) | instid1(SALU_CYCLE_1)
	s_bitset1_b32 s0, 10
	s_mov_b32 m0, s0
	s_sendmsg sendmsg(MSG_INTERRUPT)
	s_mov_b32 m0, ttmp2
.LBB16_1529:                            ; =>This Inner Loop Header: Depth=1
	s_sethalt 5
	s_branch .LBB16_1529
.LBB16_1530:
	s_trap 2
	s_sendmsg_rtn_b32 s0, sendmsg(MSG_RTN_GET_DOORBELL)
	s_mov_b32 ttmp2, m0
	s_waitcnt lgkmcnt(0)
	s_and_b32 s0, s0, 0x3ff
	s_delay_alu instid0(SALU_CYCLE_1) | instskip(NEXT) | instid1(SALU_CYCLE_1)
	s_bitset1_b32 s0, 10
	s_mov_b32 m0, s0
	s_sendmsg sendmsg(MSG_INTERRUPT)
	s_mov_b32 m0, ttmp2
.LBB16_1531:                            ; =>This Inner Loop Header: Depth=1
	s_sethalt 5
	s_branch .LBB16_1531
.LBB16_1532:
	s_trap 2
	s_sendmsg_rtn_b32 s0, sendmsg(MSG_RTN_GET_DOORBELL)
	s_mov_b32 ttmp2, m0
	s_waitcnt lgkmcnt(0)
	s_and_b32 s0, s0, 0x3ff
	s_delay_alu instid0(SALU_CYCLE_1) | instskip(NEXT) | instid1(SALU_CYCLE_1)
	s_bitset1_b32 s0, 10
	s_mov_b32 m0, s0
	s_sendmsg sendmsg(MSG_INTERRUPT)
	s_mov_b32 m0, ttmp2
.LBB16_1533:                            ; =>This Inner Loop Header: Depth=1
	s_sethalt 5
	s_branch .LBB16_1533
.LBB16_1534:
	s_trap 2
	s_sendmsg_rtn_b32 s0, sendmsg(MSG_RTN_GET_DOORBELL)
	s_mov_b32 ttmp2, m0
	s_waitcnt lgkmcnt(0)
	s_and_b32 s0, s0, 0x3ff
	s_delay_alu instid0(SALU_CYCLE_1) | instskip(NEXT) | instid1(SALU_CYCLE_1)
	s_bitset1_b32 s0, 10
	s_mov_b32 m0, s0
	s_sendmsg sendmsg(MSG_INTERRUPT)
	s_mov_b32 m0, ttmp2
.LBB16_1535:                            ; =>This Inner Loop Header: Depth=1
	s_sethalt 5
	s_branch .LBB16_1535
.LBB16_1536:
	s_trap 2
	s_sendmsg_rtn_b32 s0, sendmsg(MSG_RTN_GET_DOORBELL)
	s_mov_b32 ttmp2, m0
	s_waitcnt lgkmcnt(0)
	s_and_b32 s0, s0, 0x3ff
	s_delay_alu instid0(SALU_CYCLE_1) | instskip(NEXT) | instid1(SALU_CYCLE_1)
	s_bitset1_b32 s0, 10
	s_mov_b32 m0, s0
	s_sendmsg sendmsg(MSG_INTERRUPT)
	s_mov_b32 m0, ttmp2
.LBB16_1537:                            ; =>This Inner Loop Header: Depth=1
	s_sethalt 5
	s_branch .LBB16_1537
.LBB16_1538:
	s_trap 2
	s_sendmsg_rtn_b32 s0, sendmsg(MSG_RTN_GET_DOORBELL)
	s_mov_b32 ttmp2, m0
	s_waitcnt lgkmcnt(0)
	s_and_b32 s0, s0, 0x3ff
	s_delay_alu instid0(SALU_CYCLE_1) | instskip(NEXT) | instid1(SALU_CYCLE_1)
	s_bitset1_b32 s0, 10
	s_mov_b32 m0, s0
	s_sendmsg sendmsg(MSG_INTERRUPT)
	s_mov_b32 m0, ttmp2
.LBB16_1539:                            ; =>This Inner Loop Header: Depth=1
	s_sethalt 5
	s_branch .LBB16_1539
.LBB16_1540:
	s_trap 2
	s_sendmsg_rtn_b32 s0, sendmsg(MSG_RTN_GET_DOORBELL)
	s_mov_b32 ttmp2, m0
	s_waitcnt lgkmcnt(0)
	s_and_b32 s0, s0, 0x3ff
	s_delay_alu instid0(SALU_CYCLE_1) | instskip(NEXT) | instid1(SALU_CYCLE_1)
	s_bitset1_b32 s0, 10
	s_mov_b32 m0, s0
	s_sendmsg sendmsg(MSG_INTERRUPT)
	s_mov_b32 m0, ttmp2
.LBB16_1541:                            ; =>This Inner Loop Header: Depth=1
	s_sethalt 5
	s_branch .LBB16_1541
.LBB16_1542:
	s_trap 2
	s_sendmsg_rtn_b32 s0, sendmsg(MSG_RTN_GET_DOORBELL)
	s_mov_b32 ttmp2, m0
	s_waitcnt lgkmcnt(0)
	s_and_b32 s0, s0, 0x3ff
	s_delay_alu instid0(SALU_CYCLE_1) | instskip(NEXT) | instid1(SALU_CYCLE_1)
	s_bitset1_b32 s0, 10
	s_mov_b32 m0, s0
	s_sendmsg sendmsg(MSG_INTERRUPT)
	s_mov_b32 m0, ttmp2
.LBB16_1543:                            ; =>This Inner Loop Header: Depth=1
	s_sethalt 5
	s_branch .LBB16_1543
.LBB16_1544:
	s_trap 2
	s_sendmsg_rtn_b32 s0, sendmsg(MSG_RTN_GET_DOORBELL)
	s_mov_b32 ttmp2, m0
	s_waitcnt lgkmcnt(0)
	s_and_b32 s0, s0, 0x3ff
	s_delay_alu instid0(SALU_CYCLE_1) | instskip(NEXT) | instid1(SALU_CYCLE_1)
	s_bitset1_b32 s0, 10
	s_mov_b32 m0, s0
	s_sendmsg sendmsg(MSG_INTERRUPT)
	s_mov_b32 m0, ttmp2
.LBB16_1545:                            ; =>This Inner Loop Header: Depth=1
	s_sethalt 5
	s_branch .LBB16_1545
.LBB16_1546:
	s_trap 2
	s_sendmsg_rtn_b32 s0, sendmsg(MSG_RTN_GET_DOORBELL)
	s_mov_b32 ttmp2, m0
	s_waitcnt lgkmcnt(0)
	s_and_b32 s0, s0, 0x3ff
	s_delay_alu instid0(SALU_CYCLE_1) | instskip(NEXT) | instid1(SALU_CYCLE_1)
	s_bitset1_b32 s0, 10
	s_mov_b32 m0, s0
	s_sendmsg sendmsg(MSG_INTERRUPT)
	s_mov_b32 m0, ttmp2
.LBB16_1547:                            ; =>This Inner Loop Header: Depth=1
	s_sethalt 5
	s_branch .LBB16_1547
.LBB16_1548:
	s_trap 2
	s_sendmsg_rtn_b32 s0, sendmsg(MSG_RTN_GET_DOORBELL)
	s_mov_b32 ttmp2, m0
	s_waitcnt lgkmcnt(0)
	s_and_b32 s0, s0, 0x3ff
	s_delay_alu instid0(SALU_CYCLE_1) | instskip(NEXT) | instid1(SALU_CYCLE_1)
	s_bitset1_b32 s0, 10
	s_mov_b32 m0, s0
	s_sendmsg sendmsg(MSG_INTERRUPT)
	s_mov_b32 m0, ttmp2
.LBB16_1549:                            ; =>This Inner Loop Header: Depth=1
	s_sethalt 5
	s_branch .LBB16_1549
.LBB16_1550:
	s_trap 2
	s_sendmsg_rtn_b32 s0, sendmsg(MSG_RTN_GET_DOORBELL)
	s_mov_b32 ttmp2, m0
	s_waitcnt lgkmcnt(0)
	s_and_b32 s0, s0, 0x3ff
	s_delay_alu instid0(SALU_CYCLE_1) | instskip(NEXT) | instid1(SALU_CYCLE_1)
	s_bitset1_b32 s0, 10
	s_mov_b32 m0, s0
	s_sendmsg sendmsg(MSG_INTERRUPT)
	s_mov_b32 m0, ttmp2
.LBB16_1551:                            ; =>This Inner Loop Header: Depth=1
	s_sethalt 5
	s_branch .LBB16_1551
.LBB16_1552:
	s_trap 2
	s_sendmsg_rtn_b32 s0, sendmsg(MSG_RTN_GET_DOORBELL)
	s_mov_b32 ttmp2, m0
	s_waitcnt lgkmcnt(0)
	s_and_b32 s0, s0, 0x3ff
	s_delay_alu instid0(SALU_CYCLE_1) | instskip(NEXT) | instid1(SALU_CYCLE_1)
	s_bitset1_b32 s0, 10
	s_mov_b32 m0, s0
	s_sendmsg sendmsg(MSG_INTERRUPT)
	s_mov_b32 m0, ttmp2
.LBB16_1553:                            ; =>This Inner Loop Header: Depth=1
	s_sethalt 5
	s_branch .LBB16_1553
.LBB16_1554:
	s_trap 2
	s_sendmsg_rtn_b32 s0, sendmsg(MSG_RTN_GET_DOORBELL)
	s_mov_b32 ttmp2, m0
	s_waitcnt lgkmcnt(0)
	s_and_b32 s0, s0, 0x3ff
	s_delay_alu instid0(SALU_CYCLE_1) | instskip(NEXT) | instid1(SALU_CYCLE_1)
	s_bitset1_b32 s0, 10
	s_mov_b32 m0, s0
	s_sendmsg sendmsg(MSG_INTERRUPT)
	s_mov_b32 m0, ttmp2
.LBB16_1555:                            ; =>This Inner Loop Header: Depth=1
	s_sethalt 5
	s_branch .LBB16_1555
.LBB16_1556:
	s_trap 2
	s_sendmsg_rtn_b32 s0, sendmsg(MSG_RTN_GET_DOORBELL)
	s_mov_b32 ttmp2, m0
	s_waitcnt lgkmcnt(0)
	s_and_b32 s0, s0, 0x3ff
	s_delay_alu instid0(SALU_CYCLE_1) | instskip(NEXT) | instid1(SALU_CYCLE_1)
	s_bitset1_b32 s0, 10
	s_mov_b32 m0, s0
	s_sendmsg sendmsg(MSG_INTERRUPT)
	s_mov_b32 m0, ttmp2
.LBB16_1557:                            ; =>This Inner Loop Header: Depth=1
	s_sethalt 5
	s_branch .LBB16_1557
.LBB16_1558:
	s_trap 2
	s_sendmsg_rtn_b32 s0, sendmsg(MSG_RTN_GET_DOORBELL)
	s_mov_b32 ttmp2, m0
	s_waitcnt lgkmcnt(0)
	s_and_b32 s0, s0, 0x3ff
	s_delay_alu instid0(SALU_CYCLE_1) | instskip(NEXT) | instid1(SALU_CYCLE_1)
	s_bitset1_b32 s0, 10
	s_mov_b32 m0, s0
	s_sendmsg sendmsg(MSG_INTERRUPT)
	s_mov_b32 m0, ttmp2
.LBB16_1559:                            ; =>This Inner Loop Header: Depth=1
	s_sethalt 5
	s_branch .LBB16_1559
.LBB16_1560:
	s_trap 2
	s_sendmsg_rtn_b32 s0, sendmsg(MSG_RTN_GET_DOORBELL)
	s_mov_b32 ttmp2, m0
	s_waitcnt lgkmcnt(0)
	s_and_b32 s0, s0, 0x3ff
	s_delay_alu instid0(SALU_CYCLE_1) | instskip(NEXT) | instid1(SALU_CYCLE_1)
	s_bitset1_b32 s0, 10
	s_mov_b32 m0, s0
	s_sendmsg sendmsg(MSG_INTERRUPT)
	s_mov_b32 m0, ttmp2
.LBB16_1561:                            ; =>This Inner Loop Header: Depth=1
	s_sethalt 5
	s_branch .LBB16_1561
.LBB16_1562:
	s_trap 2
	s_sendmsg_rtn_b32 s0, sendmsg(MSG_RTN_GET_DOORBELL)
	s_mov_b32 ttmp2, m0
	s_waitcnt lgkmcnt(0)
	s_and_b32 s0, s0, 0x3ff
	s_delay_alu instid0(SALU_CYCLE_1) | instskip(NEXT) | instid1(SALU_CYCLE_1)
	s_bitset1_b32 s0, 10
	s_mov_b32 m0, s0
	s_sendmsg sendmsg(MSG_INTERRUPT)
	s_mov_b32 m0, ttmp2
.LBB16_1563:                            ; =>This Inner Loop Header: Depth=1
	s_sethalt 5
	s_branch .LBB16_1563
.LBB16_1564:
	s_trap 2
	s_sendmsg_rtn_b32 s0, sendmsg(MSG_RTN_GET_DOORBELL)
	s_mov_b32 ttmp2, m0
	s_waitcnt lgkmcnt(0)
	s_and_b32 s0, s0, 0x3ff
	s_delay_alu instid0(SALU_CYCLE_1) | instskip(NEXT) | instid1(SALU_CYCLE_1)
	s_bitset1_b32 s0, 10
	s_mov_b32 m0, s0
	s_sendmsg sendmsg(MSG_INTERRUPT)
	s_mov_b32 m0, ttmp2
.LBB16_1565:                            ; =>This Inner Loop Header: Depth=1
	s_sethalt 5
	s_branch .LBB16_1565
.LBB16_1566:
	s_trap 2
	s_sendmsg_rtn_b32 s0, sendmsg(MSG_RTN_GET_DOORBELL)
	s_mov_b32 ttmp2, m0
	s_waitcnt lgkmcnt(0)
	s_and_b32 s0, s0, 0x3ff
	s_delay_alu instid0(SALU_CYCLE_1) | instskip(NEXT) | instid1(SALU_CYCLE_1)
	s_bitset1_b32 s0, 10
	s_mov_b32 m0, s0
	s_sendmsg sendmsg(MSG_INTERRUPT)
	s_mov_b32 m0, ttmp2
.LBB16_1567:                            ; =>This Inner Loop Header: Depth=1
	s_sethalt 5
	s_branch .LBB16_1567
.LBB16_1568:
	s_trap 2
	s_sendmsg_rtn_b32 s0, sendmsg(MSG_RTN_GET_DOORBELL)
	s_mov_b32 ttmp2, m0
	s_waitcnt lgkmcnt(0)
	s_and_b32 s0, s0, 0x3ff
	s_delay_alu instid0(SALU_CYCLE_1) | instskip(NEXT) | instid1(SALU_CYCLE_1)
	s_bitset1_b32 s0, 10
	s_mov_b32 m0, s0
	s_sendmsg sendmsg(MSG_INTERRUPT)
	s_mov_b32 m0, ttmp2
.LBB16_1569:                            ; =>This Inner Loop Header: Depth=1
	s_sethalt 5
	s_branch .LBB16_1569
.LBB16_1570:
	s_trap 2
	s_sendmsg_rtn_b32 s0, sendmsg(MSG_RTN_GET_DOORBELL)
	s_mov_b32 ttmp2, m0
	s_waitcnt lgkmcnt(0)
	s_and_b32 s0, s0, 0x3ff
	s_delay_alu instid0(SALU_CYCLE_1) | instskip(NEXT) | instid1(SALU_CYCLE_1)
	s_bitset1_b32 s0, 10
	s_mov_b32 m0, s0
	s_sendmsg sendmsg(MSG_INTERRUPT)
	s_mov_b32 m0, ttmp2
.LBB16_1571:                            ; =>This Inner Loop Header: Depth=1
	s_sethalt 5
	s_branch .LBB16_1571
.LBB16_1572:
	s_trap 2
	s_sendmsg_rtn_b32 s0, sendmsg(MSG_RTN_GET_DOORBELL)
	s_mov_b32 ttmp2, m0
	s_waitcnt lgkmcnt(0)
	s_and_b32 s0, s0, 0x3ff
	s_delay_alu instid0(SALU_CYCLE_1) | instskip(NEXT) | instid1(SALU_CYCLE_1)
	s_bitset1_b32 s0, 10
	s_mov_b32 m0, s0
	s_sendmsg sendmsg(MSG_INTERRUPT)
	s_mov_b32 m0, ttmp2
.LBB16_1573:                            ; =>This Inner Loop Header: Depth=1
	s_sethalt 5
	s_branch .LBB16_1573
.LBB16_1574:
	s_trap 2
	s_sendmsg_rtn_b32 s0, sendmsg(MSG_RTN_GET_DOORBELL)
	s_mov_b32 ttmp2, m0
	s_waitcnt lgkmcnt(0)
	s_and_b32 s0, s0, 0x3ff
	s_delay_alu instid0(SALU_CYCLE_1) | instskip(NEXT) | instid1(SALU_CYCLE_1)
	s_bitset1_b32 s0, 10
	s_mov_b32 m0, s0
	s_sendmsg sendmsg(MSG_INTERRUPT)
	s_mov_b32 m0, ttmp2
.LBB16_1575:                            ; =>This Inner Loop Header: Depth=1
	s_sethalt 5
	s_branch .LBB16_1575
.LBB16_1576:
	s_trap 2
	s_sendmsg_rtn_b32 s0, sendmsg(MSG_RTN_GET_DOORBELL)
	s_mov_b32 ttmp2, m0
	s_waitcnt lgkmcnt(0)
	s_and_b32 s0, s0, 0x3ff
	s_delay_alu instid0(SALU_CYCLE_1) | instskip(NEXT) | instid1(SALU_CYCLE_1)
	s_bitset1_b32 s0, 10
	s_mov_b32 m0, s0
	s_sendmsg sendmsg(MSG_INTERRUPT)
	s_mov_b32 m0, ttmp2
.LBB16_1577:                            ; =>This Inner Loop Header: Depth=1
	s_sethalt 5
	s_branch .LBB16_1577
.LBB16_1578:
	s_trap 2
	s_sendmsg_rtn_b32 s0, sendmsg(MSG_RTN_GET_DOORBELL)
	s_mov_b32 ttmp2, m0
	s_waitcnt lgkmcnt(0)
	s_and_b32 s0, s0, 0x3ff
	s_delay_alu instid0(SALU_CYCLE_1) | instskip(NEXT) | instid1(SALU_CYCLE_1)
	s_bitset1_b32 s0, 10
	s_mov_b32 m0, s0
	s_sendmsg sendmsg(MSG_INTERRUPT)
	s_mov_b32 m0, ttmp2
.LBB16_1579:                            ; =>This Inner Loop Header: Depth=1
	s_sethalt 5
	s_branch .LBB16_1579
.LBB16_1580:
	s_trap 2
	s_sendmsg_rtn_b32 s0, sendmsg(MSG_RTN_GET_DOORBELL)
	s_mov_b32 ttmp2, m0
	s_waitcnt lgkmcnt(0)
	s_and_b32 s0, s0, 0x3ff
	s_delay_alu instid0(SALU_CYCLE_1) | instskip(NEXT) | instid1(SALU_CYCLE_1)
	s_bitset1_b32 s0, 10
	s_mov_b32 m0, s0
	s_sendmsg sendmsg(MSG_INTERRUPT)
	s_mov_b32 m0, ttmp2
.LBB16_1581:                            ; =>This Inner Loop Header: Depth=1
	s_sethalt 5
	s_branch .LBB16_1581
.LBB16_1582:
	s_trap 2
	s_sendmsg_rtn_b32 s0, sendmsg(MSG_RTN_GET_DOORBELL)
	s_mov_b32 ttmp2, m0
	s_waitcnt lgkmcnt(0)
	s_and_b32 s0, s0, 0x3ff
	s_delay_alu instid0(SALU_CYCLE_1) | instskip(NEXT) | instid1(SALU_CYCLE_1)
	s_bitset1_b32 s0, 10
	s_mov_b32 m0, s0
	s_sendmsg sendmsg(MSG_INTERRUPT)
	s_mov_b32 m0, ttmp2
.LBB16_1583:                            ; =>This Inner Loop Header: Depth=1
	s_sethalt 5
	s_branch .LBB16_1583
.LBB16_1584:
	s_trap 2
	s_sendmsg_rtn_b32 s0, sendmsg(MSG_RTN_GET_DOORBELL)
	s_mov_b32 ttmp2, m0
	s_waitcnt lgkmcnt(0)
	s_and_b32 s0, s0, 0x3ff
	s_delay_alu instid0(SALU_CYCLE_1) | instskip(NEXT) | instid1(SALU_CYCLE_1)
	s_bitset1_b32 s0, 10
	s_mov_b32 m0, s0
	s_sendmsg sendmsg(MSG_INTERRUPT)
	s_mov_b32 m0, ttmp2
.LBB16_1585:                            ; =>This Inner Loop Header: Depth=1
	s_sethalt 5
	s_branch .LBB16_1585
.LBB16_1586:
	s_trap 2
	s_sendmsg_rtn_b32 s0, sendmsg(MSG_RTN_GET_DOORBELL)
	s_mov_b32 ttmp2, m0
	s_waitcnt lgkmcnt(0)
	s_and_b32 s0, s0, 0x3ff
	s_delay_alu instid0(SALU_CYCLE_1) | instskip(NEXT) | instid1(SALU_CYCLE_1)
	s_bitset1_b32 s0, 10
	s_mov_b32 m0, s0
	s_sendmsg sendmsg(MSG_INTERRUPT)
	s_mov_b32 m0, ttmp2
.LBB16_1587:                            ; =>This Inner Loop Header: Depth=1
	s_sethalt 5
	s_branch .LBB16_1587
.LBB16_1588:
	s_trap 2
	s_sendmsg_rtn_b32 s0, sendmsg(MSG_RTN_GET_DOORBELL)
	s_mov_b32 ttmp2, m0
	s_waitcnt lgkmcnt(0)
	s_and_b32 s0, s0, 0x3ff
	s_delay_alu instid0(SALU_CYCLE_1) | instskip(NEXT) | instid1(SALU_CYCLE_1)
	s_bitset1_b32 s0, 10
	s_mov_b32 m0, s0
	s_sendmsg sendmsg(MSG_INTERRUPT)
	s_mov_b32 m0, ttmp2
.LBB16_1589:                            ; =>This Inner Loop Header: Depth=1
	s_sethalt 5
	s_branch .LBB16_1589
.LBB16_1590:
	s_trap 2
	s_sendmsg_rtn_b32 s0, sendmsg(MSG_RTN_GET_DOORBELL)
	s_mov_b32 ttmp2, m0
	s_waitcnt lgkmcnt(0)
	s_and_b32 s0, s0, 0x3ff
	s_delay_alu instid0(SALU_CYCLE_1) | instskip(NEXT) | instid1(SALU_CYCLE_1)
	s_bitset1_b32 s0, 10
	s_mov_b32 m0, s0
	s_sendmsg sendmsg(MSG_INTERRUPT)
	s_mov_b32 m0, ttmp2
.LBB16_1591:                            ; =>This Inner Loop Header: Depth=1
	s_sethalt 5
	s_branch .LBB16_1591
.LBB16_1592:
	s_trap 2
	s_sendmsg_rtn_b32 s0, sendmsg(MSG_RTN_GET_DOORBELL)
	s_mov_b32 ttmp2, m0
	s_waitcnt lgkmcnt(0)
	s_and_b32 s0, s0, 0x3ff
	s_delay_alu instid0(SALU_CYCLE_1) | instskip(NEXT) | instid1(SALU_CYCLE_1)
	s_bitset1_b32 s0, 10
	s_mov_b32 m0, s0
	s_sendmsg sendmsg(MSG_INTERRUPT)
	s_mov_b32 m0, ttmp2
.LBB16_1593:                            ; =>This Inner Loop Header: Depth=1
	s_sethalt 5
	s_branch .LBB16_1593
.LBB16_1594:
	s_trap 2
	s_sendmsg_rtn_b32 s0, sendmsg(MSG_RTN_GET_DOORBELL)
	s_mov_b32 ttmp2, m0
	s_waitcnt lgkmcnt(0)
	s_and_b32 s0, s0, 0x3ff
	s_delay_alu instid0(SALU_CYCLE_1) | instskip(NEXT) | instid1(SALU_CYCLE_1)
	s_bitset1_b32 s0, 10
	s_mov_b32 m0, s0
	s_sendmsg sendmsg(MSG_INTERRUPT)
	s_mov_b32 m0, ttmp2
.LBB16_1595:                            ; =>This Inner Loop Header: Depth=1
	s_sethalt 5
	s_branch .LBB16_1595
.LBB16_1596:
	s_trap 2
	s_sendmsg_rtn_b32 s0, sendmsg(MSG_RTN_GET_DOORBELL)
	s_mov_b32 ttmp2, m0
	s_waitcnt lgkmcnt(0)
	s_and_b32 s0, s0, 0x3ff
	s_delay_alu instid0(SALU_CYCLE_1) | instskip(NEXT) | instid1(SALU_CYCLE_1)
	s_bitset1_b32 s0, 10
	s_mov_b32 m0, s0
	s_sendmsg sendmsg(MSG_INTERRUPT)
	s_mov_b32 m0, ttmp2
.LBB16_1597:                            ; =>This Inner Loop Header: Depth=1
	s_sethalt 5
	s_branch .LBB16_1597
.LBB16_1598:
	s_trap 2
	s_sendmsg_rtn_b32 s0, sendmsg(MSG_RTN_GET_DOORBELL)
	s_mov_b32 ttmp2, m0
	s_waitcnt lgkmcnt(0)
	s_and_b32 s0, s0, 0x3ff
	s_delay_alu instid0(SALU_CYCLE_1) | instskip(NEXT) | instid1(SALU_CYCLE_1)
	s_bitset1_b32 s0, 10
	s_mov_b32 m0, s0
	s_sendmsg sendmsg(MSG_INTERRUPT)
	s_mov_b32 m0, ttmp2
.LBB16_1599:                            ; =>This Inner Loop Header: Depth=1
	s_sethalt 5
	s_branch .LBB16_1599
.LBB16_1600:
	s_trap 2
	s_sendmsg_rtn_b32 s0, sendmsg(MSG_RTN_GET_DOORBELL)
	s_mov_b32 ttmp2, m0
	s_waitcnt lgkmcnt(0)
	s_and_b32 s0, s0, 0x3ff
	s_delay_alu instid0(SALU_CYCLE_1) | instskip(NEXT) | instid1(SALU_CYCLE_1)
	s_bitset1_b32 s0, 10
	s_mov_b32 m0, s0
	s_sendmsg sendmsg(MSG_INTERRUPT)
	s_mov_b32 m0, ttmp2
.LBB16_1601:                            ; =>This Inner Loop Header: Depth=1
	s_sethalt 5
	s_branch .LBB16_1601
.LBB16_1602:
	s_trap 2
	s_sendmsg_rtn_b32 s0, sendmsg(MSG_RTN_GET_DOORBELL)
	s_mov_b32 ttmp2, m0
	s_waitcnt lgkmcnt(0)
	s_and_b32 s0, s0, 0x3ff
	s_delay_alu instid0(SALU_CYCLE_1) | instskip(NEXT) | instid1(SALU_CYCLE_1)
	s_bitset1_b32 s0, 10
	s_mov_b32 m0, s0
	s_sendmsg sendmsg(MSG_INTERRUPT)
	s_mov_b32 m0, ttmp2
.LBB16_1603:                            ; =>This Inner Loop Header: Depth=1
	s_sethalt 5
	s_branch .LBB16_1603
.LBB16_1604:
	s_trap 2
	s_sendmsg_rtn_b32 s0, sendmsg(MSG_RTN_GET_DOORBELL)
	s_mov_b32 ttmp2, m0
	s_waitcnt lgkmcnt(0)
	s_and_b32 s0, s0, 0x3ff
	s_delay_alu instid0(SALU_CYCLE_1) | instskip(NEXT) | instid1(SALU_CYCLE_1)
	s_bitset1_b32 s0, 10
	s_mov_b32 m0, s0
	s_sendmsg sendmsg(MSG_INTERRUPT)
	s_mov_b32 m0, ttmp2
.LBB16_1605:                            ; =>This Inner Loop Header: Depth=1
	s_sethalt 5
	s_branch .LBB16_1605
.LBB16_1606:
	s_trap 2
	s_sendmsg_rtn_b32 s0, sendmsg(MSG_RTN_GET_DOORBELL)
	s_mov_b32 ttmp2, m0
	s_waitcnt lgkmcnt(0)
	s_and_b32 s0, s0, 0x3ff
	s_delay_alu instid0(SALU_CYCLE_1) | instskip(NEXT) | instid1(SALU_CYCLE_1)
	s_bitset1_b32 s0, 10
	s_mov_b32 m0, s0
	s_sendmsg sendmsg(MSG_INTERRUPT)
	s_mov_b32 m0, ttmp2
.LBB16_1607:                            ; =>This Inner Loop Header: Depth=1
	s_sethalt 5
	s_branch .LBB16_1607
.LBB16_1608:
	s_trap 2
	s_sendmsg_rtn_b32 s0, sendmsg(MSG_RTN_GET_DOORBELL)
	s_mov_b32 ttmp2, m0
	s_waitcnt lgkmcnt(0)
	s_and_b32 s0, s0, 0x3ff
	s_delay_alu instid0(SALU_CYCLE_1) | instskip(NEXT) | instid1(SALU_CYCLE_1)
	s_bitset1_b32 s0, 10
	s_mov_b32 m0, s0
	s_sendmsg sendmsg(MSG_INTERRUPT)
	s_mov_b32 m0, ttmp2
.LBB16_1609:                            ; =>This Inner Loop Header: Depth=1
	s_sethalt 5
	s_branch .LBB16_1609
.LBB16_1610:
	s_trap 2
	s_sendmsg_rtn_b32 s0, sendmsg(MSG_RTN_GET_DOORBELL)
	s_mov_b32 ttmp2, m0
	s_waitcnt lgkmcnt(0)
	s_and_b32 s0, s0, 0x3ff
	s_delay_alu instid0(SALU_CYCLE_1) | instskip(NEXT) | instid1(SALU_CYCLE_1)
	s_bitset1_b32 s0, 10
	s_mov_b32 m0, s0
	s_sendmsg sendmsg(MSG_INTERRUPT)
	s_mov_b32 m0, ttmp2
.LBB16_1611:                            ; =>This Inner Loop Header: Depth=1
	s_sethalt 5
	s_branch .LBB16_1611
.Lfunc_end16:
	.size	_ZN12_GLOBAL__N_17runRingIa7FuncSumIaE11ProtoSimpleILi2ELi2ELi0ELi4ELi0ELi0EELi0ELi4ELi0ELb0EEEviiP15ncclDevWorkColl, .Lfunc_end16-_ZN12_GLOBAL__N_17runRingIa7FuncSumIaE11ProtoSimpleILi2ELi2ELi0ELi4ELi0ELi0EELi0ELi4ELi0ELb0EEEviiP15ncclDevWorkColl
                                        ; -- End function
	.section	.AMDGPU.csdata,"",@progbits
; Function info:
; codeLenInByte = 50380
; NumSgprs: 41
; NumVgprs: 184
; ScratchSize: 112
; MemoryBound: 0
	.text
	.p2align	2                               ; -- Begin function _Z46ncclDevFunc_AllGather_RING_SIMPLE_Sum_i8_0_0_4v
	.type	_Z46ncclDevFunc_AllGather_RING_SIMPLE_Sum_i8_0_0_4v,@function
_Z46ncclDevFunc_AllGather_RING_SIMPLE_Sum_i8_0_0_4v: ; @_Z46ncclDevFunc_AllGather_RING_SIMPLE_Sum_i8_0_0_4v
; %bb.0:
	s_waitcnt vmcnt(0) expcnt(0) lgkmcnt(0)
	s_mov_b32 s0, s33
	s_mov_b32 s33, s32
	s_or_saveexec_b32 s1, -1
	scratch_store_b32 off, v42, s33 offset:16 ; 4-byte Folded Spill
	s_mov_b32 exec_lo, s1
	v_writelane_b32 v42, s0, 13
	s_add_i32 s32, s32, 32
	s_clause 0x3
	scratch_store_b32 off, v40, s33 offset:12
	; meta instruction
	scratch_store_b32 off, v41, s33 offset:8
	; meta instruction
	scratch_store_b32 off, v57, s33 offset:4
	; meta instruction
	scratch_store_b32 off, v58, s33
	v_writelane_b32 v42, s34, 0
	v_writelane_b32 v42, s35, 1
	;; [unrolled: 1-line block ×13, first 2 shown]
	s_cbranch_execnz .LBB17_13
; %bb.1:
	ds_load_b32 v0, v0
	s_waitcnt lgkmcnt(0)
	v_cmp_gt_i32_e32 vcc_lo, 1, v0
	s_cbranch_vccnz .LBB17_12
; %bb.2:
	v_and_b32_e32 v40, 0x3ff, v31
	s_mov_b32 s44, 0
	s_mov_b64 s[42:43], src_shared_base
.LBB17_3:                               ; =>This Inner Loop Header: Depth=1
	s_cbranch_execnz .LBB17_15
; %bb.4:                                ;   in Loop: Header=BB17_3 Depth=1
	ds_load_b32 v0, v0
	s_cmp_eq_u32 s44, 0
	s_cbranch_scc1 .LBB17_8
; %bb.5:                                ;   in Loop: Header=BB17_3 Depth=1
	s_cbranch_execnz .LBB17_19
; %bb.6:                                ;   in Loop: Header=BB17_3 Depth=1
	s_waitcnt lgkmcnt(0)
	ds_load_b32 v1, v0
	s_waitcnt lgkmcnt(0)
	v_xor_b32_e32 v1, v1, v0
	s_delay_alu instid0(VALU_DEP_1) | instskip(NEXT) | instid1(VALU_DEP_1)
	v_and_b32_e32 v1, 0xff0000, v1
	v_cmp_eq_u32_e32 vcc_lo, 0, v1
	s_cbranch_vccnz .LBB17_8
; %bb.7:                                ;   in Loop: Header=BB17_3 Depth=1
	s_waitcnt_vscnt null, 0x0
	s_barrier
	buffer_gl0_inv
	ds_load_b32 v0, v0
.LBB17_8:                               ;   in Loop: Header=BB17_3 Depth=1
	s_waitcnt lgkmcnt(0)
	v_lshrrev_b32_e32 v0, 11, v0
	s_mov_b32 s42, exec_lo
	s_delay_alu instid0(VALU_DEP_1) | instskip(NEXT) | instid1(VALU_DEP_1)
	v_and_b32_e32 v1, 0x1fe0, v0
	v_cmpx_lt_u32_e64 v40, v1
	s_cbranch_execz .LBB17_10
; %bb.9:                                ;   in Loop: Header=BB17_3 Depth=1
	v_dual_mov_b32 v41, v31 :: v_dual_mov_b32 v0, v40
	v_mov_b32_e32 v3, s43
	s_getpc_b64 s[0:1]
	s_add_u32 s0, s0, _ZN12_GLOBAL__N_17runRingIa7FuncSumIaE11ProtoSimpleILi2ELi2ELi0ELi4ELi0ELi0EELi0ELi4ELi0ELb0EEEviiP15ncclDevWorkColl@rel32@lo+4
	s_addc_u32 s1, s1, _ZN12_GLOBAL__N_17runRingIa7FuncSumIaE11ProtoSimpleILi2ELi2ELi0ELi4ELi0ELi0EELi0ELi4ELi0ELb0EEEviiP15ncclDevWorkColl@rel32@hi+12
	s_mov_b64 s[40:41], s[8:9]
	s_mov_b32 s39, s12
	s_swappc_b64 s[30:31], s[0:1]
	v_mov_b32_e32 v31, v41
	s_mov_b32 s12, s39
	s_mov_b64 s[8:9], s[40:41]
.LBB17_10:                              ;   in Loop: Header=BB17_3 Depth=1
	s_or_b32 exec_lo, exec_lo, s42
	s_cbranch_execnz .LBB17_17
; %bb.11:                               ;   in Loop: Header=BB17_3 Depth=1
	ds_load_b32 v0, v0
	s_add_i32 s44, s44, 1
	s_waitcnt lgkmcnt(0)
	v_cmp_lt_i32_e32 vcc_lo, s44, v0
	s_cbranch_vccnz .LBB17_3
.LBB17_12:
	s_clause 0x3
	scratch_load_b32 v58, off, s33
	scratch_load_b32 v57, off, s33 offset:4
	scratch_load_b32 v41, off, s33 offset:8
	;; [unrolled: 1-line block ×3, first 2 shown]
	v_readlane_b32 s30, v42, 11
	v_readlane_b32 s31, v42, 12
	;; [unrolled: 1-line block ×14, first 2 shown]
	s_or_saveexec_b32 s1, -1
	scratch_load_b32 v42, off, s33 offset:16 ; 4-byte Folded Reload
	s_mov_b32 exec_lo, s1
	s_addk_i32 s32, 0xffe0
	s_mov_b32 s33, s0
	s_waitcnt vmcnt(0)
	s_setpc_b64 s[30:31]
.LBB17_13:
	s_trap 2
	s_sendmsg_rtn_b32 s0, sendmsg(MSG_RTN_GET_DOORBELL)
	s_mov_b32 ttmp2, m0
	s_waitcnt lgkmcnt(0)
	s_and_b32 s0, s0, 0x3ff
	s_delay_alu instid0(SALU_CYCLE_1) | instskip(NEXT) | instid1(SALU_CYCLE_1)
	s_bitset1_b32 s0, 10
	s_mov_b32 m0, s0
	s_sendmsg sendmsg(MSG_INTERRUPT)
	s_mov_b32 m0, ttmp2
.LBB17_14:                              ; =>This Inner Loop Header: Depth=1
	s_sethalt 5
	s_branch .LBB17_14
.LBB17_15:
	s_trap 2
	s_sendmsg_rtn_b32 s0, sendmsg(MSG_RTN_GET_DOORBELL)
	s_mov_b32 ttmp2, m0
	s_waitcnt lgkmcnt(0)
	s_and_b32 s0, s0, 0x3ff
	s_delay_alu instid0(SALU_CYCLE_1) | instskip(NEXT) | instid1(SALU_CYCLE_1)
	s_bitset1_b32 s0, 10
	s_mov_b32 m0, s0
	s_sendmsg sendmsg(MSG_INTERRUPT)
	s_mov_b32 m0, ttmp2
.LBB17_16:                              ; =>This Inner Loop Header: Depth=1
	s_sethalt 5
	s_branch .LBB17_16
.LBB17_17:
	s_trap 2
	s_sendmsg_rtn_b32 s0, sendmsg(MSG_RTN_GET_DOORBELL)
	s_mov_b32 ttmp2, m0
	s_waitcnt lgkmcnt(0)
	s_and_b32 s0, s0, 0x3ff
	s_delay_alu instid0(SALU_CYCLE_1) | instskip(NEXT) | instid1(SALU_CYCLE_1)
	s_bitset1_b32 s0, 10
	s_mov_b32 m0, s0
	s_sendmsg sendmsg(MSG_INTERRUPT)
	s_mov_b32 m0, ttmp2
.LBB17_18:                              ; =>This Inner Loop Header: Depth=1
	s_sethalt 5
	s_branch .LBB17_18
.LBB17_19:
	s_trap 2
	s_sendmsg_rtn_b32 s0, sendmsg(MSG_RTN_GET_DOORBELL)
	s_mov_b32 ttmp2, m0
	s_waitcnt lgkmcnt(0)
	s_and_b32 s0, s0, 0x3ff
	s_delay_alu instid0(SALU_CYCLE_1) | instskip(NEXT) | instid1(SALU_CYCLE_1)
	s_bitset1_b32 s0, 10
	s_mov_b32 m0, s0
	s_sendmsg sendmsg(MSG_INTERRUPT)
	s_mov_b32 m0, ttmp2
.LBB17_20:                              ; =>This Inner Loop Header: Depth=1
	s_sethalt 5
	s_branch .LBB17_20
.Lfunc_end17:
	.size	_Z46ncclDevFunc_AllGather_RING_SIMPLE_Sum_i8_0_0_4v, .Lfunc_end17-_Z46ncclDevFunc_AllGather_RING_SIMPLE_Sum_i8_0_0_4v
                                        ; -- End function
	.section	.AMDGPU.csdata,"",@progbits
; Function info:
; codeLenInByte = 820
; NumSgprs: 47
; NumVgprs: 184
; ScratchSize: 144
; MemoryBound: 0
	.text
	.p2align	2                               ; -- Begin function _Z41ncclDevFunc_AllGather_PAT_LL_Sum_i8_0_0_4v
	.type	_Z41ncclDevFunc_AllGather_PAT_LL_Sum_i8_0_0_4v,@function
_Z41ncclDevFunc_AllGather_PAT_LL_Sum_i8_0_0_4v: ; @_Z41ncclDevFunc_AllGather_PAT_LL_Sum_i8_0_0_4v
; %bb.0:
	s_waitcnt vmcnt(0) expcnt(0) lgkmcnt(0)
	s_cbranch_execnz .LBB18_3
; %bb.1:
	ds_load_b32 v0, v0
	s_waitcnt lgkmcnt(0)
	v_cmp_gt_i32_e32 vcc_lo, 1, v0
	s_cbranch_vccnz .LBB18_13
; %bb.2:
	s_mov_b32 s0, 0
	s_branch .LBB18_6
.LBB18_3:
	s_trap 2
	s_sendmsg_rtn_b32 s0, sendmsg(MSG_RTN_GET_DOORBELL)
	s_mov_b32 ttmp2, m0
	s_waitcnt lgkmcnt(0)
	s_and_b32 s0, s0, 0x3ff
	s_delay_alu instid0(SALU_CYCLE_1) | instskip(NEXT) | instid1(SALU_CYCLE_1)
	s_bitset1_b32 s0, 10
	s_mov_b32 m0, s0
	s_sendmsg sendmsg(MSG_INTERRUPT)
	s_mov_b32 m0, ttmp2
.LBB18_4:                               ; =>This Inner Loop Header: Depth=1
	s_sethalt 5
	s_branch .LBB18_4
	.p2align	6
.LBB18_5:                               ;   in Loop: Header=BB18_6 Depth=1
	s_add_i32 s0, s0, 1
	s_waitcnt lgkmcnt(0)
	v_cmp_lt_i32_e32 vcc_lo, s0, v0
	s_cbranch_vccz .LBB18_13
.LBB18_6:                               ; =>This Inner Loop Header: Depth=1
	s_cmp_eq_u32 s0, 0
	s_cbranch_scc1 .LBB18_5
; %bb.7:                                ;   in Loop: Header=BB18_6 Depth=1
	s_cbranch_execnz .LBB18_11
; %bb.8:                                ;   in Loop: Header=BB18_6 Depth=1
	ds_load_b32 v1, v0
	s_waitcnt lgkmcnt(0)
	v_xor_b32_e32 v1, v1, v1
	s_delay_alu instid0(VALU_DEP_1) | instskip(NEXT) | instid1(VALU_DEP_1)
	v_and_b32_e32 v1, 0xff0000, v1
	v_cmp_eq_u32_e32 vcc_lo, 0, v1
	s_cbranch_vccnz .LBB18_5
; %bb.9:                                ;   in Loop: Header=BB18_6 Depth=1
	s_waitcnt_vscnt null, 0x0
	s_barrier
	buffer_gl0_inv
	s_cbranch_execnz .LBB18_14
; %bb.10:                               ;   in Loop: Header=BB18_6 Depth=1
	ds_load_b32 v0, v0
	s_branch .LBB18_5
.LBB18_11:
	s_trap 2
	s_sendmsg_rtn_b32 s0, sendmsg(MSG_RTN_GET_DOORBELL)
	s_mov_b32 ttmp2, m0
	s_waitcnt lgkmcnt(0)
	s_and_b32 s0, s0, 0x3ff
	s_delay_alu instid0(SALU_CYCLE_1) | instskip(NEXT) | instid1(SALU_CYCLE_1)
	s_bitset1_b32 s0, 10
	s_mov_b32 m0, s0
	s_sendmsg sendmsg(MSG_INTERRUPT)
	s_mov_b32 m0, ttmp2
.LBB18_12:                              ; =>This Inner Loop Header: Depth=1
	s_sethalt 5
	s_branch .LBB18_12
.LBB18_13:
	s_setpc_b64 s[30:31]
.LBB18_14:
	s_trap 2
	s_sendmsg_rtn_b32 s0, sendmsg(MSG_RTN_GET_DOORBELL)
	s_mov_b32 ttmp2, m0
	s_waitcnt lgkmcnt(0)
	s_and_b32 s0, s0, 0x3ff
	s_delay_alu instid0(SALU_CYCLE_1) | instskip(NEXT) | instid1(SALU_CYCLE_1)
	s_bitset1_b32 s0, 10
	s_mov_b32 m0, s0
	s_sendmsg sendmsg(MSG_INTERRUPT)
	s_mov_b32 m0, ttmp2
.LBB18_15:                              ; =>This Inner Loop Header: Depth=1
	s_sethalt 5
	s_branch .LBB18_15
.Lfunc_end18:
	.size	_Z41ncclDevFunc_AllGather_PAT_LL_Sum_i8_0_0_4v, .Lfunc_end18-_Z41ncclDevFunc_AllGather_PAT_LL_Sum_i8_0_0_4v
                                        ; -- End function
	.section	.AMDGPU.csdata,"",@progbits
; Function info:
; codeLenInByte = 292
; NumSgprs: 34
; NumVgprs: 2
; ScratchSize: 0
; MemoryBound: 0
	.text
	.p2align	2                               ; -- Begin function _Z45ncclDevFunc_AllGather_PAT_SIMPLE_Sum_i8_0_0_4v
	.type	_Z45ncclDevFunc_AllGather_PAT_SIMPLE_Sum_i8_0_0_4v,@function
_Z45ncclDevFunc_AllGather_PAT_SIMPLE_Sum_i8_0_0_4v: ; @_Z45ncclDevFunc_AllGather_PAT_SIMPLE_Sum_i8_0_0_4v
; %bb.0:
	s_waitcnt vmcnt(0) expcnt(0) lgkmcnt(0)
	s_or_saveexec_b32 s0, -1
	scratch_store_b32 off, v40, s32 offset:344 ; 4-byte Folded Spill
	s_mov_b32 exec_lo, s0
	v_writelane_b32 v40, s34, 0
	v_writelane_b32 v40, s30, 1
	;; [unrolled: 1-line block ×3, first 2 shown]
	s_cbranch_execnz .LBB19_425
; %bb.1:
	ds_load_b32 v0, v0
	s_waitcnt lgkmcnt(0)
	v_cmp_gt_i32_e32 vcc_lo, 1, v0
	s_cbranch_vccnz .LBB19_424
; %bb.2:
	s_load_b32 s0, s[8:9], 0x0
	v_dual_mov_b32 v32, 0 :: v_dual_and_b32 v71, 0x3ff, v31
	s_mov_b32 s18, 0
	s_delay_alu instid0(VALU_DEP_1) | instskip(SKIP_3) | instid1(VALU_DEP_4)
	v_and_b32_e32 v80, 31, v71
	v_cmp_eq_u32_e64 s2, 0x80, v71
	v_cmp_ne_u32_e64 s3, 0x80, v71
	v_cmp_gt_u32_e64 s4, 0x80, v71
	v_cmp_eq_u32_e64 s5, 0, v80
	s_waitcnt lgkmcnt(0)
	s_cmp_lt_u32 s12, s0
	s_cselect_b32 s0, 12, 18
	s_delay_alu instid0(SALU_CYCLE_1)
	s_add_u32 s0, s8, s0
	s_addc_u32 s1, s9, 0
	global_load_u16 v70, v32, s[0:1]
	v_cmp_gt_u32_e64 s0, 32, v71
	v_cmp_eq_u32_e64 s1, 0, v71
	s_cbranch_execnz .LBB19_427
; %bb.3:
	v_dual_mov_b32 v35, 1 :: v_dual_mov_b32 v34, 4
	v_mov_b32_e32 v81, -1
	s_mov_b32 s19, s32
	s_mov_b32 s14, 0
	s_brev_b32 s15, 1
	s_addk_i32 s19, 0xd8
	s_mov_b64 s[16:17], src_shared_base
.LBB19_4:                               ; =>This Loop Header: Depth=1
                                        ;     Child Loop BB19_27 Depth 2
                                        ;     Child Loop BB19_36 Depth 2
	;; [unrolled: 1-line block ×4, first 2 shown]
                                        ;       Child Loop BB19_73 Depth 3
                                        ;       Child Loop BB19_83 Depth 3
	;; [unrolled: 1-line block ×12, first 2 shown]
                                        ;     Child Loop BB19_273 Depth 2
                                        ;     Child Loop BB19_286 Depth 2
	;; [unrolled: 1-line block ×6, first 2 shown]
                                        ;       Child Loop BB19_327 Depth 3
                                        ;       Child Loop BB19_387 Depth 3
	;; [unrolled: 1-line block ×4, first 2 shown]
	s_cbranch_execnz .LBB19_429
; %bb.5:                                ;   in Loop: Header=BB19_4 Depth=1
	ds_load_b32 v0, v0
	s_cmp_eq_u32 s18, 0
	s_waitcnt lgkmcnt(0)
	v_readfirstlane_b32 s8, v0
	s_cbranch_scc1 .LBB19_10
; %bb.6:                                ;   in Loop: Header=BB19_4 Depth=1
	s_cbranch_execnz .LBB19_431
; %bb.7:                                ;   in Loop: Header=BB19_4 Depth=1
	ds_load_b32 v0, v0
	s_waitcnt lgkmcnt(0)
	v_xor_b32_e32 v0, s8, v0
	s_delay_alu instid0(VALU_DEP_1) | instskip(NEXT) | instid1(VALU_DEP_1)
	v_and_b32_e32 v0, 0xff0000, v0
	v_cmp_eq_u32_e32 vcc_lo, 0, v0
	s_cbranch_vccnz .LBB19_10
; %bb.8:                                ;   in Loop: Header=BB19_4 Depth=1
	s_waitcnt vmcnt(0)
	s_waitcnt_vscnt null, 0x0
	s_barrier
	buffer_gl0_inv
	s_cbranch_execnz .LBB19_437
; %bb.9:                                ;   in Loop: Header=BB19_4 Depth=1
	ds_load_b32 v0, v0
	s_waitcnt lgkmcnt(0)
	v_readfirstlane_b32 s8, v0
.LBB19_10:                              ;   in Loop: Header=BB19_4 Depth=1
	s_delay_alu instid0(VALU_DEP_1) | instskip(SKIP_2) | instid1(SALU_CYCLE_1)
	s_lshr_b32 s6, s8, 11
	s_mov_b32 s16, exec_lo
	s_and_b32 s7, s6, 0x1fe0
	v_cmpx_gt_u32_e64 s7, v71
	s_cbranch_execz .LBB19_422
; %bb.11:                               ;   in Loop: Header=BB19_4 Depth=1
	s_cbranch_execnz .LBB19_435
; %bb.12:                               ;   in Loop: Header=BB19_4 Depth=1
	ds_load_2addr_b64 v[0:3], v0 offset1:1
	s_and_b32 s6, s8, 0xff
	s_bfe_u32 s10, s8, 0x80008
	s_not_b32 s9, s6
	s_delay_alu instid0(SALU_CYCLE_1) | instskip(NEXT) | instid1(SALU_CYCLE_1)
	s_add_i32 s11, s10, s9
	s_ashr_i32 s12, s11, 31
	s_waitcnt lgkmcnt(0)
	ds_load_b64 v[8:9], v0
	ds_load_b32 v4, v0
	v_mul_lo_u32 v5, v2, s12
	v_mul_hi_u32 v6, v2, s11
	v_mul_lo_u32 v7, v3, s11
	s_delay_alu instid0(VALU_DEP_2) | instskip(SKIP_1) | instid1(VALU_DEP_2)
	v_add_nc_u32_e32 v5, v6, v5
	v_mul_lo_u32 v6, v2, s11
	v_add_nc_u32_e32 v5, v5, v7
	s_waitcnt lgkmcnt(1)
	v_readfirstlane_b32 s21, v8
	s_waitcnt lgkmcnt(0)
	v_cmp_ne_u32_e32 vcc_lo, s6, v4
	s_delay_alu instid0(VALU_DEP_4)
	v_add_co_u32 v10, s6, v6, v0
	v_readfirstlane_b32 s20, v9
	v_add_co_ci_u32_e64 v11, s6, v5, v1, s6
	s_cbranch_vccz .LBB19_16
; %bb.13:                               ;   in Loop: Header=BB19_4 Depth=1
	v_cmp_ne_u32_e32 vcc_lo, s10, v4
	s_cbranch_vccz .LBB19_17
; %bb.14:                               ;   in Loop: Header=BB19_4 Depth=1
	s_cbranch_execnz .LBB19_443
; %bb.15:                               ;   in Loop: Header=BB19_4 Depth=1
	v_add_nc_u32_e32 v6, s9, v4
	ds_load_b64 v[4:5], v0
	s_mov_b32 s6, 0
	v_ashrrev_i32_e32 v7, 31, v6
	v_mul_hi_u32 v12, v2, v6
	v_mul_lo_u32 v13, v3, v6
	v_mul_lo_u32 v6, v2, v6
	s_delay_alu instid0(VALU_DEP_4) | instskip(NEXT) | instid1(VALU_DEP_1)
	v_mul_lo_u32 v7, v2, v7
	v_add_nc_u32_e32 v7, v12, v7
	s_delay_alu instid0(VALU_DEP_1) | instskip(SKIP_3) | instid1(VALU_DEP_3)
	v_add_nc_u32_e32 v7, v7, v13
	s_waitcnt lgkmcnt(0)
	v_lshrrev_b64 v[12:13], 12, v[4:5]
	v_add_co_u32 v4, vcc_lo, v6, v0
	v_add_co_ci_u32_e32 v5, vcc_lo, v7, v1, vcc_lo
	s_branch .LBB19_18
.LBB19_16:                              ;   in Loop: Header=BB19_4 Depth=1
	s_mov_b32 s6, -1
                                        ; implicit-def: $vgpr12_vgpr13
                                        ; implicit-def: $vgpr4_vgpr5
	s_branch .LBB19_22
.LBB19_17:                              ;   in Loop: Header=BB19_4 Depth=1
	s_mov_b32 s6, -1
                                        ; implicit-def: $vgpr12_vgpr13
                                        ; implicit-def: $vgpr4_vgpr5
.LBB19_18:                              ;   in Loop: Header=BB19_4 Depth=1
	s_delay_alu instid0(SALU_CYCLE_1)
	s_and_not1_b32 vcc_lo, exec_lo, s6
	s_cbranch_vccnz .LBB19_21
; %bb.19:                               ;   in Loop: Header=BB19_4 Depth=1
	s_cbranch_execnz .LBB19_447
; %bb.20:                               ;   in Loop: Header=BB19_4 Depth=1
	ds_load_b32 v2, v0
	v_dual_mov_b32 v4, v10 :: v_dual_mov_b32 v5, v11
	s_waitcnt lgkmcnt(0)
	v_lshrrev_b32_e32 v12, 1, v2
	v_dual_mov_b32 v2, v8 :: v_dual_mov_b32 v3, v9
.LBB19_21:                              ;   in Loop: Header=BB19_4 Depth=1
	s_mov_b32 s6, 0
.LBB19_22:                              ;   in Loop: Header=BB19_4 Depth=1
	s_delay_alu instid0(SALU_CYCLE_1)
	s_and_not1_b32 vcc_lo, exec_lo, s6
	s_cbranch_vccnz .LBB19_25
; %bb.23:                               ;   in Loop: Header=BB19_4 Depth=1
	s_cbranch_execnz .LBB19_439
; %bb.24:                               ;   in Loop: Header=BB19_4 Depth=1
	ds_load_b64 v[2:3], v0
	v_mov_b32_e32 v4, 0
	v_mov_b32_e32 v5, 0
	s_waitcnt lgkmcnt(0)
	v_lshlrev_b64 v[12:13], 9, v[2:3]
	v_dual_mov_b32 v3, v1 :: v_dual_mov_b32 v2, v0
.LBB19_25:                              ;   in Loop: Header=BB19_4 Depth=1
	s_waitcnt vmcnt(0)
	s_waitcnt_vscnt null, 0x0
	s_barrier
	buffer_gl0_inv
	s_and_saveexec_b32 s6, s0
	s_cbranch_execz .LBB19_28
; %bb.26:                               ;   in Loop: Header=BB19_4 Depth=1
	v_mov_b32_e32 v0, v71
	s_bfe_u32 s8, s8, 0x80010
	s_mov_b32 s9, 0
	s_mulk_i32 s8, 0x700
                                        ; implicit-def: $vgpr1
.LBB19_27:                              ;   Parent Loop BB19_4 Depth=1
                                        ; =>  This Inner Loop Header: Depth=2
	s_delay_alu instid0(VALU_DEP_1) | instskip(SKIP_4) | instid1(SALU_CYCLE_1)
	v_add_nc_u32_e32 v0, s7, v0
	ds_store_b32 v1, v32
	v_add_nc_u32_e32 v1, s8, v1
	v_cmp_lt_u32_e32 vcc_lo, 31, v0
	s_or_b32 s9, vcc_lo, s9
	s_and_not1_b32 exec_lo, exec_lo, s9
	s_cbranch_execnz .LBB19_27
.LBB19_28:                              ;   in Loop: Header=BB19_4 Depth=1
	s_or_b32 exec_lo, exec_lo, s6
	s_and_saveexec_b32 s6, s1
	s_cbranch_execz .LBB19_30
; %bb.29:                               ;   in Loop: Header=BB19_4 Depth=1
	v_mov_b32_e32 v33, v32
	ds_store_b64 v0, v[32:33]
	s_cbranch_execnz .LBB19_441
.LBB19_30:                              ;   in Loop: Header=BB19_4 Depth=1
	s_or_b32 exec_lo, exec_lo, s6
	s_and_saveexec_b32 s6, s2
	s_cbranch_execz .LBB19_32
; %bb.31:                               ;   in Loop: Header=BB19_4 Depth=1
	ds_store_b32 v0, v32
	s_cbranch_execnz .LBB19_445
.LBB19_32:                              ;   in Loop: Header=BB19_4 Depth=1
	s_or_b32 exec_lo, exec_lo, s6
	s_waitcnt lgkmcnt(0)
	s_barrier
	buffer_gl0_inv
	s_and_saveexec_b32 s6, s3
	s_delay_alu instid0(SALU_CYCLE_1)
	s_xor_b32 s22, exec_lo, s6
	s_cbranch_execz .LBB19_298
; %bb.33:                               ;   in Loop: Header=BB19_4 Depth=1
	s_and_saveexec_b32 s23, s4
	s_cbranch_execz .LBB19_297
; %bb.34:                               ;   in Loop: Header=BB19_4 Depth=1
	s_cbranch_execnz .LBB19_453
; %bb.35:                               ;   in Loop: Header=BB19_4 Depth=1
	ds_load_b128 v[0:3], v0
	s_mov_b32 s6, 0
.LBB19_36:                              ;   Parent Loop BB19_4 Depth=1
                                        ; =>  This Inner Loop Header: Depth=2
	s_cbranch_execnz .LBB19_455
; %bb.37:                               ;   in Loop: Header=BB19_36 Depth=2
	v_mov_b32_e32 v33, v32
	flat_load_b32 v4, v[32:33] glc dlc
	s_waitcnt vmcnt(0) lgkmcnt(0)
	v_cmp_ne_u32_e32 vcc_lo, 0, v4
	s_or_b32 s6, vcc_lo, s6
	s_delay_alu instid0(SALU_CYCLE_1)
	s_and_not1_b32 exec_lo, exec_lo, s6
	s_cbranch_execnz .LBB19_36
; %bb.38:                               ;   in Loop: Header=BB19_4 Depth=1
	s_or_b32 exec_lo, exec_lo, s6
	v_lshlrev_b32_e32 v5, 5, v4
	v_bfe_i32 v4, v4, 26, 1
	s_delay_alu instid0(VALU_DEP_2) | instskip(NEXT) | instid1(VALU_DEP_1)
	v_sub_nc_u32_e32 v6, 0, v5
	v_max_i32_e32 v5, v5, v6
	s_delay_alu instid0(VALU_DEP_1) | instskip(SKIP_1) | instid1(VALU_DEP_2)
	v_cvt_f32_u32_e32 v6, v5
	v_sub_nc_u32_e32 v7, 0, v5
	v_rcp_iflag_f32_e32 v6, v6
	s_waitcnt_depctr 0xfff
	v_mul_f32_e32 v6, 0x4f7ffffe, v6
	s_delay_alu instid0(VALU_DEP_1) | instskip(NEXT) | instid1(VALU_DEP_1)
	v_cvt_u32_f32_e32 v6, v6
	v_mul_lo_u32 v7, v7, v6
	s_delay_alu instid0(VALU_DEP_1) | instskip(NEXT) | instid1(VALU_DEP_1)
	v_mul_hi_u32 v7, v6, v7
	v_add_nc_u32_e32 v6, v6, v7
	s_delay_alu instid0(VALU_DEP_1) | instskip(NEXT) | instid1(VALU_DEP_1)
	v_lshrrev_b32_e32 v6, 25, v6
	v_mul_lo_u32 v7, v6, v5
	v_add_nc_u32_e32 v8, 1, v6
	s_delay_alu instid0(VALU_DEP_2) | instskip(NEXT) | instid1(VALU_DEP_1)
	v_sub_nc_u32_e32 v7, 0x80, v7
	v_sub_nc_u32_e32 v9, v7, v5
	v_cmp_ge_u32_e32 vcc_lo, v7, v5
	s_delay_alu instid0(VALU_DEP_2) | instskip(NEXT) | instid1(VALU_DEP_1)
	v_dual_cndmask_b32 v7, v7, v9 :: v_dual_cndmask_b32 v6, v6, v8
	v_cmp_ge_u32_e32 vcc_lo, v7, v5
	s_delay_alu instid0(VALU_DEP_2) | instskip(NEXT) | instid1(VALU_DEP_1)
	v_add_nc_u32_e32 v8, 1, v6
	v_cndmask_b32_e32 v5, v6, v8, vcc_lo
	s_delay_alu instid0(VALU_DEP_1) | instskip(NEXT) | instid1(VALU_DEP_1)
	v_xor_b32_e32 v5, v5, v4
	v_sub_nc_u32_e32 v36, v5, v4
	s_delay_alu instid0(VALU_DEP_1) | instskip(NEXT) | instid1(VALU_DEP_1)
	v_lshlrev_b32_e32 v82, 5, v36
	v_sub_nc_u32_e32 v4, 0, v82
	s_delay_alu instid0(VALU_DEP_1) | instskip(NEXT) | instid1(VALU_DEP_1)
	v_max_i32_e32 v10, v82, v4
	v_cvt_f32_u32_e32 v4, v10
	v_sub_nc_u32_e32 v5, 0, v10
	s_delay_alu instid0(VALU_DEP_2) | instskip(SKIP_2) | instid1(VALU_DEP_1)
	v_rcp_iflag_f32_e32 v4, v4
	s_waitcnt_depctr 0xfff
	v_mul_f32_e32 v4, 0x4f7ffffe, v4
	v_cvt_u32_f32_e32 v4, v4
	s_delay_alu instid0(VALU_DEP_1) | instskip(NEXT) | instid1(VALU_DEP_1)
	v_mul_lo_u32 v5, v5, v4
	v_mul_hi_u32 v5, v4, v5
	s_delay_alu instid0(VALU_DEP_1) | instskip(NEXT) | instid1(VALU_DEP_1)
	v_add_nc_u32_e32 v11, v4, v5
	v_mul_hi_u32 v4, v71, v11
	s_delay_alu instid0(VALU_DEP_1) | instskip(NEXT) | instid1(VALU_DEP_1)
	v_mul_lo_u32 v5, v4, v10
	v_sub_nc_u32_e32 v5, v71, v5
	s_delay_alu instid0(VALU_DEP_1) | instskip(SKIP_1) | instid1(VALU_DEP_1)
	v_sub_nc_u32_e32 v6, v5, v10
	v_cmp_ge_u32_e64 s6, v5, v10
	v_cndmask_b32_e64 v5, v5, v6, s6
	s_delay_alu instid0(VALU_DEP_1)
	v_cmp_ge_u32_e32 vcc_lo, v5, v10
	s_cbranch_execnz .LBB19_457
; %bb.39:                               ;   in Loop: Header=BB19_4 Depth=1
	v_add_nc_u32_e32 v5, 1, v4
	v_bfe_i32 v9, v36, 26, 1
	v_mov_b32_e32 v33, 0x800
	s_delay_alu instid0(VALU_DEP_3) | instskip(SKIP_1) | instid1(VALU_DEP_1)
	v_cndmask_b32_e64 v4, v4, v5, s6
	s_mov_b32 s6, exec_lo
	v_add_nc_u32_e32 v5, 1, v4
	s_delay_alu instid0(VALU_DEP_1) | instskip(NEXT) | instid1(VALU_DEP_1)
	v_cndmask_b32_e32 v4, v4, v5, vcc_lo
	v_xor_b32_e32 v4, v4, v9
	s_delay_alu instid0(VALU_DEP_1) | instskip(SKIP_2) | instid1(VALU_DEP_1)
	v_sub_nc_u32_e32 v83, v4, v9
	ds_load_b64 v[4:5], v0
	v_mul_lo_u32 v8, v83, v82
	v_sub_nc_u32_e32 v37, v71, v8
	s_delay_alu instid0(VALU_DEP_1)
	v_cmpx_gt_i32_e32 5, v37
	s_cbranch_execz .LBB19_41
; %bb.40:                               ;   in Loop: Header=BB19_4 Depth=1
	v_ashrrev_i32_e32 v38, 31, v37
	s_getpc_b64 s[8:9]
	s_add_u32 s8, s8, __const.Primitives.roles.8@rel32@lo+4
	s_addc_u32 s9, s9, __const.Primitives.roles.8@rel32@hi+12
	s_delay_alu instid0(VALU_DEP_1) | instskip(NEXT) | instid1(VALU_DEP_1)
	v_lshlrev_b64 v[6:7], 2, v[37:38]
	v_add_co_u32 v6, vcc_lo, v6, s8
	s_delay_alu instid0(VALU_DEP_2)
	v_add_co_ci_u32_e32 v7, vcc_lo, s9, v7, vcc_lo
	global_load_b32 v6, v[6:7], off
	s_waitcnt vmcnt(0)
	v_or_b32_e32 v33, 0x800, v6
.LBB19_41:                              ;   in Loop: Header=BB19_4 Depth=1
	s_or_b32 exec_lo, exec_lo, s6
	ds_load_b32 v6, v0
	s_cbranch_execnz .LBB19_459
; %bb.42:                               ;   in Loop: Header=BB19_4 Depth=1
	v_lshlrev_b64 v[12:13], v37, 1
	s_waitcnt lgkmcnt(0)
	v_ashrrev_i32_e32 v7, 31, v6
	v_cmp_gt_i32_e64 s6, 32, v37
	s_delay_alu instid0(VALU_DEP_2) | instskip(NEXT) | instid1(VALU_DEP_2)
	v_cmp_lt_u64_e32 vcc_lo, v[12:13], v[6:7]
	s_and_b32 s7, s6, vcc_lo
	s_delay_alu instid0(SALU_CYCLE_1)
	s_and_saveexec_b32 s6, s7
	s_cbranch_execz .LBB19_45
; %bb.43:                               ;   in Loop: Header=BB19_4 Depth=1
	v_cvt_f32_u32_e32 v7, v6
	s_delay_alu instid0(VALU_DEP_1)
	v_rcp_iflag_f32_e32 v7, v7
	s_waitcnt_depctr 0xfff
	v_mul_f32_e32 v12, 0x4f7ffffe, v7
	ds_load_b32 v7, v0
	v_cvt_u32_f32_e32 v13, v12
	v_sub_nc_u32_e32 v12, 0, v6
	s_delay_alu instid0(VALU_DEP_1) | instskip(NEXT) | instid1(VALU_DEP_1)
	v_mul_lo_u32 v12, v12, v13
	v_mul_hi_u32 v14, v13, v12
	v_lshlrev_b32_e64 v12, v37, 1
	s_waitcnt lgkmcnt(0)
	s_delay_alu instid0(VALU_DEP_1) | instskip(NEXT) | instid1(VALU_DEP_3)
	v_add_nc_u32_e32 v15, v7, v12
	v_add_nc_u32_e32 v13, v13, v14
	s_delay_alu instid0(VALU_DEP_1) | instskip(NEXT) | instid1(VALU_DEP_1)
	v_mul_hi_u32 v14, v15, v13
	v_mul_lo_u32 v14, v14, v6
	s_delay_alu instid0(VALU_DEP_1) | instskip(NEXT) | instid1(VALU_DEP_1)
	v_sub_nc_u32_e32 v14, v15, v14
	v_sub_nc_u32_e32 v15, v14, v6
	v_cmp_ge_u32_e32 vcc_lo, v14, v6
	s_delay_alu instid0(VALU_DEP_2) | instskip(NEXT) | instid1(VALU_DEP_1)
	v_cndmask_b32_e32 v14, v14, v15, vcc_lo
	v_cmp_ge_u32_e32 vcc_lo, v14, v6
	s_cbranch_execnz .LBB19_463
; %bb.44:                               ;   in Loop: Header=BB19_4 Depth=1
	v_sub_nc_u32_e32 v12, v6, v12
	s_mov_b32 s8, s14
	s_mov_b32 s9, s14
	v_sub_nc_u32_e32 v15, v14, v6
	ds_load_b64 v[18:19], v0
	v_add_nc_u32_e32 v7, v12, v7
	s_delay_alu instid0(VALU_DEP_1) | instskip(NEXT) | instid1(VALU_DEP_1)
	v_mul_hi_u32 v12, v7, v13
	v_mul_lo_u32 v12, v12, v6
	s_delay_alu instid0(VALU_DEP_1) | instskip(NEXT) | instid1(VALU_DEP_1)
	v_sub_nc_u32_e32 v7, v7, v12
	v_sub_nc_u32_e32 v12, v7, v6
	v_cndmask_b32_e32 v14, v14, v15, vcc_lo
	s_delay_alu instid0(VALU_DEP_1) | instskip(NEXT) | instid1(VALU_DEP_1)
	v_ashrrev_i32_e32 v15, 31, v14
	v_lshlrev_b64 v[14:15], 3, v[14:15]
	s_waitcnt lgkmcnt(0)
	s_delay_alu instid0(VALU_DEP_1) | instskip(NEXT) | instid1(VALU_DEP_2)
	v_add_co_u32 v14, vcc_lo, v18, v14
	v_add_co_ci_u32_e32 v15, vcc_lo, v19, v15, vcc_lo
	flat_load_b64 v[20:21], v[14:15]
	s_waitcnt vmcnt(0) lgkmcnt(0)
	v_add_co_u32 v14, vcc_lo, 0x1f8, v20
	v_add_co_ci_u32_e32 v15, vcc_lo, 0, v21, vcc_lo
	v_cmp_ge_u32_e32 vcc_lo, v7, v6
	ds_store_b64 v0, v[14:15]
	s_clause 0x1
	flat_load_b64 v[14:15], v[20:21] offset:520
	flat_load_b64 v[22:23], v[20:21] offset:608
	v_cndmask_b32_e32 v7, v7, v12, vcc_lo
	s_delay_alu instid0(VALU_DEP_1) | instskip(SKIP_1) | instid1(VALU_DEP_2)
	v_sub_nc_u32_e32 v12, v7, v6
	v_cmp_ge_u32_e32 vcc_lo, v7, v6
	v_cndmask_b32_e32 v6, v7, v12, vcc_lo
	s_waitcnt vmcnt(1) lgkmcnt(1)
	ds_store_b64 v0, v[14:15]
	flat_load_b128 v[14:17], v[20:21] offset:552
	s_waitcnt vmcnt(1) lgkmcnt(2)
	ds_store_b64 v0, v[22:23]
	s_waitcnt vmcnt(0) lgkmcnt(1)
	ds_store_b64 v0, v[14:15]
	flat_load_b64 v[12:13], v[14:15] glc
	v_mov_b32_e32 v15, s9
	v_ashrrev_i32_e32 v7, 31, v6
	ds_store_b64 v0, v[16:17]
	v_mov_b32_e32 v14, s8
	v_lshlrev_b64 v[6:7], 3, v[6:7]
	s_delay_alu instid0(VALU_DEP_1) | instskip(NEXT) | instid1(VALU_DEP_2)
	v_add_co_u32 v6, vcc_lo, v18, v6
	v_add_co_ci_u32_e32 v7, vcc_lo, v19, v7, vcc_lo
	flat_load_b64 v[6:7], v[6:7]
	s_waitcnt vmcnt(0) lgkmcnt(0)
	flat_load_b64 v[16:17], v[6:7] offset:104
	flat_load_b32 v20, v[20:21] offset:576
	s_waitcnt vmcnt(1) lgkmcnt(1)
	ds_store_2addr_b64 v0, v[16:17], v[6:7] offset1:1
	flat_load_b64 v[16:17], v[6:7] offset:96
	s_waitcnt vmcnt(0) lgkmcnt(0)
	ds_store_b64 v0, v[16:17]
	s_clause 0x1
	flat_load_b64 v[16:17], v[6:7] offset:16
	flat_load_b64 v[18:19], v[6:7] offset:56
	ds_store_b64 v0, v[12:13]
	ds_store_b64 v0, v[14:15]
	ds_store_b32 v0, v20
	s_waitcnt vmcnt(0) lgkmcnt(3)
	ds_store_2addr_b64 v0, v[16:17], v[18:19] offset1:1
	flat_load_b64 v[12:13], v[18:19] glc
	flat_load_b64 v[16:17], v[6:7] offset:48
	s_waitcnt vmcnt(0) lgkmcnt(0)
	ds_store_2addr_b64 v0, v[16:17], v[12:13] offset1:1
	flat_load_b32 v6, v[6:7] offset:72
	ds_store_b64 v0, v[14:15]
	s_waitcnt vmcnt(0) lgkmcnt(1)
	ds_store_b32 v0, v6
.LBB19_45:                              ;   in Loop: Header=BB19_4 Depth=1
	s_or_b32 exec_lo, exec_lo, s6
	s_cbranch_execnz .LBB19_461
; %bb.46:                               ;   in Loop: Header=BB19_4 Depth=1
	s_mov_b32 s6, exec_lo
	v_cmpx_eq_u32_e32 0, v37
	s_cbranch_execz .LBB19_48
; %bb.47:                               ;   in Loop: Header=BB19_4 Depth=1
	ds_store_2addr_b64 v0, v[2:3], v[0:1] offset0:14 offset1:15
	ds_store_b64 v0, v[4:5]
	s_cbranch_execnz .LBB19_467
.LBB19_48:                              ;   in Loop: Header=BB19_4 Depth=1
	s_or_b32 exec_lo, exec_lo, s6
	v_cmp_ne_u32_e64 s6, v82, v70
                                        ; implicit-def: $vgpr38_vgpr39
                                        ; implicit-def: $vgpr0
	s_delay_alu instid0(VALU_DEP_1) | instskip(NEXT) | instid1(SALU_CYCLE_1)
	s_and_saveexec_b32 s7, s6
	s_xor_b32 s7, exec_lo, s7
	s_cbranch_execz .LBB19_67
; %bb.49:                               ;   in Loop: Header=BB19_4 Depth=1
	v_mov_b32_e32 v38, 0
	v_dual_mov_b32 v39, 0 :: v_dual_mov_b32 v0, v80
	s_and_saveexec_b32 s8, s5
	s_cbranch_execz .LBB19_66
; %bb.50:                               ;   in Loop: Header=BB19_4 Depth=1
	s_mov_b32 s10, exec_lo
	s_mov_b32 s9, exec_lo
	v_mbcnt_lo_u32_b32 v0, s10, 0
	s_waitcnt lgkmcnt(0)
	buffer_gl1_inv
	buffer_gl0_inv
	v_cmpx_eq_u32_e32 0, v0
	s_cbranch_execz .LBB19_52
; %bb.51:                               ;   in Loop: Header=BB19_4 Depth=1
	s_bcnt1_i32_b32 s10, s10
	s_delay_alu instid0(SALU_CYCLE_1)
	v_dual_mov_b32 v1, v32 :: v_dual_mov_b32 v0, s10
	ds_add_u64 v0, v[0:1]
	s_cbranch_execnz .LBB19_473
.LBB19_52:                              ;   in Loop: Header=BB19_4 Depth=1
	s_or_b32 exec_lo, exec_lo, s9
	s_cbranch_execnz .LBB19_471
; %bb.53:                               ;   in Loop: Header=BB19_4 Depth=1
	ds_load_b64 v[0:1], v0
	s_waitcnt lgkmcnt(0)
	v_cmp_lt_u64_e32 vcc_lo, 3, v[0:1]
	s_cbranch_vccnz .LBB19_65
; %bb.54:                               ;   in Loop: Header=BB19_4 Depth=1
	s_mov_b32 s9, 0
	s_mov_b32 s12, 0
                                        ; implicit-def: $sgpr10
                                        ; implicit-def: $sgpr11
	s_branch .LBB19_56
.LBB19_55:                              ;   in Loop: Header=BB19_56 Depth=2
	s_or_b32 exec_lo, exec_lo, s25
	s_delay_alu instid0(SALU_CYCLE_1) | instskip(NEXT) | instid1(SALU_CYCLE_1)
	s_and_b32 s13, exec_lo, s24
	s_or_b32 s9, s13, s9
	s_and_not1_b32 s10, s10, exec_lo
	s_and_b32 s13, s11, exec_lo
	s_delay_alu instid0(SALU_CYCLE_1)
	s_or_b32 s10, s10, s13
	s_and_not1_b32 exec_lo, exec_lo, s9
	s_cbranch_execz .LBB19_62
.LBB19_56:                              ;   Parent Loop BB19_4 Depth=1
                                        ; =>  This Inner Loop Header: Depth=2
	s_add_i32 s12, s12, 1
                                        ; implicit-def: $sgpr24
	s_delay_alu instid0(SALU_CYCLE_1) | instskip(SKIP_1) | instid1(SALU_CYCLE_1)
	s_cmpk_lg_i32 s12, 0x2710
	s_cselect_b32 s13, -1, 0
	s_and_b32 vcc_lo, exec_lo, s13
	s_cbranch_vccz .LBB19_60
.LBB19_57:                              ;   in Loop: Header=BB19_56 Depth=2
	s_and_not1_b32 s11, s11, exec_lo
	s_and_b32 s25, s24, exec_lo
	s_mov_b32 s24, -1
	s_or_b32 s11, s11, s25
	s_and_saveexec_b32 s25, s13
	s_cbranch_execz .LBB19_55
; %bb.58:                               ;   in Loop: Header=BB19_56 Depth=2
	s_sleep 1
	s_cbranch_execnz .LBB19_477
; %bb.59:                               ;   in Loop: Header=BB19_56 Depth=2
	ds_load_b64 v[0:1], v0
	s_and_not1_b32 s11, s11, exec_lo
	s_waitcnt lgkmcnt(0)
	v_cmp_lt_u64_e32 vcc_lo, 3, v[0:1]
	s_or_not1_b32 s24, vcc_lo, exec_lo
	s_branch .LBB19_55
.LBB19_60:                              ;   in Loop: Header=BB19_56 Depth=2
	s_cbranch_execnz .LBB19_479
; %bb.61:                               ;   in Loop: Header=BB19_56 Depth=2
	ds_load_b64 v[0:1], v0
	s_and_not1_b32 s13, s13, exec_lo
	s_mov_b32 s12, 0
	s_mov_b32 s24, -1
	s_waitcnt lgkmcnt(0)
	flat_load_b32 v0, v[0:1] glc
	s_waitcnt vmcnt(0) lgkmcnt(0)
	buffer_gl1_inv
	buffer_gl0_inv
	v_cmp_eq_u32_e32 vcc_lo, 0, v0
	s_and_b32 s25, vcc_lo, exec_lo
	s_delay_alu instid0(SALU_CYCLE_1)
	s_or_b32 s13, s13, s25
	s_branch .LBB19_57
.LBB19_62:                              ;   in Loop: Header=BB19_4 Depth=1
	s_or_b32 exec_lo, exec_lo, s9
	s_and_saveexec_b32 s9, s10
	s_delay_alu instid0(SALU_CYCLE_1)
	s_xor_b32 s9, exec_lo, s9
	s_cbranch_execz .LBB19_64
; %bb.63:                               ;   in Loop: Header=BB19_4 Depth=1
	ds_store_b32 v0, v35
	s_cbranch_execnz .LBB19_515
.LBB19_64:                              ;   in Loop: Header=BB19_4 Depth=1
	s_or_b32 exec_lo, exec_lo, s9
.LBB19_65:                              ;   in Loop: Header=BB19_4 Depth=1
	v_mov_b32_e32 v38, 4
	v_dual_mov_b32 v39, 0 :: v_dual_mov_b32 v0, 0
	;;#ASMSTART
	s_wakeup
	;;#ASMEND
.LBB19_66:                              ;   in Loop: Header=BB19_4 Depth=1
	s_or_b32 exec_lo, exec_lo, s8
.LBB19_67:                              ;   in Loop: Header=BB19_4 Depth=1
	s_and_not1_saveexec_b32 s7, s7
	s_cbranch_execz .LBB19_69
; %bb.68:                               ;   in Loop: Header=BB19_4 Depth=1
	v_mov_b32_e32 v38, 0
	v_dual_mov_b32 v39, 0 :: v_dual_mov_b32 v0, v80
	s_waitcnt lgkmcnt(0)
	buffer_gl1_inv
	buffer_gl0_inv
	s_barrier
.LBB19_69:                              ;   in Loop: Header=BB19_4 Depth=1
	s_or_b32 exec_lo, exec_lo, s7
	v_lshrrev_b32_e32 v1, 25, v11
	v_cmp_eq_u32_e64 s7, 0, v0
	s_mov_b32 s24, 0
	s_delay_alu instid0(VALU_DEP_2) | instskip(NEXT) | instid1(VALU_DEP_1)
	v_mul_lo_u32 v2, v1, v10
	v_sub_nc_u32_e32 v2, 0x80, v2
	s_delay_alu instid0(VALU_DEP_1) | instskip(SKIP_1) | instid1(VALU_DEP_1)
	v_sub_nc_u32_e32 v3, v2, v10
	v_cmp_ge_u32_e64 s8, v2, v10
	v_cndmask_b32_e64 v2, v2, v3, s8
	s_delay_alu instid0(VALU_DEP_1)
	v_cmp_ge_u32_e32 vcc_lo, v2, v10
	s_cbranch_execnz .LBB19_465
; %bb.70:                               ;   in Loop: Header=BB19_4 Depth=1
	v_ashrrev_i32_e32 v0, 31, v37
	v_add_nc_u32_e32 v2, 1, v1
	v_lshlrev_b32_e32 v84, 12, v36
	v_lshlrev_b32_e32 v85, 9, v36
	;; [unrolled: 1-line block ×3, first 2 shown]
	v_lshrrev_b32_e32 v0, 27, v0
	v_cndmask_b32_e64 v1, v1, v2, s8
	v_subrev_nc_u32_e32 v2, 32, v82
	v_add_nc_u32_e32 v5, 0xfffffe00, v85
	v_cmp_eq_u32_e64 s9, v71, v8
	v_add_nc_u32_e32 v0, v37, v0
	v_add_nc_u32_e32 v3, 1, v1
	v_ashrrev_i32_e32 v116, 31, v84
	v_ashrrev_i32_e32 v7, 31, v5
	;; [unrolled: 1-line block ×3, first 2 shown]
	s_delay_alu instid0(VALU_DEP_4) | instskip(SKIP_3) | instid1(VALU_DEP_4)
	v_dual_cndmask_b32 v1, v1, v3 :: v_dual_and_b32 v4, 0xffffffe0, v0
	v_ashrrev_i32_e32 v87, 5, v0
	v_add_nc_u32_e32 v0, 0xfffff000, v84
	v_ashrrev_i32_e32 v118, 31, v86
	v_sub_nc_u32_e32 v96, v37, v4
	v_add_nc_u32_e32 v4, 0xfffffc00, v86
	v_lshlrev_b32_e32 v3, 12, v87
	v_ashrrev_i32_e32 v6, 31, v0
	v_add_co_u32 v98, vcc_lo, 0x1000, v0
	v_xor_b32_e32 v1, v1, v9
	v_ashrrev_i32_e32 v0, 31, v4
	s_delay_alu instid0(VALU_DEP_4)
	v_add_co_ci_u32_e32 v99, vcc_lo, 0, v6, vcc_lo
	v_add_co_u32 v102, vcc_lo, 0x200, v5
	v_add_co_ci_u32_e32 v103, vcc_lo, 0, v7, vcc_lo
	v_lshl_add_u32 v97, v96, 4, v3
	v_sub_nc_u32_e32 v100, v1, v9
	v_ashrrev_i32_e32 v1, 31, v2
	v_add_co_u32 v112, vcc_lo, 0x400, v4
	v_add_co_ci_u32_e32 v113, vcc_lo, 0, v0, vcc_lo
	v_add_co_u32 v114, vcc_lo, v2, 32
	v_cmp_gt_i32_e64 s8, 1, v96
	v_ashrrev_i32_e32 v101, 31, v97
	v_add_co_ci_u32_e32 v115, vcc_lo, 0, v1, vcc_lo
	v_ashrrev_i32_e32 v119, 31, v82
                                        ; implicit-def: $vgpr48_vgpr49
.LBB19_71:                              ;   Parent Loop BB19_4 Depth=1
                                        ; =>  This Loop Header: Depth=2
                                        ;       Child Loop BB19_73 Depth 3
                                        ;       Child Loop BB19_83 Depth 3
	;; [unrolled: 1-line block ×12, first 2 shown]
	s_cbranch_execnz .LBB19_469
; %bb.72:                               ;   in Loop: Header=BB19_71 Depth=2
	s_mov_b32 s10, 0
.LBB19_73:                              ;   Parent Loop BB19_4 Depth=1
                                        ;     Parent Loop BB19_71 Depth=2
                                        ; =>    This Inner Loop Header: Depth=3
	ds_load_b32 v0, v0 offset:36
	s_waitcnt lgkmcnt(0)
	v_cmp_ne_u32_e32 vcc_lo, 0, v0
	s_or_b32 s10, vcc_lo, s10
	s_delay_alu instid0(SALU_CYCLE_1)
	s_and_not1_b32 exec_lo, exec_lo, s10
	s_cbranch_execnz .LBB19_73
; %bb.74:                               ;   in Loop: Header=BB19_71 Depth=2
	s_or_b32 exec_lo, exec_lo, s10
	ds_load_b32 v128, v0 offset:32
	v_and_b32_e32 v0, 2, v0
	s_mov_b32 s10, exec_lo
	s_delay_alu instid0(VALU_DEP_1)
	v_cmpx_ne_u32_e32 0, v0
	s_xor_b32 s10, exec_lo, s10
	s_cbranch_execz .LBB19_116
; %bb.75:                               ;   in Loop: Header=BB19_71 Depth=2
	s_and_saveexec_b32 s11, s6
	s_delay_alu instid0(SALU_CYCLE_1)
	s_xor_b32 s11, exec_lo, s11
	s_cbranch_execz .LBB19_93
; %bb.76:                               ;   in Loop: Header=BB19_71 Depth=2
	s_and_saveexec_b32 s12, s7
	s_cbranch_execz .LBB19_92
; %bb.77:                               ;   in Loop: Header=BB19_71 Depth=2
	s_mov_b32 s25, exec_lo
	s_mov_b32 s13, exec_lo
	v_mbcnt_lo_u32_b32 v0, s25, 0
	s_waitcnt lgkmcnt(0)
	buffer_gl1_inv
	buffer_gl0_inv
	v_cmpx_eq_u32_e32 0, v0
	s_cbranch_execz .LBB19_79
; %bb.78:                               ;   in Loop: Header=BB19_71 Depth=2
	s_bcnt1_i32_b32 s25, s25
	s_delay_alu instid0(SALU_CYCLE_1)
	v_dual_mov_b32 v1, v32 :: v_dual_mov_b32 v0, s25
	ds_add_u64 v0, v[0:1]
	s_cbranch_execnz .LBB19_493
.LBB19_79:                              ;   in Loop: Header=BB19_71 Depth=2
	s_or_b32 exec_lo, exec_lo, s13
	s_cbranch_execnz .LBB19_485
; %bb.80:                               ;   in Loop: Header=BB19_71 Depth=2
	ds_load_b64 v[0:1], v0
	v_add_co_u32 v38, vcc_lo, v38, 4
	v_add_co_ci_u32_e32 v39, vcc_lo, 0, v39, vcc_lo
	s_mov_b32 s13, exec_lo
	s_waitcnt lgkmcnt(0)
	s_delay_alu instid0(VALU_DEP_1)
	v_cmpx_lt_u64_e64 v[0:1], v[38:39]
	s_cbranch_execz .LBB19_91
; %bb.81:                               ;   in Loop: Header=BB19_71 Depth=2
	s_mov_b32 s25, 0
	s_mov_b32 s28, 0
                                        ; implicit-def: $sgpr26
                                        ; implicit-def: $sgpr27
	s_branch .LBB19_83
.LBB19_82:                              ;   in Loop: Header=BB19_83 Depth=3
	s_or_b32 exec_lo, exec_lo, vcc_hi
	s_delay_alu instid0(SALU_CYCLE_1) | instskip(NEXT) | instid1(SALU_CYCLE_1)
	s_and_b32 s29, exec_lo, vcc_lo
	s_or_b32 s25, s29, s25
	s_and_not1_b32 s26, s26, exec_lo
	s_and_b32 s29, s27, exec_lo
	s_delay_alu instid0(SALU_CYCLE_1)
	s_or_b32 s26, s26, s29
	s_and_not1_b32 exec_lo, exec_lo, s25
	s_cbranch_execz .LBB19_89
.LBB19_83:                              ;   Parent Loop BB19_4 Depth=1
                                        ;     Parent Loop BB19_71 Depth=2
                                        ; =>    This Inner Loop Header: Depth=3
	s_add_i32 s28, s28, 1
                                        ; implicit-def: $vcc_hi
	s_delay_alu instid0(SALU_CYCLE_1) | instskip(SKIP_1) | instid1(SALU_CYCLE_1)
	s_cmpk_lg_i32 s28, 0x2710
	s_cselect_b32 s29, -1, 0
	s_and_b32 vcc_lo, exec_lo, s29
	s_cbranch_vccnz .LBB19_86
; %bb.84:                               ;   in Loop: Header=BB19_83 Depth=3
	s_cbranch_execnz .LBB19_505
; %bb.85:                               ;   in Loop: Header=BB19_83 Depth=3
	ds_load_b64 v[0:1], v0
	s_and_not1_b32 s29, s29, exec_lo
	s_mov_b32 s28, 0
	s_waitcnt lgkmcnt(0)
	flat_load_b32 v0, v[0:1] glc
	s_waitcnt vmcnt(0) lgkmcnt(0)
	buffer_gl1_inv
	buffer_gl0_inv
	v_cmp_eq_u32_e32 vcc_lo, 0, v0
	s_mov_b32 vcc_hi, -1
	s_and_b32 vcc_lo, vcc_lo, exec_lo
	s_delay_alu instid0(SALU_CYCLE_1)
	s_or_b32 s29, s29, vcc_lo
.LBB19_86:                              ;   in Loop: Header=BB19_83 Depth=3
	s_and_not1_b32 s27, s27, exec_lo
	s_and_b32 vcc_hi, vcc_hi, exec_lo
	s_mov_b32 vcc_lo, -1
	s_or_b32 s27, s27, vcc_hi
	s_and_saveexec_b32 vcc_hi, s29
	s_cbranch_execz .LBB19_82
; %bb.87:                               ;   in Loop: Header=BB19_83 Depth=3
	s_sleep 1
	s_cbranch_execnz .LBB19_501
; %bb.88:                               ;   in Loop: Header=BB19_83 Depth=3
	ds_load_b64 v[0:1], v0
	s_and_not1_b32 s27, s27, exec_lo
	s_waitcnt lgkmcnt(0)
	v_cmp_ge_u64_e32 vcc_lo, v[0:1], v[38:39]
	s_or_not1_b32 vcc_lo, vcc_lo, exec_lo
	s_branch .LBB19_82
.LBB19_89:                              ;   in Loop: Header=BB19_71 Depth=2
	s_or_b32 exec_lo, exec_lo, s25
	s_and_saveexec_b32 s25, s26
	s_delay_alu instid0(SALU_CYCLE_1)
	s_xor_b32 s25, exec_lo, s25
	s_cbranch_execz .LBB19_91
; %bb.90:                               ;   in Loop: Header=BB19_71 Depth=2
	ds_store_b32 v0, v35
	s_cbranch_execnz .LBB19_533
.LBB19_91:                              ;   in Loop: Header=BB19_71 Depth=2
	s_or_b32 exec_lo, exec_lo, s13
	;;#ASMSTART
	s_wakeup
	;;#ASMEND
.LBB19_92:                              ;   in Loop: Header=BB19_71 Depth=2
	s_or_b32 exec_lo, exec_lo, s12
.LBB19_93:                              ;   in Loop: Header=BB19_71 Depth=2
	s_and_not1_saveexec_b32 s11, s11
	s_cbranch_execz .LBB19_95
; %bb.94:                               ;   in Loop: Header=BB19_71 Depth=2
	s_waitcnt lgkmcnt(0)
	buffer_gl1_inv
	buffer_gl0_inv
	s_waitcnt_vscnt null, 0x0
	s_barrier
.LBB19_95:                              ;   in Loop: Header=BB19_71 Depth=2
	s_or_b32 exec_lo, exec_lo, s11
	s_and_saveexec_b32 s11, s6
	s_delay_alu instid0(SALU_CYCLE_1)
	s_xor_b32 s11, exec_lo, s11
	s_cbranch_execz .LBB19_113
; %bb.96:                               ;   in Loop: Header=BB19_71 Depth=2
	s_and_saveexec_b32 s12, s7
	s_cbranch_execz .LBB19_112
; %bb.97:                               ;   in Loop: Header=BB19_71 Depth=2
	s_mov_b32 s25, exec_lo
	s_mov_b32 s13, exec_lo
	v_mbcnt_lo_u32_b32 v0, s25, 0
	s_waitcnt lgkmcnt(0)
	buffer_gl1_inv
	buffer_gl0_inv
	v_cmpx_eq_u32_e32 0, v0
	s_cbranch_execz .LBB19_99
; %bb.98:                               ;   in Loop: Header=BB19_71 Depth=2
	s_bcnt1_i32_b32 s25, s25
	s_delay_alu instid0(SALU_CYCLE_1)
	v_dual_mov_b32 v1, v32 :: v_dual_mov_b32 v0, s25
	ds_add_u64 v0, v[0:1]
	s_cbranch_execnz .LBB19_495
.LBB19_99:                              ;   in Loop: Header=BB19_71 Depth=2
	s_or_b32 exec_lo, exec_lo, s13
	s_cbranch_execnz .LBB19_491
; %bb.100:                              ;   in Loop: Header=BB19_71 Depth=2
	ds_load_b64 v[0:1], v0
	v_add_co_u32 v38, vcc_lo, v38, 4
	v_add_co_ci_u32_e32 v39, vcc_lo, 0, v39, vcc_lo
	s_mov_b32 s13, exec_lo
	s_waitcnt lgkmcnt(0)
	s_delay_alu instid0(VALU_DEP_1)
	v_cmpx_lt_u64_e64 v[0:1], v[38:39]
	s_cbranch_execz .LBB19_111
; %bb.101:                              ;   in Loop: Header=BB19_71 Depth=2
	s_mov_b32 s25, 0
	s_mov_b32 s28, 0
                                        ; implicit-def: $sgpr26
                                        ; implicit-def: $sgpr27
	s_branch .LBB19_103
.LBB19_102:                             ;   in Loop: Header=BB19_103 Depth=3
	s_or_b32 exec_lo, exec_lo, vcc_hi
	s_delay_alu instid0(SALU_CYCLE_1) | instskip(NEXT) | instid1(SALU_CYCLE_1)
	s_and_b32 s29, exec_lo, vcc_lo
	s_or_b32 s25, s29, s25
	s_and_not1_b32 s26, s26, exec_lo
	s_and_b32 s29, s27, exec_lo
	s_delay_alu instid0(SALU_CYCLE_1)
	s_or_b32 s26, s26, s29
	s_and_not1_b32 exec_lo, exec_lo, s25
	s_cbranch_execz .LBB19_109
.LBB19_103:                             ;   Parent Loop BB19_4 Depth=1
                                        ;     Parent Loop BB19_71 Depth=2
                                        ; =>    This Inner Loop Header: Depth=3
	s_add_i32 s28, s28, 1
                                        ; implicit-def: $vcc_hi
	s_delay_alu instid0(SALU_CYCLE_1) | instskip(SKIP_1) | instid1(SALU_CYCLE_1)
	s_cmpk_lg_i32 s28, 0x2710
	s_cselect_b32 s29, -1, 0
	s_and_b32 vcc_lo, exec_lo, s29
	s_cbranch_vccz .LBB19_107
.LBB19_104:                             ;   in Loop: Header=BB19_103 Depth=3
	s_and_not1_b32 s27, s27, exec_lo
	s_and_b32 vcc_hi, vcc_hi, exec_lo
	s_mov_b32 vcc_lo, -1
	s_or_b32 s27, s27, vcc_hi
	s_and_saveexec_b32 vcc_hi, s29
	s_cbranch_execz .LBB19_102
; %bb.105:                              ;   in Loop: Header=BB19_103 Depth=3
	s_sleep 1
	s_cbranch_execnz .LBB19_507
; %bb.106:                              ;   in Loop: Header=BB19_103 Depth=3
	ds_load_b64 v[0:1], v0
	s_and_not1_b32 s27, s27, exec_lo
	s_waitcnt lgkmcnt(0)
	v_cmp_ge_u64_e32 vcc_lo, v[0:1], v[38:39]
	s_or_not1_b32 vcc_lo, vcc_lo, exec_lo
	s_branch .LBB19_102
.LBB19_107:                             ;   in Loop: Header=BB19_103 Depth=3
	s_cbranch_execnz .LBB19_509
; %bb.108:                              ;   in Loop: Header=BB19_103 Depth=3
	ds_load_b64 v[0:1], v0
	s_and_not1_b32 s29, s29, exec_lo
	s_mov_b32 s28, 0
	s_waitcnt lgkmcnt(0)
	flat_load_b32 v0, v[0:1] glc
	s_waitcnt vmcnt(0) lgkmcnt(0)
	buffer_gl1_inv
	buffer_gl0_inv
	v_cmp_eq_u32_e32 vcc_lo, 0, v0
	s_mov_b32 vcc_hi, -1
	s_and_b32 vcc_lo, vcc_lo, exec_lo
	s_delay_alu instid0(SALU_CYCLE_1)
	s_or_b32 s29, s29, vcc_lo
	s_branch .LBB19_104
.LBB19_109:                             ;   in Loop: Header=BB19_71 Depth=2
	s_or_b32 exec_lo, exec_lo, s25
	s_and_saveexec_b32 s25, s26
	s_delay_alu instid0(SALU_CYCLE_1)
	s_xor_b32 s25, exec_lo, s25
	s_cbranch_execz .LBB19_111
; %bb.110:                              ;   in Loop: Header=BB19_71 Depth=2
	ds_store_b32 v0, v35
	s_cbranch_execnz .LBB19_535
.LBB19_111:                             ;   in Loop: Header=BB19_71 Depth=2
	s_or_b32 exec_lo, exec_lo, s13
	;;#ASMSTART
	s_wakeup
	;;#ASMEND
.LBB19_112:                             ;   in Loop: Header=BB19_71 Depth=2
	s_or_b32 exec_lo, exec_lo, s12
.LBB19_113:                             ;   in Loop: Header=BB19_71 Depth=2
	s_and_not1_saveexec_b32 s11, s11
	s_cbranch_execz .LBB19_115
; %bb.114:                              ;   in Loop: Header=BB19_71 Depth=2
	s_waitcnt lgkmcnt(0)
	buffer_gl1_inv
	buffer_gl0_inv
	s_waitcnt_vscnt null, 0x0
	s_barrier
.LBB19_115:                             ;   in Loop: Header=BB19_71 Depth=2
	s_or_b32 exec_lo, exec_lo, s11
.LBB19_116:                             ;   in Loop: Header=BB19_71 Depth=2
	s_and_not1_saveexec_b32 s25, s10
	s_cbranch_execz .LBB19_259
; %bb.117:                              ;   in Loop: Header=BB19_71 Depth=2
	ds_load_b64 v[4:5], v0
	ds_load_2addr_b64 v[0:3], v0 offset0:14 offset1:15
	v_dual_mov_b32 v50, 0 :: v_dual_and_b32 v7, 36, v33
	v_mov_b32_e32 v51, 0
	s_waitcnt lgkmcnt(0)
	ds_load_b32 v6, v0 offset:28
	ds_load_2addr_b32 v[52:53], v0 offset0:5 offset1:6
	v_cmp_lt_i32_e32 vcc_lo, -1, v4
	v_cmp_ne_u32_e64 s10, 0, v7
	s_delay_alu instid0(VALU_DEP_1) | instskip(NEXT) | instid1(SALU_CYCLE_1)
	s_and_b32 s26, vcc_lo, s10
	s_and_saveexec_b32 s10, s26
	s_cbranch_execz .LBB19_120
; %bb.118:                              ;   in Loop: Header=BB19_71 Depth=2
	s_cbranch_execnz .LBB19_475
; %bb.119:                              ;   in Loop: Header=BB19_71 Depth=2
	ds_load_b64 v[48:49], v0
	v_mov_b32_e32 v51, s17
.LBB19_120:                             ;   in Loop: Header=BB19_71 Depth=2
	s_or_b32 exec_lo, exec_lo, s10
	v_and_b32_e32 v4, 24, v33
	v_cmp_lt_i32_e32 vcc_lo, -1, v5
	s_delay_alu instid0(VALU_DEP_2) | instskip(NEXT) | instid1(VALU_DEP_1)
	v_cmp_ne_u32_e64 s10, 0, v4
	s_and_b32 s27, vcc_lo, s10
	s_delay_alu instid0(SALU_CYCLE_1)
	s_and_saveexec_b32 s10, s27
	s_cbranch_execz .LBB19_123
; %bb.121:                              ;   in Loop: Header=BB19_71 Depth=2
	s_cbranch_execnz .LBB19_481
; %bb.122:                              ;   in Loop: Header=BB19_71 Depth=2
	s_waitcnt lgkmcnt(0)
	ds_load_b64 v[48:49], v0
	v_mov_b32_e32 v51, s17
.LBB19_123:                             ;   in Loop: Header=BB19_71 Depth=2
	s_or_b32 exec_lo, exec_lo, s10
	v_and_b32_e32 v4, 4, v33
	s_waitcnt lgkmcnt(1)
	v_max_i32_e32 v129, 0, v6
	s_delay_alu instid0(VALU_DEP_2) | instskip(SKIP_1) | instid1(SALU_CYCLE_1)
	v_cmp_ne_u32_e32 vcc_lo, 0, v4
	s_and_b32 s11, s26, vcc_lo
	s_and_saveexec_b32 s10, s11
	s_cbranch_execz .LBB19_143
; %bb.124:                              ;   in Loop: Header=BB19_71 Depth=2
	s_clause 0x1
	flat_load_b64 v[4:5], v[50:51] offset:24
	flat_load_b32 v9, v[50:51] offset:64
	ds_load_2addr_b32 v[6:7], v0 offset0:2 offset1:4
	s_mov_b32 s11, 0
                                        ; implicit-def: $sgpr12
                                        ; implicit-def: $sgpr28
                                        ; implicit-def: $sgpr13
	s_waitcnt lgkmcnt(0)
	v_add_nc_u32_e32 v7, v48, v7
	s_delay_alu instid0(VALU_DEP_1) | instskip(SKIP_1) | instid1(VALU_DEP_1)
	v_and_b32_e32 v10, 7, v7
	s_waitcnt vmcnt(0)
	v_mad_i64_i32 v[7:8], null, v10, v9, v[4:5]
	v_ashrrev_i32_e32 v5, 31, v6
	s_delay_alu instid0(VALU_DEP_2) | instskip(NEXT) | instid1(VALU_DEP_2)
	v_add_co_u32 v4, vcc_lo, v7, v6
	v_add_co_ci_u32_e32 v5, vcc_lo, v8, v5, vcc_lo
	v_mov_b32_e32 v8, 0
	v_add_co_u32 v6, vcc_lo, v48, 1
	v_add_co_ci_u32_e32 v7, vcc_lo, 0, v49, vcc_lo
	ds_store_b64 v0, v[4:5] offset:584
	s_branch .LBB19_129
.LBB19_125:                             ;   in Loop: Header=BB19_129 Depth=3
	s_or_b32 exec_lo, exec_lo, s34
	v_mov_b32_e32 v4, 0
	s_or_not1_b32 s31, s31, exec_lo
.LBB19_126:                             ;   in Loop: Header=BB19_129 Depth=3
	s_or_b32 exec_lo, exec_lo, s30
	s_delay_alu instid0(VALU_DEP_1)
	v_mov_b32_e32 v8, v4
	s_and_b32 s30, s31, exec_lo
.LBB19_127:                             ;   in Loop: Header=BB19_129 Depth=3
	s_or_b32 exec_lo, exec_lo, vcc_hi
	s_xor_b32 vcc_lo, s30, -1
	s_and_not1_b32 s28, s28, exec_lo
	s_and_b32 vcc_lo, vcc_lo, exec_lo
	s_and_not1_b32 s13, s13, exec_lo
	s_or_b32 s28, s28, vcc_lo
                                        ; implicit-def: $vgpr4_vgpr5
.LBB19_128:                             ;   in Loop: Header=BB19_129 Depth=3
	s_or_b32 exec_lo, exec_lo, s29
	s_delay_alu instid0(SALU_CYCLE_1) | instskip(NEXT) | instid1(SALU_CYCLE_1)
	s_and_b32 s29, exec_lo, s28
	s_or_b32 s11, s29, s11
	s_and_not1_b32 s12, s12, exec_lo
	s_and_b32 s29, s13, exec_lo
	s_delay_alu instid0(SALU_CYCLE_1)
	s_or_b32 s12, s12, s29
	s_and_not1_b32 exec_lo, exec_lo, s11
	s_cbranch_execz .LBB19_136
.LBB19_129:                             ;   Parent Loop BB19_4 Depth=1
                                        ;     Parent Loop BB19_71 Depth=2
                                        ; =>    This Inner Loop Header: Depth=3
	flat_load_b64 v[9:10], v[50:51] offset:48
	ds_load_b32 v4, v0 offset:16
	s_or_b32 s13, s13, exec_lo
	s_or_b32 s28, s28, exec_lo
	s_mov_b32 s29, exec_lo
	s_waitcnt lgkmcnt(0)
	v_ashrrev_i32_e32 v5, 31, v4
	v_add_co_u32 v11, vcc_lo, v6, v4
	s_delay_alu instid0(VALU_DEP_2) | instskip(SKIP_1) | instid1(VALU_DEP_1)
	v_add_co_ci_u32_e32 v12, vcc_lo, v7, v5, vcc_lo
	s_waitcnt vmcnt(0)
	v_cmpx_lt_u64_e64 v[9:10], v[11:12]
	s_cbranch_execz .LBB19_128
; %bb.130:                              ;   in Loop: Header=BB19_129 Depth=3
	flat_load_b64 v[4:5], v[50:51] offset:40
	v_and_b32_e32 v9, 64, v33
	s_mov_b32 s30, 0
	s_mov_b32 vcc_hi, exec_lo
	s_waitcnt vmcnt(0) lgkmcnt(0)
	flat_load_b64 v[4:5], v[4:5] glc
	s_waitcnt vmcnt(0) lgkmcnt(0)
	flat_store_b64 v[50:51], v[4:5] offset:48
	v_cmpx_eq_u32_e32 0, v9
	s_cbranch_execz .LBB19_127
; %bb.131:                              ;   in Loop: Header=BB19_129 Depth=3
	v_add_nc_u32_e32 v4, 1, v8
	s_mov_b32 s31, -1
	s_mov_b32 s30, exec_lo
	v_cmpx_lt_i32_e32 0x270e, v8
	s_cbranch_execz .LBB19_126
; %bb.132:                              ;   in Loop: Header=BB19_129 Depth=3
	s_cbranch_execnz .LBB19_483
; %bb.133:                              ;   in Loop: Header=BB19_129 Depth=3
	ds_load_b64 v[4:5], v0
	s_mov_b32 s34, exec_lo
	s_waitcnt lgkmcnt(0)
	s_waitcnt_vscnt null, 0x0
	flat_load_b32 v4, v[4:5] glc
	s_waitcnt vmcnt(0) lgkmcnt(0)
	buffer_gl1_inv
	buffer_gl0_inv
	v_cmpx_ne_u32_e32 0, v4
	s_cbranch_execz .LBB19_125
; %bb.134:                              ;   in Loop: Header=BB19_129 Depth=3
	ds_store_b32 v0, v4
	s_cbranch_execnz .LBB19_499
; %bb.135:                              ;   in Loop: Header=BB19_129 Depth=3
	v_or_b32_e32 v33, 64, v33
	s_xor_b32 s31, exec_lo, -1
	s_branch .LBB19_125
.LBB19_136:                             ;   in Loop: Header=BB19_71 Depth=2
	s_or_b32 exec_lo, exec_lo, s11
	s_xor_b32 s11, s12, -1
	s_delay_alu instid0(SALU_CYCLE_1) | instskip(NEXT) | instid1(SALU_CYCLE_1)
	s_and_saveexec_b32 s12, s11
	s_xor_b32 s11, exec_lo, s12
	s_cbranch_execz .LBB19_138
; %bb.137:                              ;   in Loop: Header=BB19_71 Depth=2
	ds_load_b32 v4, v0 offset:16
	s_waitcnt lgkmcnt(0)
	v_ashrrev_i32_e32 v5, 31, v4
.LBB19_138:                             ;   in Loop: Header=BB19_71 Depth=2
	s_or_b32 exec_lo, exec_lo, s11
	flat_load_b96 v[6:8], v[50:51] offset:56
	ds_load_b32 v9, v0 offset:8
	v_add_co_u32 v12, vcc_lo, v4, v48
	v_add_co_ci_u32_e32 v13, vcc_lo, v5, v49, vcc_lo
	s_mov_b32 s11, exec_lo
	s_waitcnt lgkmcnt(0)
	v_add_nc_u32_e32 v9, v9, v129
	s_delay_alu instid0(VALU_DEP_1) | instskip(SKIP_2) | instid1(VALU_DEP_2)
	v_ashrrev_i32_e32 v10, 31, v9
	s_waitcnt vmcnt(0)
	v_ashrrev_i32_e32 v11, 31, v8
	v_mad_u64_u32 v[4:5], null, v12, v8, v[9:10]
	v_mul_lo_u32 v8, v13, v8
	s_delay_alu instid0(VALU_DEP_3) | instskip(NEXT) | instid1(VALU_DEP_1)
	v_mul_lo_u32 v9, v12, v11
	v_add3_u32 v5, v8, v5, v9
	s_delay_alu instid0(VALU_DEP_1)
	v_cmpx_ge_u64_e64 v[6:7], v[4:5]
	s_xor_b32 s11, exec_lo, s11
	s_cbranch_execz .LBB19_140
; %bb.139:                              ;   in Loop: Header=BB19_71 Depth=2
	ds_load_b64 v[4:5], v0 offset:136
	s_waitcnt lgkmcnt(0)
	ds_store_b64 v0, v[4:5] offset:208
.LBB19_140:                             ;   in Loop: Header=BB19_71 Depth=2
	s_and_not1_saveexec_b32 s11, s11
	s_cbranch_execz .LBB19_142
; %bb.141:                              ;   in Loop: Header=BB19_71 Depth=2
	ds_load_b64 v[4:5], v0 offset:48
	s_waitcnt lgkmcnt(0)
	v_add_co_u32 v4, vcc_lo, v2, v4
	v_add_co_ci_u32_e32 v5, vcc_lo, v3, v5, vcc_lo
	ds_store_b64 v0, v[4:5]
.LBB19_142:                             ;   in Loop: Header=BB19_71 Depth=2
	s_or_b32 exec_lo, exec_lo, s11
.LBB19_143:                             ;   in Loop: Header=BB19_71 Depth=2
	s_delay_alu instid0(SALU_CYCLE_1) | instskip(SKIP_1) | instid1(VALU_DEP_1)
	s_or_b32 exec_lo, exec_lo, s10
	v_and_b32_e32 v4, 8, v33
	v_cmp_ne_u32_e32 vcc_lo, 0, v4
	s_and_b32 s11, s27, vcc_lo
	s_delay_alu instid0(SALU_CYCLE_1)
	s_and_saveexec_b32 s10, s11
	s_cbranch_execz .LBB19_157
; %bb.144:                              ;   in Loop: Header=BB19_71 Depth=2
	s_waitcnt lgkmcnt(0)
	v_add_co_u32 v4, vcc_lo, v48, 1
	v_add_co_ci_u32_e32 v5, vcc_lo, 0, v49, vcc_lo
	v_mov_b32_e32 v6, 0
	s_mov_b32 s11, 0
                                        ; implicit-def: $sgpr12
	s_branch .LBB19_149
.LBB19_145:                             ;   in Loop: Header=BB19_149 Depth=3
	s_or_b32 exec_lo, exec_lo, s30
	v_mov_b32_e32 v7, 0
	s_or_not1_b32 vcc_hi, vcc_hi, exec_lo
.LBB19_146:                             ;   in Loop: Header=BB19_149 Depth=3
	s_or_b32 exec_lo, exec_lo, s29
	s_delay_alu instid0(VALU_DEP_1)
	v_mov_b32_e32 v6, v7
	s_and_b32 s29, vcc_hi, exec_lo
.LBB19_147:                             ;   in Loop: Header=BB19_149 Depth=3
	s_or_b32 exec_lo, exec_lo, s28
	s_xor_b32 s28, s29, -1
	s_and_not1_b32 s12, s12, exec_lo
	s_and_b32 s28, s28, exec_lo
	s_delay_alu instid0(SALU_CYCLE_1)
	s_or_b32 s12, s12, s28
.LBB19_148:                             ;   in Loop: Header=BB19_149 Depth=3
	s_or_b32 exec_lo, exec_lo, s13
	s_delay_alu instid0(SALU_CYCLE_1) | instskip(NEXT) | instid1(SALU_CYCLE_1)
	s_and_b32 s13, exec_lo, s12
	s_or_b32 s11, s13, s11
	s_delay_alu instid0(SALU_CYCLE_1)
	s_and_not1_b32 exec_lo, exec_lo, s11
	s_cbranch_execz .LBB19_156
.LBB19_149:                             ;   Parent Loop BB19_4 Depth=1
                                        ;     Parent Loop BB19_71 Depth=2
                                        ; =>    This Inner Loop Header: Depth=3
	flat_load_b64 v[7:8], v[50:51] offset:48
	s_or_b32 s12, s12, exec_lo
	s_mov_b32 s13, exec_lo
	s_waitcnt vmcnt(0) lgkmcnt(0)
	v_add_co_u32 v7, vcc_lo, v7, 8
	v_add_co_ci_u32_e32 v8, vcc_lo, 0, v8, vcc_lo
	s_delay_alu instid0(VALU_DEP_1)
	v_cmpx_lt_u64_e64 v[7:8], v[4:5]
	s_cbranch_execz .LBB19_148
; %bb.150:                              ;   in Loop: Header=BB19_149 Depth=3
	flat_load_b64 v[7:8], v[50:51] offset:32
	v_and_b32_e32 v9, 64, v33
	s_mov_b32 s29, 0
	s_mov_b32 s28, exec_lo
	s_waitcnt vmcnt(0) lgkmcnt(0)
	flat_load_b64 v[7:8], v[7:8] glc
	s_waitcnt vmcnt(0) lgkmcnt(0)
	flat_store_b64 v[50:51], v[7:8] offset:48
	v_cmpx_eq_u32_e32 0, v9
	s_cbranch_execz .LBB19_147
; %bb.151:                              ;   in Loop: Header=BB19_149 Depth=3
	v_add_nc_u32_e32 v7, 1, v6
	s_mov_b32 vcc_hi, -1
	s_mov_b32 s29, exec_lo
	v_cmpx_lt_i32_e32 0x270e, v6
	s_cbranch_execz .LBB19_146
; %bb.152:                              ;   in Loop: Header=BB19_149 Depth=3
	s_cbranch_execnz .LBB19_489
; %bb.153:                              ;   in Loop: Header=BB19_149 Depth=3
	ds_load_b64 v[6:7], v0
	s_mov_b32 s30, exec_lo
	s_waitcnt lgkmcnt(0)
	s_waitcnt_vscnt null, 0x0
	flat_load_b32 v6, v[6:7] glc
	s_waitcnt vmcnt(0) lgkmcnt(0)
	buffer_gl1_inv
	buffer_gl0_inv
	v_cmpx_ne_u32_e32 0, v6
	s_cbranch_execz .LBB19_145
; %bb.154:                              ;   in Loop: Header=BB19_149 Depth=3
	ds_store_b32 v0, v6
	s_cbranch_execnz .LBB19_503
; %bb.155:                              ;   in Loop: Header=BB19_149 Depth=3
	v_or_b32_e32 v33, 64, v33
	s_xor_b32 vcc_hi, exec_lo, -1
	s_branch .LBB19_145
.LBB19_156:                             ;   in Loop: Header=BB19_71 Depth=2
	s_or_b32 exec_lo, exec_lo, s11
	s_clause 0x1
	flat_load_b64 v[4:5], v[50:51] offset:24
	flat_load_b32 v8, v[50:51] offset:64
	ds_load_b32 v9, v0 offset:12
	v_and_b32_e32 v10, 7, v48
	s_waitcnt vmcnt(0) lgkmcnt(1)
	s_delay_alu instid0(VALU_DEP_1) | instskip(SKIP_2) | instid1(VALU_DEP_2)
	v_mad_i64_i32 v[6:7], null, v10, v8, v[4:5]
	s_waitcnt lgkmcnt(0)
	v_ashrrev_i32_e32 v5, 31, v9
	v_add_co_u32 v4, vcc_lo, v6, v9
	s_delay_alu instid0(VALU_DEP_2)
	v_add_co_ci_u32_e32 v5, vcc_lo, v7, v5, vcc_lo
	ds_store_b64 v0, v[4:5] offset:584
.LBB19_157:                             ;   in Loop: Header=BB19_71 Depth=2
	s_or_b32 exec_lo, exec_lo, s10
	s_cbranch_execnz .LBB19_487
; %bb.158:                              ;   in Loop: Header=BB19_71 Depth=2
	ds_load_b32 v4, v0
	ds_load_b64 v[54:55], v0
	v_and_b32_e32 v5, 1, v33
	s_delay_alu instid0(VALU_DEP_1) | instskip(SKIP_2) | instid1(VALU_DEP_2)
	v_cmp_eq_u32_e64 s10, 1, v5
	s_waitcnt lgkmcnt(1)
	v_cmp_gt_i32_e32 vcc_lo, 0, v4
	s_and_b32 s12, vcc_lo, s10
	s_delay_alu instid0(SALU_CYCLE_1)
	s_and_saveexec_b32 s11, s12
	s_cbranch_execz .LBB19_162
; %bb.159:                              ;   in Loop: Header=BB19_71 Depth=2
	ds_load_b64 v[6:7], v0 offset:40
	s_mov_b32 s12, exec_lo
	s_waitcnt lgkmcnt(0)
	v_add_co_u32 v4, vcc_lo, v6, v129
	v_add_co_ci_u32_e32 v5, vcc_lo, 0, v7, vcc_lo
	v_add_co_u32 v0, vcc_lo, v0, v6
	v_add_co_ci_u32_e32 v1, vcc_lo, v1, v7, vcc_lo
	ds_store_b64 v0, v[0:1] offset:584
	v_cmpx_lt_u64_e64 v[54:55], v[4:5]
	s_cbranch_execz .LBB19_161
; %bb.160:                              ;   in Loop: Header=BB19_71 Depth=2
	ds_load_b64 v[0:1], v0 offset:48
	v_dual_mov_b32 v55, v5 :: v_dual_mov_b32 v54, v4
	s_waitcnt lgkmcnt(0)
	v_add_co_u32 v0, vcc_lo, v2, v0
	v_add_co_ci_u32_e32 v1, vcc_lo, v3, v1, vcc_lo
.LBB19_161:                             ;   in Loop: Header=BB19_71 Depth=2
	s_or_b32 exec_lo, exec_lo, s12
	ds_store_b64 v0, v[0:1]
.LBB19_162:                             ;   in Loop: Header=BB19_71 Depth=2
	s_or_b32 exec_lo, exec_lo, s11
	s_and_saveexec_b32 s11, s6
	s_delay_alu instid0(SALU_CYCLE_1)
	s_xor_b32 s11, exec_lo, s11
	s_cbranch_execz .LBB19_180
; %bb.163:                              ;   in Loop: Header=BB19_71 Depth=2
	s_and_saveexec_b32 s12, s7
	s_cbranch_execz .LBB19_179
; %bb.164:                              ;   in Loop: Header=BB19_71 Depth=2
	s_mov_b32 s28, exec_lo
	s_mov_b32 s13, exec_lo
	v_mbcnt_lo_u32_b32 v0, s28, 0
	s_waitcnt lgkmcnt(0)
	s_waitcnt_vscnt null, 0x0
	buffer_gl1_inv
	buffer_gl0_inv
	v_cmpx_eq_u32_e32 0, v0
	s_cbranch_execz .LBB19_166
; %bb.165:                              ;   in Loop: Header=BB19_71 Depth=2
	s_bcnt1_i32_b32 s28, s28
	s_delay_alu instid0(SALU_CYCLE_1)
	v_dual_mov_b32 v1, v32 :: v_dual_mov_b32 v0, s28
	ds_add_u64 v0, v[0:1]
	s_cbranch_execnz .LBB19_513
.LBB19_166:                             ;   in Loop: Header=BB19_71 Depth=2
	s_or_b32 exec_lo, exec_lo, s13
	s_cbranch_execnz .LBB19_511
; %bb.167:                              ;   in Loop: Header=BB19_71 Depth=2
	ds_load_b64 v[0:1], v0
	v_add_co_u32 v38, vcc_lo, v38, 4
	v_add_co_ci_u32_e32 v39, vcc_lo, 0, v39, vcc_lo
	s_mov_b32 s13, exec_lo
	s_waitcnt lgkmcnt(0)
	s_delay_alu instid0(VALU_DEP_1)
	v_cmpx_lt_u64_e64 v[0:1], v[38:39]
	s_cbranch_execz .LBB19_178
; %bb.168:                              ;   in Loop: Header=BB19_71 Depth=2
	s_mov_b32 s28, 0
	s_mov_b32 s30, 0
                                        ; implicit-def: $sgpr29
                                        ; implicit-def: $vcc_hi
	s_branch .LBB19_170
.LBB19_169:                             ;   in Loop: Header=BB19_170 Depth=3
	s_or_b32 exec_lo, exec_lo, s34
	s_delay_alu instid0(SALU_CYCLE_1) | instskip(NEXT) | instid1(SALU_CYCLE_1)
	s_and_b32 vcc_lo, exec_lo, vcc_lo
	s_or_b32 s28, vcc_lo, s28
	s_and_not1_b32 s29, s29, exec_lo
	s_and_b32 vcc_lo, vcc_hi, exec_lo
	s_delay_alu instid0(SALU_CYCLE_1)
	s_or_b32 s29, s29, vcc_lo
	s_and_not1_b32 exec_lo, exec_lo, s28
	s_cbranch_execz .LBB19_176
.LBB19_170:                             ;   Parent Loop BB19_4 Depth=1
                                        ;     Parent Loop BB19_71 Depth=2
                                        ; =>    This Inner Loop Header: Depth=3
	s_add_i32 s30, s30, 1
                                        ; implicit-def: $sgpr34
	s_delay_alu instid0(SALU_CYCLE_1) | instskip(SKIP_1) | instid1(SALU_CYCLE_1)
	s_cmpk_lg_i32 s30, 0x2710
	s_cselect_b32 s31, -1, 0
	s_and_b32 vcc_lo, exec_lo, s31
	s_cbranch_vccz .LBB19_174
.LBB19_171:                             ;   in Loop: Header=BB19_170 Depth=3
	s_and_not1_b32 vcc_hi, vcc_hi, exec_lo
	s_and_b32 s34, s34, exec_lo
	s_mov_b32 vcc_lo, -1
	s_or_b32 vcc_hi, vcc_hi, s34
	s_and_saveexec_b32 s34, s31
	s_cbranch_execz .LBB19_169
; %bb.172:                              ;   in Loop: Header=BB19_170 Depth=3
	s_sleep 1
	s_cbranch_execnz .LBB19_521
; %bb.173:                              ;   in Loop: Header=BB19_170 Depth=3
	ds_load_b64 v[0:1], v0
	s_waitcnt lgkmcnt(0)
	v_cmp_ge_u64_e32 vcc_lo, v[0:1], v[38:39]
	s_and_not1_b32 vcc_hi, vcc_hi, exec_lo
	s_or_not1_b32 vcc_lo, vcc_lo, exec_lo
	s_branch .LBB19_169
.LBB19_174:                             ;   in Loop: Header=BB19_170 Depth=3
	s_cbranch_execnz .LBB19_527
; %bb.175:                              ;   in Loop: Header=BB19_170 Depth=3
	ds_load_b64 v[0:1], v0
	s_and_not1_b32 s31, s31, exec_lo
	s_mov_b32 s30, 0
	s_mov_b32 s34, -1
	s_waitcnt lgkmcnt(0)
	flat_load_b32 v0, v[0:1] glc
	s_waitcnt vmcnt(0) lgkmcnt(0)
	buffer_gl1_inv
	buffer_gl0_inv
	v_cmp_eq_u32_e32 vcc_lo, 0, v0
	s_and_b32 vcc_lo, vcc_lo, exec_lo
	s_delay_alu instid0(SALU_CYCLE_1)
	s_or_b32 s31, s31, vcc_lo
	s_branch .LBB19_171
.LBB19_176:                             ;   in Loop: Header=BB19_71 Depth=2
	s_or_b32 exec_lo, exec_lo, s28
	s_and_saveexec_b32 s28, s29
	s_delay_alu instid0(SALU_CYCLE_1)
	s_xor_b32 s28, exec_lo, s28
	s_cbranch_execz .LBB19_178
; %bb.177:                              ;   in Loop: Header=BB19_71 Depth=2
	ds_store_b32 v0, v35
	s_cbranch_execnz .LBB19_537
.LBB19_178:                             ;   in Loop: Header=BB19_71 Depth=2
	s_or_b32 exec_lo, exec_lo, s13
	;;#ASMSTART
	s_wakeup
	;;#ASMEND
.LBB19_179:                             ;   in Loop: Header=BB19_71 Depth=2
	s_or_b32 exec_lo, exec_lo, s12
.LBB19_180:                             ;   in Loop: Header=BB19_71 Depth=2
	s_and_not1_saveexec_b32 s11, s11
	s_cbranch_execz .LBB19_182
; %bb.181:                              ;   in Loop: Header=BB19_71 Depth=2
	s_waitcnt lgkmcnt(0)
	s_waitcnt_vscnt null, 0x0
	buffer_gl1_inv
	buffer_gl0_inv
	s_barrier
.LBB19_182:                             ;   in Loop: Header=BB19_71 Depth=2
	s_or_b32 exec_lo, exec_lo, s11
	ds_load_b32 v5, v0 offset:4
	ds_load_2addr_b64 v[0:3], v0 offset0:17 offset1:26
	s_cbranch_execnz .LBB19_497
; %bb.183:                              ;   in Loop: Header=BB19_71 Depth=2
	s_waitcnt lgkmcnt(0)
	ds_load_b32 v4, v0
	s_mov_b32 s11, -1
	s_and_saveexec_b32 s12, s8
	s_cbranch_execz .LBB19_185
; %bb.184:                              ;   in Loop: Header=BB19_71 Depth=2
	ds_load_b32 v6, v0 offset:584
	s_waitcnt lgkmcnt(0)
	v_and_b32_e32 v6, 15, v6
	s_delay_alu instid0(VALU_DEP_1)
	v_cmp_eq_u32_e32 vcc_lo, 0, v6
	s_or_not1_b32 s11, vcc_lo, exec_lo
.LBB19_185:                             ;   in Loop: Header=BB19_71 Depth=2
	s_or_b32 exec_lo, exec_lo, s12
	v_cmp_gt_i32_e32 vcc_lo, 0, v5
	v_lshrrev_b32_e32 v6, 28, v5
	s_mov_b32 s12, exec_lo
	v_cndmask_b32_e64 v5, 2, 1, vcc_lo
	v_cmp_eq_u64_e32 vcc_lo, v[0:1], v[2:3]
	s_delay_alu instid0(VALU_DEP_3) | instskip(NEXT) | instid1(VALU_DEP_1)
	v_and_b32_e32 v6, 8, v6
	v_add_nc_u32_e32 v130, v0, v6
	s_delay_alu instid0(VALU_DEP_4) | instskip(NEXT) | instid1(VALU_DEP_1)
	v_subrev_co_ci_u32_e32 v131, vcc_lo, 0, v5, vcc_lo
	v_cmpx_lt_i32_e64 v96, v131
	s_cbranch_execz .LBB19_187
; %bb.186:                              ;   in Loop: Header=BB19_71 Depth=2
	s_delay_alu instid0(VALU_DEP_3) | instskip(SKIP_3) | instid1(VALU_DEP_1)
	v_lshl_add_u32 v0, v96, 3, v130
	ds_load_b32 v0, v0 offset:584
	s_waitcnt lgkmcnt(0)
	v_and_b32_e32 v0, 15, v0
	v_cmp_eq_u32_e32 vcc_lo, 0, v0
	s_and_b32 s13, s11, vcc_lo
	s_and_not1_b32 s11, s11, exec_lo
	s_and_b32 s13, s13, exec_lo
	s_delay_alu instid0(SALU_CYCLE_1)
	s_or_b32 s11, s11, s13
.LBB19_187:                             ;   in Loop: Header=BB19_71 Depth=2
	s_or_b32 exec_lo, exec_lo, s12
	s_xor_b32 s11, s11, -1
	v_mov_b32_e32 v6, 0
	v_cndmask_b32_e64 v0, 0, 1, s11
	s_waitcnt lgkmcnt(0)
	v_cmp_eq_u32_e64 s11, 0, v4
	;;#ASMSTART
	;;#ASMEND
	s_delay_alu instid0(VALU_DEP_2) | instskip(NEXT) | instid1(VALU_DEP_2)
	v_cmp_ne_u32_e32 vcc_lo, 0, v0
	v_cndmask_b32_e64 v132, 0, v129, s11
	s_mov_b32 s11, -1
	s_cbranch_vccz .LBB19_189
; %bb.188:                              ;   in Loop: Header=BB19_71 Depth=2
	v_dual_mov_b32 v7, v37 :: v_dual_mov_b32 v4, v87
	s_branch .LBB19_206
.LBB19_189:                             ;   in Loop: Header=BB19_71 Depth=2
	s_delay_alu instid0(VALU_DEP_1) | instskip(SKIP_1) | instid1(VALU_DEP_1)
	v_lshrrev_b32_e32 v0, 12, v132
	s_mov_b32 s13, exec_lo
	v_sub_nc_u32_e32 v133, v0, v87
	s_delay_alu instid0(VALU_DEP_1)
	v_cmpx_lt_i32_e32 0, v133
	s_cbranch_execz .LBB19_195
; %bb.190:                              ;   in Loop: Header=BB19_71 Depth=2
	ds_load_b64 v[64:65], v0 offset:584
	ds_load_b64 v[66:67], v130 offset:584
	v_mov_b32_e32 v68, 0
	v_mov_b32_e32 v69, 0
	v_cmp_lt_u32_e32 vcc_lo, 1, v131
	s_mov_b32 s28, 0
	s_branch .LBB19_192
.LBB19_191:                             ;   in Loop: Header=BB19_192 Depth=3
	s_or_b32 exec_lo, exec_lo, s12
	v_add_co_u32 v68, s11, v68, v84
	v_sub_nc_u32_e32 v133, v133, v36
	v_add_co_ci_u32_e64 v69, s11, v69, v116, s11
	v_add_co_u32 v64, s11, v64, v98
	s_delay_alu instid0(VALU_DEP_1) | instskip(NEXT) | instid1(VALU_DEP_4)
	v_add_co_ci_u32_e64 v65, s11, v65, v99, s11
	v_cmp_gt_i32_e64 s11, 1, v133
	v_add_co_u32 v66, s12, v66, v98
	s_delay_alu instid0(VALU_DEP_1) | instskip(NEXT) | instid1(VALU_DEP_3)
	v_add_co_ci_u32_e64 v67, s12, v67, v99, s12
	s_or_b32 s28, s11, s28
	s_delay_alu instid0(SALU_CYCLE_1)
	s_and_not1_b32 exec_lo, exec_lo, s28
	s_cbranch_execz .LBB19_194
.LBB19_192:                             ;   Parent Loop BB19_4 Depth=1
                                        ;     Parent Loop BB19_71 Depth=2
                                        ; =>    This Inner Loop Header: Depth=3
	s_waitcnt lgkmcnt(1)
	v_add_co_u32 v0, s11, v97, v64
	s_delay_alu instid0(VALU_DEP_1) | instskip(SKIP_2) | instid1(VALU_DEP_1)
	v_add_co_ci_u32_e64 v1, s11, v101, v65, s11
	s_waitcnt lgkmcnt(0)
	v_add_co_u32 v134, s11, v97, v66
	v_add_co_ci_u32_e64 v135, s11, v101, v67, s11
	s_clause 0x7
	global_load_b128 v[28:31], v[0:1], off slc dlc
	global_load_b128 v[24:27], v[0:1], off offset:512 slc dlc
	global_load_b128 v[20:23], v[0:1], off offset:1024 slc dlc
	;; [unrolled: 1-line block ×7, first 2 shown]
	s_waitcnt vmcnt(7)
	global_store_b128 v[134:135], v[28:31], off glc slc dlc
	s_waitcnt vmcnt(6)
	global_store_b128 v[134:135], v[24:27], off offset:512 glc slc dlc
	s_waitcnt vmcnt(5)
	global_store_b128 v[134:135], v[20:23], off offset:1024 glc slc dlc
	;; [unrolled: 2-line block ×7, first 2 shown]
	s_and_saveexec_b32 s12, vcc_lo
	s_cbranch_execz .LBB19_191
; %bb.193:                              ;   in Loop: Header=BB19_192 Depth=3
	ds_load_b64 v[134:135], v130 offset:592
	v_add_co_u32 v144, s11, v97, v68
	s_delay_alu instid0(VALU_DEP_1) | instskip(SKIP_1) | instid1(VALU_DEP_2)
	v_add_co_ci_u32_e64 v145, s11, v101, v69, s11
	s_waitcnt lgkmcnt(0)
	v_add_co_u32 v134, s11, v144, v134
	s_delay_alu instid0(VALU_DEP_1)
	v_add_co_ci_u32_e64 v135, s11, v145, v135, s11
	s_clause 0x7
	global_store_b128 v[134:135], v[28:31], off glc slc dlc
	global_store_b128 v[134:135], v[24:27], off offset:512 glc slc dlc
	global_store_b128 v[134:135], v[20:23], off offset:1024 glc slc dlc
	global_store_b128 v[134:135], v[16:19], off offset:1536 glc slc dlc
	global_store_b128 v[134:135], v[12:15], off offset:2048 glc slc dlc
	global_store_b128 v[134:135], v[8:11], off offset:2560 glc slc dlc
	global_store_b128 v[134:135], v[4:7], off offset:3072 glc slc dlc
	global_store_b128 v[134:135], v[0:3], off offset:3584 glc slc dlc
	s_branch .LBB19_191
.LBB19_194:                             ;   in Loop: Header=BB19_71 Depth=2
	s_or_b32 exec_lo, exec_lo, s28
.LBB19_195:                             ;   in Loop: Header=BB19_71 Depth=2
	s_delay_alu instid0(SALU_CYCLE_1) | instskip(SKIP_4) | instid1(VALU_DEP_2)
	s_or_b32 exec_lo, exec_lo, s13
	v_and_b32_e32 v0, 0x7ffff000, v132
	v_mov_b32_e32 v6, 0
	s_mov_b32 s11, 0
	s_mov_b32 s28, exec_lo
                                        ; implicit-def: $vgpr7
                                        ; implicit-def: $vgpr4
	v_cmpx_ne_u32_e64 v0, v132
	s_cbranch_execz .LBB19_205
; %bb.196:                              ;   in Loop: Header=BB19_71 Depth=2
	v_lshlrev_b32_e32 v1, 5, v133
	v_bfe_u32 v5, v132, 9, 3
	s_mov_b32 s29, exec_lo
	s_delay_alu instid0(VALU_DEP_2) | instskip(NEXT) | instid1(VALU_DEP_1)
	v_sub_nc_u32_e32 v1, v96, v1
	v_ashrrev_i32_e32 v2, 31, v1
	s_delay_alu instid0(VALU_DEP_1) | instskip(NEXT) | instid1(VALU_DEP_1)
	v_lshrrev_b32_e32 v2, 27, v2
	v_add_nc_u32_e32 v2, v1, v2
	s_delay_alu instid0(VALU_DEP_1) | instskip(SKIP_1) | instid1(VALU_DEP_2)
	v_and_b32_e32 v3, 0xffffffe0, v2
	v_ashrrev_i32_e32 v2, 5, v2
	v_sub_nc_u32_e32 v12, v1, v3
	v_and_b32_e32 v3, 0xfff, v132
	v_and_b32_e32 v1, 0xe00, v132
	s_delay_alu instid0(VALU_DEP_3) | instskip(NEXT) | instid1(VALU_DEP_2)
	v_lshlrev_b32_e32 v4, 4, v12
	v_sub_nc_u32_e32 v13, v3, v1
	s_delay_alu instid0(VALU_DEP_2) | instskip(NEXT) | instid1(VALU_DEP_2)
	v_lshl_add_u32 v1, v2, 9, v4
	v_cmp_lt_i32_e32 vcc_lo, 15, v13
	s_delay_alu instid0(VALU_DEP_2) | instskip(SKIP_1) | instid1(VALU_DEP_1)
	v_sub_nc_u32_e32 v15, v3, v1
	v_add_co_ci_u32_e64 v4, s11, 0, v5, vcc_lo
	v_sub_nc_u32_e32 v14, v4, v2
	s_delay_alu instid0(VALU_DEP_3)
	v_cmpx_lt_i32_e32 15, v15
	s_cbranch_execz .LBB19_202
; %bb.197:                              ;   in Loop: Header=BB19_71 Depth=2
	ds_load_b64 v[4:5], v130 offset:584
	ds_load_b64 v[6:7], v0 offset:584
	v_add_nc_u32_e32 v8, v1, v0
	v_cmp_lt_i32_e64 s11, 1, v131
	s_mov_b32 vcc_hi, 0
	s_delay_alu instid0(VALU_DEP_2) | instskip(NEXT) | instid1(VALU_DEP_1)
	v_ashrrev_i32_e32 v9, 31, v8
	v_dual_mov_b32 v11, v9 :: v_dual_mov_b32 v10, v8
	s_set_inst_prefetch_distance 0x1
	s_branch .LBB19_199
.LBB19_198:                             ;   in Loop: Header=BB19_199 Depth=3
	s_or_b32 exec_lo, exec_lo, s13
	v_sub_nc_u32_e32 v15, v15, v85
	v_add_co_u32 v10, s12, v10, v85
	s_delay_alu instid0(VALU_DEP_1) | instskip(NEXT) | instid1(VALU_DEP_3)
	v_add_co_ci_u32_e64 v11, s12, v11, v117, s12
	v_cmp_gt_i32_e64 s12, 16, v15
	v_add_co_u32 v8, s13, v8, v102
	v_sub_nc_u32_e32 v14, v14, v36
	v_add_co_ci_u32_e64 v9, s13, v9, v103, s13
	s_delay_alu instid0(VALU_DEP_4) | instskip(NEXT) | instid1(SALU_CYCLE_1)
	s_or_b32 vcc_hi, s12, vcc_hi
	s_and_not1_b32 exec_lo, exec_lo, vcc_hi
	s_cbranch_execz .LBB19_201
.LBB19_199:                             ;   Parent Loop BB19_4 Depth=1
                                        ;     Parent Loop BB19_71 Depth=2
                                        ; =>    This Inner Loop Header: Depth=3
	s_waitcnt lgkmcnt(0)
	v_add_co_u32 v0, s12, v6, v8
	s_delay_alu instid0(VALU_DEP_1) | instskip(SKIP_1) | instid1(VALU_DEP_1)
	v_add_co_ci_u32_e64 v1, s12, v7, v9, s12
	v_add_co_u32 v16, s12, v4, v8
	v_add_co_ci_u32_e64 v17, s12, v5, v9, s12
	global_load_b128 v[0:3], v[0:1], off slc dlc
	s_waitcnt vmcnt(0)
	global_store_b128 v[16:17], v[0:3], off glc slc dlc
	s_and_saveexec_b32 s13, s11
	s_cbranch_execz .LBB19_198
; %bb.200:                              ;   in Loop: Header=BB19_199 Depth=3
	ds_load_b64 v[16:17], v130 offset:592
	s_waitcnt lgkmcnt(0)
	v_add_co_u32 v16, s12, v10, v16
	s_delay_alu instid0(VALU_DEP_1)
	v_add_co_ci_u32_e64 v17, s12, v11, v17, s12
	global_store_b128 v[16:17], v[0:3], off glc slc dlc
	s_branch .LBB19_198
.LBB19_201:                             ;   in Loop: Header=BB19_71 Depth=2
	s_set_inst_prefetch_distance 0x2
	s_or_b32 exec_lo, exec_lo, vcc_hi
.LBB19_202:                             ;   in Loop: Header=BB19_71 Depth=2
	s_delay_alu instid0(SALU_CYCLE_1) | instskip(SKIP_3) | instid1(VALU_DEP_1)
	s_or_b32 exec_lo, exec_lo, s29
	v_dual_mov_b32 v6, 0 :: v_dual_and_b32 v1, 15, v132
	s_mov_b32 s12, 0
	s_mov_b32 s13, exec_lo
                                        ; implicit-def: $vgpr7
                                        ; implicit-def: $vgpr4
	v_cndmask_b32_e32 v0, v13, v1, vcc_lo
	s_delay_alu instid0(VALU_DEP_1)
	v_cmpx_ne_u32_e32 0, v0
	s_cbranch_execz .LBB19_204
; %bb.203:                              ;   in Loop: Header=BB19_71 Depth=2
	v_cmp_lt_i32_e64 s11, 0, v14
	v_sub_nc_u32_e32 v1, v13, v1
	v_and_b32_e32 v3, 0x7ffffe00, v132
	s_mov_b32 s12, exec_lo
	s_delay_alu instid0(VALU_DEP_3) | instskip(NEXT) | instid1(VALU_DEP_1)
	v_cndmask_b32_e64 v2, 0, v36, s11
	v_sub_nc_u32_e32 v2, v2, v14
	s_delay_alu instid0(VALU_DEP_1) | instskip(NEXT) | instid1(VALU_DEP_1)
	v_lshl_add_u32 v7, v2, 5, v12
	v_ashrrev_i32_e32 v2, 31, v7
	s_delay_alu instid0(VALU_DEP_1) | instskip(NEXT) | instid1(VALU_DEP_1)
	v_lshrrev_b32_e32 v2, 27, v2
	v_dual_cndmask_b32 v1, 0, v1 :: v_dual_add_nc_u32 v2, v7, v2
	s_delay_alu instid0(VALU_DEP_1) | instskip(NEXT) | instid1(VALU_DEP_2)
	v_add_nc_u32_e32 v6, v1, v3
	v_ashrrev_i32_e32 v4, 5, v2
.LBB19_204:                             ;   in Loop: Header=BB19_71 Depth=2
	s_or_b32 exec_lo, exec_lo, s13
	v_mov_b32_e32 v132, v0
	s_and_b32 s11, s12, exec_lo
.LBB19_205:                             ;   in Loop: Header=BB19_71 Depth=2
	s_or_b32 exec_lo, exec_lo, s28
.LBB19_206:                             ;   in Loop: Header=BB19_71 Depth=2
	s_and_saveexec_b32 s13, s11
	s_cbranch_execz .LBB19_219
; %bb.207:                              ;   in Loop: Header=BB19_71 Depth=2
	v_ashrrev_i32_e32 v0, 31, v132
	s_mov_b32 s28, exec_lo
	s_delay_alu instid0(VALU_DEP_1) | instskip(NEXT) | instid1(VALU_DEP_1)
	v_lshrrev_b32_e32 v0, 22, v0
	v_add_nc_u32_e32 v0, v132, v0
	s_delay_alu instid0(VALU_DEP_1) | instskip(NEXT) | instid1(VALU_DEP_1)
	v_ashrrev_i32_e32 v9, 10, v0
	v_sub_nc_u32_e32 v8, v9, v4
	s_delay_alu instid0(VALU_DEP_1)
	v_cmpx_lt_i32_e32 0, v8
	s_cbranch_execz .LBB19_213
; %bb.208:                              ;   in Loop: Header=BB19_71 Depth=2
	v_ashrrev_i32_e32 v0, 31, v7
	v_lshlrev_b32_e32 v4, 10, v4
	v_cmp_lt_i32_e32 vcc_lo, 1, v131
	s_mov_b32 s29, 0
	s_delay_alu instid0(VALU_DEP_3) | instskip(NEXT) | instid1(VALU_DEP_1)
	v_lshrrev_b32_e32 v0, 27, v0
	v_add_nc_u32_e32 v0, v7, v0
	s_delay_alu instid0(VALU_DEP_1) | instskip(NEXT) | instid1(VALU_DEP_1)
	v_and_b32_e32 v5, 0xffffffe0, v0
	v_sub_nc_u32_e32 v5, v7, v5
	s_delay_alu instid0(VALU_DEP_1)
	v_add3_u32 v10, v5, v4, v6
	v_mov_b32_e32 v4, 0
	v_mov_b32_e32 v5, 0
	ds_load_b64 v[0:1], v0 offset:584
	ds_load_b64 v[2:3], v130 offset:584
	v_ashrrev_i32_e32 v11, 31, v10
	s_branch .LBB19_210
.LBB19_209:                             ;   in Loop: Header=BB19_210 Depth=3
	s_or_b32 exec_lo, exec_lo, s12
	v_add_co_u32 v4, s11, v4, v86
	v_sub_nc_u32_e32 v8, v8, v36
	v_add_co_ci_u32_e64 v5, s11, v5, v118, s11
	v_add_co_u32 v0, s11, v0, v112
	s_delay_alu instid0(VALU_DEP_1) | instskip(NEXT) | instid1(VALU_DEP_4)
	v_add_co_ci_u32_e64 v1, s11, v1, v113, s11
	v_cmp_gt_i32_e64 s11, 1, v8
	v_add_co_u32 v2, s12, v2, v112
	s_delay_alu instid0(VALU_DEP_1) | instskip(NEXT) | instid1(VALU_DEP_3)
	v_add_co_ci_u32_e64 v3, s12, v3, v113, s12
	s_or_b32 s29, s11, s29
	s_delay_alu instid0(SALU_CYCLE_1)
	s_and_not1_b32 exec_lo, exec_lo, s29
	s_cbranch_execz .LBB19_212
.LBB19_210:                             ;   Parent Loop BB19_4 Depth=1
                                        ;     Parent Loop BB19_71 Depth=2
                                        ; =>    This Inner Loop Header: Depth=3
	s_waitcnt lgkmcnt(1)
	v_add_co_u32 v146, s11, v10, v0
	s_delay_alu instid0(VALU_DEP_1)
	v_add_co_ci_u32_e64 v147, s11, v11, v1, s11
	s_clause 0x1f
	flat_load_u8 v12, v[146:147] slc dlc
	flat_load_u8 v13, v[146:147] offset:32 slc dlc
	flat_load_u8 v14, v[146:147] offset:64 slc dlc
	;; [unrolled: 1-line block ×31, first 2 shown]
	s_waitcnt lgkmcnt(32)
	v_add_co_u32 v147, s11, v10, v2
	s_delay_alu instid0(VALU_DEP_1)
	v_add_co_ci_u32_e64 v148, s11, v11, v3, s11
	s_waitcnt vmcnt(31) lgkmcnt(31)
	flat_store_b8 v[147:148], v12 glc slc dlc
	s_waitcnt vmcnt(30) lgkmcnt(31)
	flat_store_b8 v[147:148], v13 offset:32 glc slc dlc
	s_waitcnt vmcnt(29) lgkmcnt(31)
	flat_store_b8 v[147:148], v14 offset:64 glc slc dlc
	;; [unrolled: 2-line block ×31, first 2 shown]
	s_and_saveexec_b32 s12, vcc_lo
	s_cbranch_execz .LBB19_209
; %bb.211:                              ;   in Loop: Header=BB19_210 Depth=3
	ds_load_b64 v[147:148], v130 offset:592
	v_add_co_u32 v149, s11, v10, v4
	s_delay_alu instid0(VALU_DEP_1) | instskip(SKIP_1) | instid1(VALU_DEP_2)
	v_add_co_ci_u32_e64 v150, s11, v11, v5, s11
	s_waitcnt lgkmcnt(0)
	v_add_co_u32 v147, s11, v149, v147
	s_delay_alu instid0(VALU_DEP_1)
	v_add_co_ci_u32_e64 v148, s11, v150, v148, s11
	s_clause 0x1f
	flat_store_b8 v[147:148], v12 glc slc dlc
	flat_store_b8 v[147:148], v13 offset:32 glc slc dlc
	flat_store_b8 v[147:148], v14 offset:64 glc slc dlc
	;; [unrolled: 1-line block ×31, first 2 shown]
	s_branch .LBB19_209
.LBB19_212:                             ;   in Loop: Header=BB19_71 Depth=2
	s_or_b32 exec_lo, exec_lo, s29
.LBB19_213:                             ;   in Loop: Header=BB19_71 Depth=2
	s_delay_alu instid0(SALU_CYCLE_1) | instskip(SKIP_1) | instid1(VALU_DEP_1)
	s_or_b32 exec_lo, exec_lo, s28
	v_lshlrev_b32_e32 v0, 10, v9
	v_cmp_ne_u32_e32 vcc_lo, v132, v0
	s_and_b32 exec_lo, exec_lo, vcc_lo
	s_cbranch_execz .LBB19_219
; %bb.214:                              ;   in Loop: Header=BB19_71 Depth=2
	v_ashrrev_i32_e32 v1, 31, v7
	v_lshlrev_b32_e32 v2, 5, v8
	s_delay_alu instid0(VALU_DEP_2) | instskip(NEXT) | instid1(VALU_DEP_1)
	v_lshrrev_b32_e32 v1, 27, v1
	v_add_nc_u32_e32 v1, v7, v1
	s_delay_alu instid0(VALU_DEP_1) | instskip(NEXT) | instid1(VALU_DEP_1)
	v_and_b32_e32 v1, 0xffffffe0, v1
	v_sub_nc_u32_e32 v1, v7, v1
	s_delay_alu instid0(VALU_DEP_1) | instskip(NEXT) | instid1(VALU_DEP_1)
	v_sub_nc_u32_e32 v1, v1, v2
	v_add_nc_u32_e32 v4, v0, v1
	s_delay_alu instid0(VALU_DEP_1) | instskip(NEXT) | instid1(VALU_DEP_1)
	v_sub_nc_u32_e32 v8, v132, v4
	v_cmp_lt_i32_e32 vcc_lo, 0, v8
	s_and_b32 exec_lo, exec_lo, vcc_lo
	s_cbranch_execz .LBB19_219
; %bb.215:                              ;   in Loop: Header=BB19_71 Depth=2
	ds_load_b64 v[0:1], v130 offset:584
	v_add_nc_u32_e32 v4, v4, v6
	v_cmp_lt_i32_e32 vcc_lo, 1, v131
	s_mov_b32 s28, 0
	s_delay_alu instid0(VALU_DEP_2) | instskip(NEXT) | instid1(VALU_DEP_1)
	v_ashrrev_i32_e32 v5, 31, v4
	v_dual_mov_b32 v7, v5 :: v_dual_mov_b32 v6, v4
	s_waitcnt lgkmcnt(0)
	ds_load_b64 v[2:3], v0 offset:584
	s_set_inst_prefetch_distance 0x1
	s_branch .LBB19_217
.LBB19_216:                             ;   in Loop: Header=BB19_217 Depth=3
	s_or_b32 exec_lo, exec_lo, s12
	v_sub_nc_u32_e32 v8, v8, v82
	v_add_co_u32 v6, s11, v6, v82
	s_delay_alu instid0(VALU_DEP_1) | instskip(NEXT) | instid1(VALU_DEP_3)
	v_add_co_ci_u32_e64 v7, s11, v7, v119, s11
	v_cmp_gt_i32_e64 s11, 1, v8
	v_add_co_u32 v4, s12, v4, v114
	s_delay_alu instid0(VALU_DEP_1) | instskip(NEXT) | instid1(VALU_DEP_3)
	v_add_co_ci_u32_e64 v5, s12, v5, v115, s12
	s_or_b32 s28, s11, s28
	s_delay_alu instid0(SALU_CYCLE_1)
	s_and_not1_b32 exec_lo, exec_lo, s28
	s_cbranch_execz .LBB19_219
.LBB19_217:                             ;   Parent Loop BB19_4 Depth=1
                                        ;     Parent Loop BB19_71 Depth=2
                                        ; =>    This Inner Loop Header: Depth=3
	s_waitcnt lgkmcnt(0)
	v_add_co_u32 v9, s11, v2, v4
	s_delay_alu instid0(VALU_DEP_1) | instskip(SKIP_2) | instid1(VALU_DEP_1)
	v_add_co_ci_u32_e64 v10, s11, v3, v5, s11
	flat_load_u8 v9, v[9:10] slc dlc
	v_add_co_u32 v10, s11, v0, v4
	v_add_co_ci_u32_e64 v11, s11, v1, v5, s11
	s_waitcnt vmcnt(0) lgkmcnt(0)
	flat_store_b8 v[10:11], v9 glc slc dlc
	s_and_saveexec_b32 s12, vcc_lo
	s_cbranch_execz .LBB19_216
; %bb.218:                              ;   in Loop: Header=BB19_217 Depth=3
	ds_load_b64 v[10:11], v130 offset:592
	s_waitcnt lgkmcnt(0)
	v_add_co_u32 v10, s11, v6, v10
	s_delay_alu instid0(VALU_DEP_1)
	v_add_co_ci_u32_e64 v11, s11, v7, v11, s11
	flat_store_b8 v[10:11], v9 glc slc dlc
	s_branch .LBB19_216
.LBB19_219:                             ;   in Loop: Header=BB19_71 Depth=2
	s_set_inst_prefetch_distance 0x2
	s_or_b32 exec_lo, exec_lo, s13
	v_and_b32_e32 v0, 16, v33
	v_cmp_ne_u32_e32 vcc_lo, 0, v53
	s_delay_alu instid0(VALU_DEP_2)
	v_cmp_ne_u32_e64 s11, 0, v0
	s_and_b32 s12, vcc_lo, s27
	s_delay_alu instid0(VALU_DEP_1) | instid1(SALU_CYCLE_1)
	s_and_b32 s12, s12, s11
	s_delay_alu instid0(SALU_CYCLE_1)
	s_and_saveexec_b32 s11, s12
	s_cbranch_execz .LBB19_223
; %bb.220:                              ;   in Loop: Header=BB19_71 Depth=2
	flat_load_b64 v[0:1], v[50:51] offset:16
	s_mov_b32 s13, exec_lo
	s_waitcnt vmcnt(0) lgkmcnt(0)
	v_cmpx_ne_u64_e32 0, v[0:1]
	s_cbranch_execz .LBB19_222
; %bb.221:                              ;   in Loop: Header=BB19_71 Depth=2
	ds_load_b32 v2, v0 offset:12
	v_and_b32_e32 v3, 7, v48
	s_delay_alu instid0(VALU_DEP_1) | instskip(SKIP_2) | instid1(VALU_DEP_1)
	v_mad_u64_u32 v[4:5], null, v3, 24, v[0:1]
	s_waitcnt lgkmcnt(0)
	v_add_nc_u32_e32 v2, v2, v129
	v_ashrrev_i32_e32 v3, 31, v2
	flat_store_b64 v[4:5], v[2:3] offset:8
.LBB19_222:                             ;   in Loop: Header=BB19_71 Depth=2
	s_or_b32 exec_lo, exec_lo, s13
	flat_load_b64 v[0:1], v[50:51] offset:8
	v_add_co_u32 v48, vcc_lo, v48, 1
	v_add_co_ci_u32_e32 v49, vcc_lo, 0, v49, vcc_lo
	flat_store_b64 v[50:51], v[48:49]
	s_waitcnt vmcnt(0) lgkmcnt(1)
	flat_store_b64 v[0:1], v[48:49] offset:104 glc slc dlc
.LBB19_223:                             ;   in Loop: Header=BB19_71 Depth=2
	s_or_b32 exec_lo, exec_lo, s11
	v_and_b32_e32 v0, 32, v33
	v_cmp_ne_u32_e32 vcc_lo, 0, v52
	s_delay_alu instid0(VALU_DEP_2)
	v_cmp_ne_u32_e64 s11, 0, v0
	s_and_b32 s13, s26, vcc_lo
	s_delay_alu instid0(VALU_DEP_1) | instid1(SALU_CYCLE_1)
	s_and_b32 s13, s13, s11
	s_delay_alu instid0(SALU_CYCLE_1)
	s_and_saveexec_b32 s11, s13
	s_cbranch_execz .LBB19_225
; %bb.224:                              ;   in Loop: Header=BB19_71 Depth=2
	flat_load_b64 v[0:1], v[50:51] offset:8
	v_add_co_u32 v48, vcc_lo, v48, 1
	v_add_co_ci_u32_e32 v49, vcc_lo, 0, v49, vcc_lo
	flat_store_b64 v[50:51], v[48:49]
	s_waitcnt vmcnt(0) lgkmcnt(1)
	flat_store_b64 v[0:1], v[48:49] offset:104 glc slc dlc
.LBB19_225:                             ;   in Loop: Header=BB19_71 Depth=2
	s_or_b32 exec_lo, exec_lo, s11
	ds_load_b32 v0, v0
	s_mov_b32 s11, exec_lo
	s_waitcnt lgkmcnt(0)
	v_cmpx_lt_i32_e32 -1, v0
	s_xor_b32 s11, exec_lo, s11
	s_cbranch_execz .LBB19_229
; %bb.226:                              ;   in Loop: Header=BB19_71 Depth=2
	v_and_b32_e32 v0, 4, v33
	s_mov_b32 s26, exec_lo
	s_delay_alu instid0(VALU_DEP_1)
	v_cmpx_ne_u32_e32 0, v0
	s_cbranch_execz .LBB19_228
; %bb.227:                              ;   in Loop: Header=BB19_71 Depth=2
	flat_load_b32 v4, v[50:51] offset:64
	ds_load_2addr_b32 v[0:1], v0 offset0:2 offset1:4
	s_waitcnt lgkmcnt(0)
	v_add_nc_u32_e32 v2, v0, v129
	v_ashrrev_i32_e32 v0, 31, v1
	v_add_co_u32 v6, vcc_lo, v48, v1
	s_delay_alu instid0(VALU_DEP_3) | instskip(NEXT) | instid1(VALU_DEP_3)
	v_ashrrev_i32_e32 v3, 31, v2
	v_add_co_ci_u32_e32 v7, vcc_lo, v49, v0, vcc_lo
	s_waitcnt vmcnt(0)
	v_ashrrev_i32_e32 v5, 31, v4
	s_delay_alu instid0(VALU_DEP_3) | instskip(NEXT) | instid1(VALU_DEP_3)
	v_mad_u64_u32 v[0:1], null, v6, v4, v[2:3]
	v_mul_lo_u32 v3, v7, v4
	s_delay_alu instid0(VALU_DEP_3) | instskip(NEXT) | instid1(VALU_DEP_1)
	v_mul_lo_u32 v2, v6, v5
	v_add3_u32 v1, v3, v1, v2
	flat_atomic_max_i64 v[50:51], v[0:1] offset:56
.LBB19_228:                             ;   in Loop: Header=BB19_71 Depth=2
	s_or_b32 exec_lo, exec_lo, s26
                                        ; implicit-def: $vgpr54_vgpr55
.LBB19_229:                             ;   in Loop: Header=BB19_71 Depth=2
	s_and_not1_saveexec_b32 s26, s11
	s_cbranch_execz .LBB19_236
; %bb.230:                              ;   in Loop: Header=BB19_71 Depth=2
	s_and_saveexec_b32 s27, s10
	s_cbranch_execz .LBB19_235
; %bb.231:                              ;   in Loop: Header=BB19_71 Depth=2
	s_mov_b32 s28, exec_lo
	s_mov_b64 s[10:11], s[14:15]
.LBB19_232:                             ;   Parent Loop BB19_4 Depth=1
                                        ;     Parent Loop BB19_71 Depth=2
                                        ; =>    This Inner Loop Header: Depth=3
	s_ctz_i32_b32 s29, s28
	s_delay_alu instid0(SALU_CYCLE_1) | instskip(SKIP_1) | instid1(VALU_DEP_1)
	v_readlane_b32 vcc_hi, v55, s29
	v_readlane_b32 vcc_lo, v54, s29
	v_cmp_gt_i64_e64 s30, s[10:11], vcc
	s_delay_alu instid0(VALU_DEP_1) | instskip(SKIP_3) | instid1(SALU_CYCLE_1)
	s_and_b32 s30, s30, exec_lo
	s_cselect_b32 s11, s11, vcc_hi
	s_cselect_b32 s10, s10, vcc_lo
	s_lshl_b32 s29, 1, s29
	s_and_not1_b32 s28, s28, s29
	s_delay_alu instid0(SALU_CYCLE_1)
	s_cmp_lg_u32 s28, 0
	s_cbranch_scc1 .LBB19_232
; %bb.233:                              ;   in Loop: Header=BB19_71 Depth=2
	v_mbcnt_lo_u32_b32 v0, exec_lo, 0
	s_mov_b32 s28, exec_lo
	s_delay_alu instid0(VALU_DEP_1)
	v_cmpx_eq_u32_e32 0, v0
	s_xor_b32 s28, exec_lo, s28
	s_cbranch_execz .LBB19_235
; %bb.234:                              ;   in Loop: Header=BB19_71 Depth=2
	v_dual_mov_b32 v0, s10 :: v_dual_mov_b32 v1, s11
	ds_max_i64 v0, v[0:1]
	s_cbranch_execnz .LBB19_523
.LBB19_235:                             ;   in Loop: Header=BB19_71 Depth=2
	s_or_b32 exec_lo, exec_lo, s27
.LBB19_236:                             ;   in Loop: Header=BB19_71 Depth=2
	s_delay_alu instid0(SALU_CYCLE_1) | instskip(SKIP_1) | instid1(SALU_CYCLE_1)
	s_or_b32 exec_lo, exec_lo, s26
	s_and_saveexec_b32 s10, s6
	s_xor_b32 s10, exec_lo, s10
	s_cbranch_execz .LBB19_254
; %bb.237:                              ;   in Loop: Header=BB19_71 Depth=2
	s_and_saveexec_b32 s11, s7
	s_cbranch_execz .LBB19_253
; %bb.238:                              ;   in Loop: Header=BB19_71 Depth=2
	s_mov_b32 s27, exec_lo
	s_mov_b32 s26, exec_lo
	v_mbcnt_lo_u32_b32 v0, s27, 0
	s_waitcnt lgkmcnt(0)
	s_waitcnt_vscnt null, 0x0
	buffer_gl1_inv
	buffer_gl0_inv
	v_cmpx_eq_u32_e32 0, v0
	s_cbranch_execz .LBB19_240
; %bb.239:                              ;   in Loop: Header=BB19_71 Depth=2
	s_bcnt1_i32_b32 s27, s27
	s_delay_alu instid0(SALU_CYCLE_1)
	v_dual_mov_b32 v1, v32 :: v_dual_mov_b32 v0, s27
	ds_add_u64 v0, v[0:1]
	s_cbranch_execnz .LBB19_525
.LBB19_240:                             ;   in Loop: Header=BB19_71 Depth=2
	s_or_b32 exec_lo, exec_lo, s26
	s_cbranch_execnz .LBB19_519
; %bb.241:                              ;   in Loop: Header=BB19_71 Depth=2
	ds_load_b64 v[0:1], v0
	v_add_co_u32 v38, vcc_lo, v38, 4
	v_add_co_ci_u32_e32 v39, vcc_lo, 0, v39, vcc_lo
	s_mov_b32 s26, exec_lo
	s_waitcnt lgkmcnt(0)
	s_delay_alu instid0(VALU_DEP_1)
	v_cmpx_lt_u64_e64 v[0:1], v[38:39]
	s_cbranch_execz .LBB19_252
; %bb.242:                              ;   in Loop: Header=BB19_71 Depth=2
	s_mov_b32 s27, 0
	s_mov_b32 vcc_hi, 0
                                        ; implicit-def: $sgpr28
                                        ; implicit-def: $sgpr29
	s_branch .LBB19_244
.LBB19_243:                             ;   in Loop: Header=BB19_244 Depth=3
	s_or_b32 exec_lo, exec_lo, s31
	s_delay_alu instid0(SALU_CYCLE_1) | instskip(NEXT) | instid1(SALU_CYCLE_1)
	s_and_b32 vcc_lo, exec_lo, vcc_lo
	s_or_b32 s27, vcc_lo, s27
	s_and_not1_b32 s28, s28, exec_lo
	s_and_b32 vcc_lo, s29, exec_lo
	s_delay_alu instid0(SALU_CYCLE_1)
	s_or_b32 s28, s28, vcc_lo
	s_and_not1_b32 exec_lo, exec_lo, s27
	s_cbranch_execz .LBB19_250
.LBB19_244:                             ;   Parent Loop BB19_4 Depth=1
                                        ;     Parent Loop BB19_71 Depth=2
                                        ; =>    This Inner Loop Header: Depth=3
	s_add_i32 vcc_hi, vcc_hi, 1
                                        ; implicit-def: $sgpr31
	s_delay_alu instid0(SALU_CYCLE_1) | instskip(SKIP_1) | instid1(SALU_CYCLE_1)
	s_cmpk_lg_i32 vcc_hi, 0x2710
	s_cselect_b32 s30, -1, 0
	s_and_b32 vcc_lo, exec_lo, s30
	s_cbranch_vccz .LBB19_248
.LBB19_245:                             ;   in Loop: Header=BB19_244 Depth=3
	s_and_not1_b32 s29, s29, exec_lo
	s_and_b32 s31, s31, exec_lo
	s_mov_b32 vcc_lo, -1
	s_or_b32 s29, s29, s31
	s_and_saveexec_b32 s31, s30
	s_cbranch_execz .LBB19_243
; %bb.246:                              ;   in Loop: Header=BB19_244 Depth=3
	s_sleep 1
	s_cbranch_execnz .LBB19_529
; %bb.247:                              ;   in Loop: Header=BB19_244 Depth=3
	ds_load_b64 v[0:1], v0
	s_and_not1_b32 s29, s29, exec_lo
	s_waitcnt lgkmcnt(0)
	v_cmp_ge_u64_e32 vcc_lo, v[0:1], v[38:39]
	s_or_not1_b32 vcc_lo, vcc_lo, exec_lo
	s_branch .LBB19_243
.LBB19_248:                             ;   in Loop: Header=BB19_244 Depth=3
	s_cbranch_execnz .LBB19_539
; %bb.249:                              ;   in Loop: Header=BB19_244 Depth=3
	ds_load_b64 v[0:1], v0
	s_and_not1_b32 s30, s30, exec_lo
	s_mov_b32 s31, -1
	s_waitcnt lgkmcnt(0)
	flat_load_b32 v0, v[0:1] glc
	s_waitcnt vmcnt(0) lgkmcnt(0)
	buffer_gl1_inv
	buffer_gl0_inv
	v_cmp_eq_u32_e32 vcc_lo, 0, v0
	s_mov_b32 vcc_hi, 0
	s_and_b32 vcc_lo, vcc_lo, exec_lo
	s_delay_alu instid0(SALU_CYCLE_1)
	s_or_b32 s30, s30, vcc_lo
	s_branch .LBB19_245
.LBB19_250:                             ;   in Loop: Header=BB19_71 Depth=2
	s_or_b32 exec_lo, exec_lo, s27
	s_and_saveexec_b32 s27, s28
	s_delay_alu instid0(SALU_CYCLE_1)
	s_xor_b32 s27, exec_lo, s27
	s_cbranch_execz .LBB19_252
; %bb.251:                              ;   in Loop: Header=BB19_71 Depth=2
	ds_store_b32 v0, v35
	s_cbranch_execnz .LBB19_541
.LBB19_252:                             ;   in Loop: Header=BB19_71 Depth=2
	s_or_b32 exec_lo, exec_lo, s26
	;;#ASMSTART
	s_wakeup
	;;#ASMEND
.LBB19_253:                             ;   in Loop: Header=BB19_71 Depth=2
	s_or_b32 exec_lo, exec_lo, s11
.LBB19_254:                             ;   in Loop: Header=BB19_71 Depth=2
	s_and_not1_saveexec_b32 s10, s10
	s_cbranch_execz .LBB19_262
; %bb.255:                              ;   in Loop: Header=BB19_71 Depth=2
	s_waitcnt lgkmcnt(0)
	s_waitcnt_vscnt null, 0x0
	buffer_gl1_inv
	buffer_gl0_inv
	s_barrier
	s_or_b32 exec_lo, exec_lo, s10
	s_and_saveexec_b32 s10, s12
	s_cbranch_execnz .LBB19_263
.LBB19_256:                             ;   in Loop: Header=BB19_71 Depth=2
	s_or_b32 exec_lo, exec_lo, s10
	s_and_saveexec_b32 s10, s13
	s_cbranch_execz .LBB19_258
.LBB19_257:                             ;   in Loop: Header=BB19_71 Depth=2
	flat_load_b64 v[0:1], v[50:51] offset:32
	s_waitcnt vmcnt(0) lgkmcnt(0)
	flat_store_b64 v[0:1], v[48:49] glc slc dlc
.LBB19_258:                             ;   in Loop: Header=BB19_71 Depth=2
	s_or_b32 exec_lo, exec_lo, s10
.LBB19_259:                             ;   in Loop: Header=BB19_71 Depth=2
	s_delay_alu instid0(SALU_CYCLE_1)
	s_or_b32 exec_lo, exec_lo, s25
	s_and_saveexec_b32 s10, s9
	s_cbranch_execz .LBB19_261
; %bb.260:                              ;   in Loop: Header=BB19_71 Depth=2
	ds_store_b32 v0, v32 offset:36
.LBB19_261:                             ;   in Loop: Header=BB19_71 Depth=2
	s_or_b32 exec_lo, exec_lo, s10
	s_waitcnt lgkmcnt(0)
	v_cmp_ne_u32_e32 vcc_lo, 0, v128
	v_add_nc_u32_e32 v83, v83, v100
	s_or_b32 s24, vcc_lo, s24
	s_delay_alu instid0(SALU_CYCLE_1)
	s_and_not1_b32 exec_lo, exec_lo, s24
	s_cbranch_execnz .LBB19_71
	s_branch .LBB19_264
.LBB19_262:                             ;   in Loop: Header=BB19_71 Depth=2
	s_or_b32 exec_lo, exec_lo, s10
	s_and_saveexec_b32 s10, s12
	s_cbranch_execz .LBB19_256
.LBB19_263:                             ;   in Loop: Header=BB19_71 Depth=2
	flat_load_b64 v[0:1], v[50:51] offset:40
	s_waitcnt vmcnt(0) lgkmcnt(0)
	flat_store_b64 v[0:1], v[48:49] glc slc dlc
	s_or_b32 exec_lo, exec_lo, s10
	s_and_saveexec_b32 s10, s13
	s_cbranch_execnz .LBB19_257
	s_branch .LBB19_258
.LBB19_264:                             ;   in Loop: Header=BB19_4 Depth=1
	s_or_b32 exec_lo, exec_lo, s24
	v_and_b32_e32 v0, 0x800, v33
	s_delay_alu instid0(VALU_DEP_1)
	v_cmp_eq_u32_e32 vcc_lo, 0, v0
	s_and_b32 exec_lo, exec_lo, vcc_lo
	s_cbranch_execz .LBB19_297
; %bb.265:                              ;   in Loop: Header=BB19_4 Depth=1
	v_and_b32_e32 v0, 48, v33
	s_mov_b32 s8, exec_lo
	s_delay_alu instid0(VALU_DEP_1)
	v_cmpx_ne_u32_e32 0, v0
	s_cbranch_execz .LBB19_267
; %bb.266:                              ;   in Loop: Header=BB19_4 Depth=1
	v_mov_b32_e32 v0, 0x68
	v_mov_b32_e32 v1, 0
	flat_store_b64 v[0:1], v[48:49]
.LBB19_267:                             ;   in Loop: Header=BB19_4 Depth=1
	s_or_b32 exec_lo, exec_lo, s8
	v_and_b32_e32 v0, 0x88, v33
	s_mov_b32 s8, exec_lo
	s_delay_alu instid0(VALU_DEP_1)
	v_cmpx_eq_u32_e32 0x88, v0
	s_cbranch_execz .LBB19_280
; %bb.268:                              ;   in Loop: Header=BB19_4 Depth=1
	v_add_nc_u32_e32 v0, -1, v48
	s_mov_b32 s9, 0
                                        ; implicit-def: $sgpr10
	s_delay_alu instid0(VALU_DEP_1) | instskip(NEXT) | instid1(VALU_DEP_1)
	v_and_b32_e32 v2, 7, v0
	v_mad_u64_u32 v[0:1], null, v2, 24, 8
	v_mov_b32_e32 v2, 0
	s_branch .LBB19_273
.LBB19_269:                             ;   in Loop: Header=BB19_273 Depth=2
	s_or_b32 exec_lo, exec_lo, s25
	v_mov_b32_e32 v3, 0
	s_or_not1_b32 s24, s24, exec_lo
.LBB19_270:                             ;   in Loop: Header=BB19_273 Depth=2
	s_or_b32 exec_lo, exec_lo, s13
	s_delay_alu instid0(VALU_DEP_1)
	v_mov_b32_e32 v2, v3
	s_and_b32 s13, s24, exec_lo
.LBB19_271:                             ;   in Loop: Header=BB19_273 Depth=2
	s_or_b32 exec_lo, exec_lo, s12
	s_xor_b32 s12, s13, -1
	s_and_not1_b32 s10, s10, exec_lo
	s_and_b32 s12, s12, exec_lo
	s_delay_alu instid0(SALU_CYCLE_1)
	s_or_b32 s10, s10, s12
.LBB19_272:                             ;   in Loop: Header=BB19_273 Depth=2
	s_or_b32 exec_lo, exec_lo, s11
	s_delay_alu instid0(SALU_CYCLE_1) | instskip(NEXT) | instid1(SALU_CYCLE_1)
	s_and_b32 s11, exec_lo, s10
	s_or_b32 s9, s11, s9
	s_delay_alu instid0(SALU_CYCLE_1)
	s_and_not1_b32 exec_lo, exec_lo, s9
	s_cbranch_execz .LBB19_280
.LBB19_273:                             ;   Parent Loop BB19_4 Depth=1
                                        ; =>  This Inner Loop Header: Depth=2
	flat_load_b64 v[3:4], v[0:1] glc dlc
	s_waitcnt vmcnt(0)
	s_or_b32 s10, s10, exec_lo
	s_mov_b32 s11, exec_lo
	s_waitcnt lgkmcnt(0)
	v_cmpx_ne_u64_e32 -1, v[3:4]
	s_cbranch_execz .LBB19_272
; %bb.274:                              ;   in Loop: Header=BB19_273 Depth=2
	v_and_b32_e32 v3, 64, v33
	s_mov_b32 s13, 0
	s_mov_b32 s12, exec_lo
	s_delay_alu instid0(VALU_DEP_1)
	v_cmpx_eq_u32_e32 0, v3
	s_cbranch_execz .LBB19_271
; %bb.275:                              ;   in Loop: Header=BB19_273 Depth=2
	v_add_nc_u32_e32 v3, 1, v2
	s_mov_b32 s24, -1
	s_mov_b32 s13, exec_lo
	v_cmpx_lt_i32_e32 0x270e, v2
	s_cbranch_execz .LBB19_270
; %bb.276:                              ;   in Loop: Header=BB19_273 Depth=2
	s_cbranch_execnz .LBB19_517
; %bb.277:                              ;   in Loop: Header=BB19_273 Depth=2
	ds_load_b64 v[2:3], v0
	s_mov_b32 s25, exec_lo
	s_waitcnt lgkmcnt(0)
	s_waitcnt_vscnt null, 0x0
	flat_load_b32 v2, v[2:3] glc
	s_waitcnt vmcnt(0) lgkmcnt(0)
	buffer_gl1_inv
	buffer_gl0_inv
	v_cmpx_ne_u32_e32 0, v2
	s_cbranch_execz .LBB19_269
; %bb.278:                              ;   in Loop: Header=BB19_273 Depth=2
	ds_store_b32 v0, v2
	s_cbranch_execnz .LBB19_531
; %bb.279:                              ;   in Loop: Header=BB19_273 Depth=2
	v_or_b32_e32 v33, 64, v33
	s_xor_b32 s24, exec_lo, -1
	s_branch .LBB19_269
.LBB19_280:                             ;   in Loop: Header=BB19_4 Depth=1
	s_or_b32 exec_lo, exec_lo, s8
	v_cmp_ne_u32_e32 vcc_lo, 1, v36
	s_and_b32 exec_lo, exec_lo, vcc_lo
	s_cbranch_execz .LBB19_297
; %bb.281:                              ;   in Loop: Header=BB19_4 Depth=1
	s_and_saveexec_b32 s8, s6
	s_delay_alu instid0(SALU_CYCLE_1)
	s_xor_b32 s6, exec_lo, s8
	s_cbranch_execz .LBB19_295
; %bb.282:                              ;   in Loop: Header=BB19_4 Depth=1
	s_and_saveexec_b32 s8, s7
	s_cbranch_execz .LBB19_294
; %bb.283:                              ;   in Loop: Header=BB19_4 Depth=1
	v_mov_b32_e32 v0, 1
	v_mov_b32_e32 v1, 0
	s_waitcnt lgkmcnt(0)
	s_waitcnt_vscnt null, 0x0
	buffer_gl1_inv
	buffer_gl0_inv
	v_ashrrev_i32_e32 v37, 31, v36
	s_mov_b32 s7, exec_lo
	ds_add_u64 v0, v[0:1] offset:272
	ds_load_b64 v[0:1], v0 offset:272
	s_waitcnt lgkmcnt(0)
	v_cmpx_lt_u64_e64 v[0:1], v[36:37]
	s_cbranch_execz .LBB19_293
; %bb.284:                              ;   in Loop: Header=BB19_4 Depth=1
	s_mov_b32 s9, 0
	s_mov_b32 s12, 0
                                        ; implicit-def: $sgpr10
                                        ; implicit-def: $sgpr11
	s_branch .LBB19_286
.LBB19_285:                             ;   in Loop: Header=BB19_286 Depth=2
	s_or_b32 exec_lo, exec_lo, s25
	s_delay_alu instid0(SALU_CYCLE_1) | instskip(NEXT) | instid1(SALU_CYCLE_1)
	s_and_b32 s13, exec_lo, s24
	s_or_b32 s9, s13, s9
	s_and_not1_b32 s10, s10, exec_lo
	s_and_b32 s13, s11, exec_lo
	s_delay_alu instid0(SALU_CYCLE_1)
	s_or_b32 s10, s10, s13
	s_and_not1_b32 exec_lo, exec_lo, s9
	s_cbranch_execz .LBB19_291
.LBB19_286:                             ;   Parent Loop BB19_4 Depth=1
                                        ; =>  This Inner Loop Header: Depth=2
	s_add_i32 s12, s12, 1
                                        ; implicit-def: $sgpr24
	s_delay_alu instid0(SALU_CYCLE_1) | instskip(SKIP_1) | instid1(SALU_CYCLE_1)
	s_cmpk_lg_i32 s12, 0x2710
	s_cselect_b32 s13, -1, 0
	s_and_b32 vcc_lo, exec_lo, s13
	s_cbranch_vccnz .LBB19_289
; %bb.287:                              ;   in Loop: Header=BB19_286 Depth=2
	s_cbranch_execnz .LBB19_543
; %bb.288:                              ;   in Loop: Header=BB19_286 Depth=2
	ds_load_b64 v[0:1], v0
	s_and_not1_b32 s13, s13, exec_lo
	s_mov_b32 s12, 0
	s_mov_b32 s24, -1
	s_waitcnt lgkmcnt(0)
	flat_load_b32 v0, v[0:1] glc
	s_waitcnt vmcnt(0) lgkmcnt(0)
	buffer_gl1_inv
	buffer_gl0_inv
	v_cmp_eq_u32_e32 vcc_lo, 0, v0
	s_and_b32 s25, vcc_lo, exec_lo
	s_delay_alu instid0(SALU_CYCLE_1)
	s_or_b32 s13, s13, s25
.LBB19_289:                             ;   in Loop: Header=BB19_286 Depth=2
	s_and_not1_b32 s11, s11, exec_lo
	s_and_b32 s25, s24, exec_lo
	s_mov_b32 s24, -1
	s_or_b32 s11, s11, s25
	s_and_saveexec_b32 s25, s13
	s_cbranch_execz .LBB19_285
; %bb.290:                              ;   in Loop: Header=BB19_286 Depth=2
	s_sleep 1
	ds_load_b64 v[0:1], v0 offset:272
	s_and_not1_b32 s11, s11, exec_lo
	s_waitcnt lgkmcnt(0)
	v_cmp_ge_u64_e32 vcc_lo, v[0:1], v[36:37]
	s_or_not1_b32 s24, vcc_lo, exec_lo
	s_branch .LBB19_285
.LBB19_291:                             ;   in Loop: Header=BB19_4 Depth=1
	s_or_b32 exec_lo, exec_lo, s9
	s_and_saveexec_b32 s9, s10
	s_delay_alu instid0(SALU_CYCLE_1)
	s_xor_b32 s9, exec_lo, s9
	s_cbranch_execz .LBB19_293
; %bb.292:                              ;   in Loop: Header=BB19_4 Depth=1
	ds_store_b32 v0, v35
	s_cbranch_execnz .LBB19_545
.LBB19_293:                             ;   in Loop: Header=BB19_4 Depth=1
	s_or_b32 exec_lo, exec_lo, s7
	;;#ASMSTART
	s_wakeup
	;;#ASMEND
.LBB19_294:                             ;   in Loop: Header=BB19_4 Depth=1
	s_or_b32 exec_lo, exec_lo, s8
.LBB19_295:                             ;   in Loop: Header=BB19_4 Depth=1
	s_and_not1_saveexec_b32 s6, s6
	s_cbranch_execz .LBB19_297
; %bb.296:                              ;   in Loop: Header=BB19_4 Depth=1
	s_waitcnt lgkmcnt(0)
	s_waitcnt_vscnt null, 0x0
	buffer_gl1_inv
	buffer_gl0_inv
	s_barrier
.LBB19_297:                             ;   in Loop: Header=BB19_4 Depth=1
	s_or_b32 exec_lo, exec_lo, s23
                                        ; implicit-def: $vgpr2_vgpr3
                                        ; implicit-def: $vgpr10
                                        ; implicit-def: $vgpr8_vgpr9
                                        ; implicit-def: $vgpr12_vgpr13
                                        ; implicit-def: $vgpr4_vgpr5
.LBB19_298:                             ;   in Loop: Header=BB19_4 Depth=1
	s_and_not1_saveexec_b32 s6, s22
	s_cbranch_execz .LBB19_422
; %bb.299:                              ;   in Loop: Header=BB19_4 Depth=1
	v_sub_nc_u32_e64 v0, s20, 1 clamp
	v_add_co_u32 v6, vcc_lo, v4, v2
	v_add_co_ci_u32_e32 v7, vcc_lo, v5, v3, vcc_lo
	s_delay_alu instid0(VALU_DEP_3) | instskip(SKIP_2) | instid1(VALU_DEP_3)
	v_readfirstlane_b32 s6, v0
	v_add_co_u32 v8, vcc_lo, v10, v8
	v_add_co_ci_u32_e32 v9, vcc_lo, v11, v9, vcc_lo
	s_clz_i32_u32 s6, s6
	v_and_b32_e32 v0, 0x3ffffe00, v12
	s_sub_i32 s6, 32, s6
	s_clause 0x1
	scratch_store_b128 off, v[4:7], s32
	scratch_store_b64 off, v[8:9], s32 offset:16
	v_mov_b32_e32 v5, s20
	s_lshl_b32 s6, 1, s6
	s_cmp_gt_u32 s20, 1
	v_dual_mov_b32 v4, s21 :: v_dual_mov_b32 v1, v32
	s_cselect_b32 s8, s6, 1
	s_lshr_b32 s6, s20, 31
	v_mov_b32_e32 v6, s8
	s_add_i32 s20, s20, s6
	s_mov_b32 s11, 1
	s_ashr_i32 s6, s20, 1
	s_clause 0x3
	scratch_store_b32 off, v0, s32 offset:24
	scratch_store_b96 off, v[4:6], s32 offset:32
	scratch_store_b32 off, v6, s32 offset:68
	scratch_store_b64 off, v[34:35], s32 offset:52
	s_branch .LBB19_301
.LBB19_300:                             ;   in Loop: Header=BB19_301 Depth=2
	s_and_not1_b32 vcc_lo, exec_lo, s12
	s_cbranch_vccz .LBB19_305
.LBB19_301:                             ;   Parent Loop BB19_4 Depth=1
                                        ; =>  This Inner Loop Header: Depth=2
	s_mov_b32 s7, s11
	s_ashr_i32 s9, s11, 31
	v_mul_hi_u32 v4, v2, s7
	v_mul_lo_u32 v5, v2, s9
	v_mul_lo_u32 v6, v3, s7
	s_mov_b32 s9, s8
	s_delay_alu instid0(VALU_DEP_2) | instskip(SKIP_1) | instid1(VALU_DEP_2)
	v_add_nc_u32_e32 v5, v4, v5
	v_mul_lo_u32 v4, v2, s7
	v_add_nc_u32_e32 v5, v5, v6
	s_delay_alu instid0(VALU_DEP_1)
	v_cmp_lt_u64_e32 vcc_lo, v[0:1], v[4:5]
	v_mov_b32_e32 v5, 0
	v_mov_b32_e32 v6, 0
	s_cbranch_vccnz .LBB19_303
; %bb.302:                              ;   in Loop: Header=BB19_301 Depth=2
	v_cvt_f32_u32_e32 v5, v4
	v_sub_nc_u32_e32 v6, 0, v4
	s_delay_alu instid0(VALU_DEP_2) | instskip(SKIP_2) | instid1(VALU_DEP_1)
	v_rcp_iflag_f32_e32 v5, v5
	s_waitcnt_depctr 0xfff
	v_mul_f32_e32 v5, 0x4f7ffffe, v5
	v_cvt_u32_f32_e32 v5, v5
	s_delay_alu instid0(VALU_DEP_1) | instskip(NEXT) | instid1(VALU_DEP_1)
	v_mul_lo_u32 v6, v6, v5
	v_mul_hi_u32 v6, v5, v6
	s_delay_alu instid0(VALU_DEP_1) | instskip(NEXT) | instid1(VALU_DEP_1)
	v_add_nc_u32_e32 v5, v5, v6
	v_mul_hi_u32 v5, v0, v5
	s_delay_alu instid0(VALU_DEP_1) | instskip(SKIP_1) | instid1(VALU_DEP_2)
	v_mul_lo_u32 v6, v5, v4
	v_add_nc_u32_e32 v7, 1, v5
	v_sub_nc_u32_e32 v6, v0, v6
	s_delay_alu instid0(VALU_DEP_1) | instskip(SKIP_1) | instid1(VALU_DEP_2)
	v_sub_nc_u32_e32 v8, v6, v4
	v_cmp_ge_u32_e32 vcc_lo, v6, v4
	v_dual_cndmask_b32 v6, v6, v8 :: v_dual_cndmask_b32 v5, v5, v7
	s_delay_alu instid0(VALU_DEP_1) | instskip(NEXT) | instid1(VALU_DEP_2)
	v_cmp_ge_u32_e32 vcc_lo, v6, v4
	v_dual_mov_b32 v6, v32 :: v_dual_add_nc_u32 v7, 1, v5
	s_delay_alu instid0(VALU_DEP_1)
	v_cndmask_b32_e32 v5, v5, v7, vcc_lo
.LBB19_303:                             ;   in Loop: Header=BB19_301 Depth=2
	s_cmp_lt_i32 s7, s6
	s_delay_alu instid0(VALU_DEP_1) | instskip(SKIP_4) | instid1(SALU_CYCLE_1)
	v_cmp_gt_u64_e32 vcc_lo, 2, v[5:6]
	s_cselect_b32 s10, -1, 0
	s_cmp_ge_i32 s7, s6
	s_mov_b32 s12, -1
	s_cselect_b32 s8, -1, 0
                                        ; implicit-def: $sgpr11
	s_or_b32 s8, s8, vcc_lo
	s_delay_alu instid0(SALU_CYCLE_1)
	s_and_b32 vcc_lo, exec_lo, s8
                                        ; implicit-def: $sgpr8
	s_cbranch_vccnz .LBB19_300
; %bb.304:                              ;   in Loop: Header=BB19_301 Depth=2
	s_lshr_b32 s8, s9, 31
	s_lshl_b32 s11, s7, 1
	s_add_i32 s8, s9, s8
	s_mov_b32 s12, 0
	s_ashr_i32 s8, s8, 1
	s_delay_alu instid0(SALU_CYCLE_1)
	v_dual_mov_b32 v4, s11 :: v_dual_mov_b32 v5, s8
	s_clause 0x1
	scratch_store_b32 off, v4, s32 offset:56
	scratch_store_b32 off, v5, s32 offset:68
	s_branch .LBB19_300
.LBB19_305:                             ;   in Loop: Header=BB19_4 Depth=1
	v_mov_b32_e32 v4, s7
	s_cmp_gt_i32 s7, 3
	s_mov_b32 s8, 4
	scratch_store_b32 off, v4, s32 offset:44
	s_cbranch_scc1 .LBB19_307
; %bb.306:                              ;   in Loop: Header=BB19_4 Depth=1
	v_mov_b32_e32 v4, s7
	s_mov_b32 s8, s7
	scratch_store_b32 off, v4, s32 offset:52
.LBB19_307:                             ;   in Loop: Header=BB19_4 Depth=1
	s_and_not1_b32 vcc_lo, exec_lo, s10
	s_cbranch_vccnz .LBB19_312
; %bb.308:                              ;   in Loop: Header=BB19_4 Depth=1
	s_lshr_b32 s10, s9, 31
	s_delay_alu instid0(SALU_CYCLE_1) | instskip(SKIP_2) | instid1(SALU_CYCLE_1)
	s_add_i32 s11, s9, s10
	s_lshl_b32 s10, s7, 1
	s_ashr_i32 s11, s11, 1
	v_dual_mov_b32 v4, s10 :: v_dual_mov_b32 v5, s11
	s_cmp_ge_i32 s10, s6
	s_clause 0x1
	scratch_store_b32 off, v4, s32 offset:56
	scratch_store_b32 off, v5, s32 offset:68
	s_cbranch_scc1 .LBB19_311
; %bb.309:                              ;   in Loop: Header=BB19_4 Depth=1
	s_ashr_i32 s12, s9, 31
	s_delay_alu instid0(SALU_CYCLE_1) | instskip(NEXT) | instid1(SALU_CYCLE_1)
	s_lshr_b32 s10, s12, 30
	s_add_i32 s11, s9, s10
	s_lshl_b32 s10, s7, 2
	s_ashr_i32 s11, s11, 2
	s_delay_alu instid0(SALU_CYCLE_1)
	v_dual_mov_b32 v4, s10 :: v_dual_mov_b32 v5, s11
	s_cmp_ge_i32 s10, s6
	s_clause 0x1
	scratch_store_b32 off, v4, s32 offset:56
	scratch_store_b32 off, v5, s32 offset:68
	s_cbranch_scc1 .LBB19_311
; %bb.310:                              ;   in Loop: Header=BB19_4 Depth=1
	s_lshr_b32 s6, s12, 29
	s_lshl_b32 s10, s7, 3
	s_add_i32 s6, s9, s6
	s_delay_alu instid0(SALU_CYCLE_1) | instskip(NEXT) | instid1(SALU_CYCLE_1)
	s_ashr_i32 s11, s6, 3
	v_dual_mov_b32 v4, s10 :: v_dual_mov_b32 v5, s11
	s_clause 0x1
	scratch_store_b32 off, v4, s32 offset:56
	scratch_store_b32 off, v5, s32 offset:68
.LBB19_311:                             ;   in Loop: Header=BB19_4 Depth=1
	s_mov_b32 s7, s10
	s_mov_b32 s9, s11
.LBB19_312:                             ;   in Loop: Header=BB19_4 Depth=1
	s_delay_alu instid0(SALU_CYCLE_1) | instskip(NEXT) | instid1(VALU_DEP_1)
	v_sub_nc_u32_e64 v4, s9, 1 clamp
	v_readfirstlane_b32 s6, v4
	s_delay_alu instid0(VALU_DEP_1) | instskip(NEXT) | instid1(SALU_CYCLE_1)
	s_clz_i32_u32 s6, s6
	s_sub_i32 s6, 32, s6
	s_cmp_lt_u32 s9, 2
	s_cselect_b32 s9, -1, 0
	s_delay_alu instid0(SALU_CYCLE_1)
	s_and_b32 vcc_lo, s9, exec_lo
	s_cselect_b32 s9, 0, s6
	v_cmp_lt_i64_e64 s6, v[0:1], v[2:3]
	s_lshr_b32 s10, s7, 31
	v_mov_b32_e32 v3, 0
	s_mov_b32 s12, s9
	s_delay_alu instid0(VALU_DEP_2)
	v_cndmask_b32_e64 v4, v2, v0, s6
	v_mov_b32_e32 v2, s9
	s_add_i32 s6, s7, s10
	s_add_i32 s10, s7, -2
	s_ashr_i32 s6, s6, 1
	s_cmp_lt_u32 s10, -3
	s_cselect_b32 s10, -1, 0
	s_delay_alu instid0(SALU_CYCLE_1) | instskip(SKIP_1) | instid1(SALU_CYCLE_1)
	s_and_b32 s11, s10, exec_lo
	s_cselect_b32 s11, 2, 1
	v_dual_mov_b32 v0, s6 :: v_dual_mov_b32 v1, s11
	s_mov_b32 s11, s19
	s_clause 0x1
	scratch_store_b32 off, v4, s32 offset:28
	scratch_store_b128 off, v[0:3], s32 offset:72
	s_cbranch_vccnz .LBB19_322
.LBB19_313:                             ;   Parent Loop BB19_4 Depth=1
                                        ; =>  This Inner Loop Header: Depth=2
	v_mov_b32_e32 v0, s12
	s_add_i32 s12, s12, -1
	s_clause 0x1
	scratch_store_b32 off, v0, s11 offset:-128
	scratch_store_b32 off, v35, s11
	s_add_i32 s11, s11, 4
	s_cmp_lg_u32 s12, 0
	s_cbranch_scc1 .LBB19_313
; %bb.314:                              ;   in Loop: Header=BB19_4 Depth=1
	v_mov_b32_e32 v3, 0
	s_mov_b32 s11, 0
	s_mov_b32 s12, s19
	s_branch .LBB19_318
.LBB19_315:                             ;   in Loop: Header=BB19_318 Depth=2
	s_or_b32 exec_lo, exec_lo, s22
	v_add_nc_u32_e32 v1, 1, v1
	scratch_store_b32 off, v1, s12
.LBB19_316:                             ;   in Loop: Header=BB19_318 Depth=2
	s_or_b32 exec_lo, exec_lo, s20
	v_mov_b32_e32 v3, v0
.LBB19_317:                             ;   in Loop: Header=BB19_318 Depth=2
	s_or_b32 exec_lo, exec_lo, s13
	s_add_i32 s11, s11, 1
	s_add_i32 s12, s12, 4
	s_cmp_lg_u32 s9, s11
	s_cbranch_scc0 .LBB19_322
.LBB19_318:                             ;   Parent Loop BB19_4 Depth=1
                                        ; =>  This Inner Loop Header: Depth=2
	scratch_load_b32 v0, off, s12 offset:-128
	s_mov_b32 s13, exec_lo
	s_waitcnt vmcnt(0)
	v_add_nc_u32_e32 v0, -1, v0
	scratch_store_b32 off, v0, s12 offset:-128
	v_cmpx_eq_u32_e32 0, v0
	s_cbranch_execz .LBB19_317
; %bb.319:                              ;   in Loop: Header=BB19_318 Depth=2
	s_lshl_b32 s21, 1, s11
	s_mov_b32 s20, exec_lo
	v_dual_mov_b32 v2, s21 :: v_dual_and_b32 v1, s21, v3
	v_xor_b32_e32 v0, s21, v3
	scratch_store_b32 off, v0, s32 offset:84
	scratch_store_b32 off, v2, s12 offset:-128
	v_cmpx_ne_u32_e32 0, v1
	s_cbranch_execz .LBB19_316
; %bb.320:                              ;   in Loop: Header=BB19_318 Depth=2
	scratch_load_b32 v1, off, s12
	s_mov_b32 s22, exec_lo
	s_waitcnt vmcnt(0)
	v_ctz_i32_b32_e32 v2, v1
	v_cmp_eq_u32_e32 vcc_lo, 0, v1
	s_delay_alu instid0(VALU_DEP_2) | instskip(NEXT) | instid1(VALU_DEP_1)
	v_cndmask_b32_e64 v2, v2, s9, vcc_lo
	v_add3_u32 v2, s21, -1, v2
	scratch_store_b32 off, v2, s12 offset:-128
	v_cmpx_eq_u32_e32 0, v2
	s_cbranch_execz .LBB19_315
; %bb.321:                              ;   in Loop: Header=BB19_318 Depth=2
	v_mov_b32_e32 v0, v3
	v_mov_b32_e32 v2, s21
	scratch_store_b32 off, v3, s32 offset:84
	scratch_store_b32 off, v2, s12 offset:-128
	s_branch .LBB19_315
.LBB19_322:                             ;   in Loop: Header=BB19_4 Depth=1
	v_dual_mov_b32 v0, v3 :: v_dual_mov_b32 v1, v32
	s_and_not1_b32 vcc_lo, exec_lo, s10
	scratch_store_b64 off, v[0:1], s32 offset:60
	s_cbranch_vccnz .LBB19_324
; %bb.323:                              ;   in Loop: Header=BB19_4 Depth=1
	s_lshl_b32 s9, s6, 1
	s_ashr_i32 s6, s6, 31
	s_abs_i32 s12, s7
	s_add_i32 s9, s9, s6
	s_ashr_i32 s7, s7, 31
	s_xor_b32 s9, s9, s6
	s_xor_b32 s6, s7, s6
	v_cvt_f32_u32_e32 v0, s9
	s_sub_i32 s11, 0, s9
	s_delay_alu instid0(VALU_DEP_1) | instskip(SKIP_2) | instid1(VALU_DEP_1)
	v_rcp_iflag_f32_e32 v0, v0
	s_waitcnt_depctr 0xfff
	v_mul_f32_e32 v0, 0x4f7ffffe, v0
	v_cvt_u32_f32_e32 v0, v0
	s_delay_alu instid0(VALU_DEP_1) | instskip(NEXT) | instid1(VALU_DEP_1)
	v_readfirstlane_b32 s10, v0
	s_mul_i32 s11, s11, s10
	s_delay_alu instid0(SALU_CYCLE_1) | instskip(NEXT) | instid1(SALU_CYCLE_1)
	s_mul_hi_u32 s11, s10, s11
	s_add_i32 s10, s10, s11
	s_delay_alu instid0(SALU_CYCLE_1) | instskip(NEXT) | instid1(SALU_CYCLE_1)
	s_mul_hi_u32 s10, s12, s10
	s_mul_i32 s11, s10, s9
	s_delay_alu instid0(SALU_CYCLE_1)
	s_sub_i32 s7, s12, s11
	s_add_i32 s11, s10, 1
	s_sub_i32 s12, s7, s9
	s_cmp_ge_u32 s7, s9
	s_cselect_b32 s10, s11, s10
	s_cselect_b32 s7, s12, s7
	s_add_i32 s11, s10, 1
	s_cmp_ge_u32 s7, s9
	s_cselect_b32 s7, s11, s10
	s_delay_alu instid0(SALU_CYCLE_1) | instskip(NEXT) | instid1(SALU_CYCLE_1)
	s_xor_b32 s7, s7, s6
	s_sub_i32 s7, s7, s6
.LBB19_324:                             ;   in Loop: Header=BB19_4 Depth=1
	s_delay_alu instid0(SALU_CYCLE_1)
	v_dual_mov_b32 v0, s7 :: v_dual_mov_b32 v1, s8
	scratch_store_b32 off, v0, s32 offset:48
	ds_store_b32 v0, v1
	s_cbranch_execnz .LBB19_449
; %bb.325:                              ;   in Loop: Header=BB19_4 Depth=1
	s_mov_b32 s9, 0
	s_mov_b32 s10, 0
.LBB19_326:                             ;   Parent Loop BB19_4 Depth=1
                                        ; =>  This Loop Header: Depth=2
                                        ;       Child Loop BB19_327 Depth 3
                                        ;       Child Loop BB19_387 Depth 3
	;; [unrolled: 1-line block ×4, first 2 shown]
	s_cbranch_execnz .LBB19_451
.LBB19_327:                             ;   Parent Loop BB19_4 Depth=1
                                        ;     Parent Loop BB19_326 Depth=2
                                        ; =>    This Inner Loop Header: Depth=3
	ds_load_b32 v0, v0 offset:36
	s_waitcnt lgkmcnt(0)
	v_cmp_ne_u32_e32 vcc_lo, 0, v0
	s_cbranch_vccnz .LBB19_327
; %bb.328:                              ;   in Loop: Header=BB19_326 Depth=2
	s_clause 0x4
	scratch_load_b32 v8, off, s32 offset:76
	scratch_load_b32 v9, off, s32 offset:64
	;; [unrolled: 1-line block ×4, first 2 shown]
	scratch_load_b64 v[4:5], off, s32
	s_mov_b32 s7, -1
	s_mov_b32 s11, exec_lo
	s_waitcnt vmcnt(1)
	ds_store_2addr_b32 v0, v11, v32 offset0:7 offset1:8
	s_waitcnt vmcnt(0)
	ds_store_b64 v0, v[4:5] offset:40
	v_cmpx_lt_i32_e64 v9, v10
	s_cbranch_execz .LBB19_362
; %bb.329:                              ;   in Loop: Header=BB19_326 Depth=2
                                        ; implicit-def: $sgpr6
	s_mov_b32 s7, exec_lo
	v_cmpx_lt_i32_e32 0, v8
	s_xor_b32 s12, exec_lo, s7
	s_cbranch_execz .LBB19_355
; %bb.330:                              ;   in Loop: Header=BB19_326 Depth=2
                                        ; implicit-def: $sgpr13
	s_mov_b32 s6, exec_lo
	v_cmpx_lt_i32_e32 1, v8
	s_xor_b32 s7, exec_lo, s6
	s_cbranch_execz .LBB19_342
; %bb.331:                              ;   in Loop: Header=BB19_326 Depth=2
	s_mov_b32 s6, 0
	s_mov_b32 s8, exec_lo
	v_cmpx_eq_u32_e32 2, v8
	s_cbranch_execz .LBB19_341
; %bb.332:                              ;   in Loop: Header=BB19_326 Depth=2
	s_clause 0x1
	scratch_load_b32 v2, off, s32 offset:44
	scratch_load_b64 v[0:1], off, s32 offset:68
	v_sub_nc_u32_e32 v12, 0, v9
	v_ashrrev_i32_e32 v15, 31, v9
	s_mov_b32 s13, exec_lo
                                        ; implicit-def: $sgpr6
                                        ; implicit-def: $vgpr16
	s_delay_alu instid0(VALU_DEP_2) | instskip(SKIP_2) | instid1(VALU_DEP_1)
	v_max_i32_e32 v12, v9, v12
	s_waitcnt vmcnt(1)
	v_sub_nc_u32_e32 v3, 0, v2
	v_max_i32_e32 v3, v2, v3
	s_delay_alu instid0(VALU_DEP_1) | instskip(SKIP_1) | instid1(VALU_DEP_2)
	v_cvt_f32_u32_e32 v6, v3
	v_sub_nc_u32_e32 v7, 0, v3
	v_rcp_iflag_f32_e32 v6, v6
	s_waitcnt_depctr 0xfff
	v_mul_f32_e32 v6, 0x4f7ffffe, v6
	s_delay_alu instid0(VALU_DEP_1) | instskip(NEXT) | instid1(VALU_DEP_1)
	v_cvt_u32_f32_e32 v6, v6
	v_mul_lo_u32 v7, v7, v6
	s_delay_alu instid0(VALU_DEP_1) | instskip(NEXT) | instid1(VALU_DEP_1)
	v_mul_hi_u32 v7, v6, v7
	v_add_nc_u32_e32 v7, v6, v7
	s_delay_alu instid0(VALU_DEP_1) | instskip(NEXT) | instid1(VALU_DEP_1)
	v_mul_hi_u32 v6, v12, v7
	v_mul_lo_u32 v13, v6, v3
	s_delay_alu instid0(VALU_DEP_1) | instskip(SKIP_1) | instid1(VALU_DEP_2)
	v_sub_nc_u32_e32 v12, v12, v13
	v_add_nc_u32_e32 v13, 1, v6
	v_sub_nc_u32_e32 v14, v12, v3
	v_cmp_ge_u32_e32 vcc_lo, v12, v3
	s_delay_alu instid0(VALU_DEP_2) | instskip(SKIP_1) | instid1(VALU_DEP_2)
	v_dual_cndmask_b32 v12, v12, v14 :: v_dual_cndmask_b32 v13, v6, v13
	v_ashrrev_i32_e32 v6, 31, v2
	v_cmp_ge_u32_e32 vcc_lo, v12, v3
	s_delay_alu instid0(VALU_DEP_3) | instskip(NEXT) | instid1(VALU_DEP_3)
	v_add_nc_u32_e32 v14, 1, v13
	v_xor_b32_e32 v15, v15, v6
	s_delay_alu instid0(VALU_DEP_2) | instskip(SKIP_3) | instid1(VALU_DEP_3)
	v_cndmask_b32_e32 v12, v13, v14, vcc_lo
	s_waitcnt vmcnt(0)
	v_mul_lo_u32 v13, v0, v1
	v_add_nc_u32_e32 v1, -1, v2
	v_xor_b32_e32 v12, v12, v15
	s_delay_alu instid0(VALU_DEP_1) | instskip(SKIP_1) | instid1(VALU_DEP_2)
	v_sub_nc_u32_e32 v14, v12, v15
	v_lshlrev_b32_e32 v12, 1, v9
	v_mul_lo_u32 v15, v14, v2
	s_delay_alu instid0(VALU_DEP_2) | instskip(NEXT) | instid1(VALU_DEP_1)
	v_or_b32_e32 v0, 1, v12
	v_mul_lo_u32 v0, v13, v0
	s_delay_alu instid0(VALU_DEP_3) | instskip(NEXT) | instid1(VALU_DEP_1)
	v_sub_nc_u32_e32 v15, v9, v15
	v_cmpx_ne_u32_e64 v15, v1
	s_xor_b32 s13, exec_lo, s13
	s_cbranch_execz .LBB19_334
; %bb.333:                              ;   in Loop: Header=BB19_326 Depth=2
	scratch_load_b32 v16, off, s32 offset:36
	v_lshl_add_u32 v1, v13, 1, v0
	s_waitcnt vmcnt(0)
	s_delay_alu instid0(VALU_DEP_1)
	v_cmp_ge_i32_e32 vcc_lo, v1, v16
	s_and_b32 s6, vcc_lo, exec_lo
.LBB19_334:                             ;   in Loop: Header=BB19_326 Depth=2
	s_and_not1_saveexec_b32 s13, s13
	s_cbranch_execz .LBB19_336
; %bb.335:                              ;   in Loop: Header=BB19_326 Depth=2
	scratch_load_b32 v16, off, s32 offset:36
	s_or_b32 s6, s6, exec_lo
.LBB19_336:                             ;   in Loop: Header=BB19_326 Depth=2
	s_or_b32 exec_lo, exec_lo, s13
	s_clause 0x2
	scratch_load_b32 v1, off, s32 offset:40
	scratch_load_b32 v19, off, s32 offset:32
	scratch_load_b64 v[17:18], off, s32 offset:16
	s_waitcnt vmcnt(3)
	v_sub_nc_u32_e32 v20, 0, v16
	v_ctz_i32_b32_e32 v22, v0
	v_cmp_eq_u32_e32 vcc_lo, 0, v13
	v_mul_lo_u32 v15, v15, v11
	s_mov_b32 s13, exec_lo
	v_max_i32_e32 v20, v16, v20
                                        ; implicit-def: $sgpr20
	s_delay_alu instid0(VALU_DEP_1) | instskip(SKIP_1) | instid1(VALU_DEP_2)
	v_cvt_f32_u32_e32 v21, v20
	v_sub_nc_u32_e32 v23, 0, v20
	v_rcp_iflag_f32_e32 v21, v21
	s_waitcnt_depctr 0xfff
	v_mul_f32_e32 v21, 0x4f7ffffe, v21
	s_delay_alu instid0(VALU_DEP_1) | instskip(SKIP_2) | instid1(VALU_DEP_2)
	v_cvt_u32_f32_e32 v21, v21
	s_waitcnt vmcnt(2)
	v_cndmask_b32_e32 v1, v22, v1, vcc_lo
	v_mul_lo_u32 v22, v23, v21
	s_delay_alu instid0(VALU_DEP_2) | instskip(NEXT) | instid1(VALU_DEP_2)
	v_lshl_add_u32 v23, -1, v1, v0
	v_mul_hi_u32 v22, v21, v22
	s_waitcnt vmcnt(1)
	s_delay_alu instid0(VALU_DEP_2) | instskip(NEXT) | instid1(VALU_DEP_1)
	v_add3_u32 v19, v23, v16, v19
	v_sub_nc_u32_e32 v24, 0, v19
	s_delay_alu instid0(VALU_DEP_3) | instskip(NEXT) | instid1(VALU_DEP_2)
	v_add_nc_u32_e32 v21, v21, v22
	v_max_i32_e32 v22, v19, v24
	v_ashrrev_i32_e32 v19, 31, v19
	s_delay_alu instid0(VALU_DEP_2) | instskip(NEXT) | instid1(VALU_DEP_1)
	v_mul_hi_u32 v21, v22, v21
	v_mul_lo_u32 v21, v21, v20
	s_delay_alu instid0(VALU_DEP_1) | instskip(NEXT) | instid1(VALU_DEP_1)
	v_sub_nc_u32_e32 v21, v22, v21
	v_sub_nc_u32_e32 v22, v21, v20
	v_cmp_ge_u32_e32 vcc_lo, v21, v20
	s_delay_alu instid0(VALU_DEP_2) | instskip(NEXT) | instid1(VALU_DEP_1)
	v_cndmask_b32_e32 v21, v21, v22, vcc_lo
	v_sub_nc_u32_e32 v22, v21, v20
	v_cmp_ge_u32_e32 vcc_lo, v21, v20
	s_delay_alu instid0(VALU_DEP_2) | instskip(SKIP_2) | instid1(VALU_DEP_3)
	v_cndmask_b32_e32 v20, v21, v22, vcc_lo
	v_cmp_ge_i32_e32 vcc_lo, v0, v16
	v_ctz_i32_b32_e32 v0, v23
	v_xor_b32_e32 v20, v20, v19
	s_delay_alu instid0(VALU_DEP_1) | instskip(NEXT) | instid1(VALU_DEP_1)
	v_sub_nc_u32_e32 v20, v20, v19
	v_ashrrev_i32_e32 v21, 31, v20
	s_waitcnt vmcnt(0)
	v_mul_lo_u32 v22, v18, v20
	v_mad_u64_u32 v[18:19], null, v17, v20, v[4:5]
	v_cndmask_b32_e64 v20, 0, 1, s6
	v_mul_lo_u32 v17, v17, v21
	s_delay_alu instid0(VALU_DEP_1)
	v_add3_u32 v19, v22, v19, v17
	ds_store_2addr_b32 v0, v32, v20 offset0:5 offset1:6
	ds_store_2addr_b32 v0, v15, v14 offset0:3 offset1:4
	ds_store_2addr_b64 v0, v[0:1], v[18:19] offset1:6
	v_cmpx_ne_u32_e32 0, v23
	s_xor_b32 s13, exec_lo, s13
	s_cbranch_execz .LBB19_338
; %bb.337:                              ;   in Loop: Header=BB19_326 Depth=2
	v_mul_lo_u32 v1, v13, v12
	v_add_nc_u32_e32 v0, 1, v0
	s_and_b32 s20, vcc_lo, exec_lo
	s_delay_alu instid0(VALU_DEP_1) | instskip(NEXT) | instid1(VALU_DEP_1)
	v_ashrrev_i32_e32 v0, v0, v1
	v_sub_nc_u32_e32 v1, 0, v0
	s_delay_alu instid0(VALU_DEP_1) | instskip(NEXT) | instid1(VALU_DEP_1)
	v_max_i32_e32 v1, v0, v1
	v_mul_hi_u32 v7, v1, v7
	s_delay_alu instid0(VALU_DEP_1) | instskip(NEXT) | instid1(VALU_DEP_1)
	v_mul_lo_u32 v12, v7, v3
	v_sub_nc_u32_e32 v1, v1, v12
	v_add_nc_u32_e32 v12, 1, v7
	s_delay_alu instid0(VALU_DEP_2) | instskip(SKIP_1) | instid1(VALU_DEP_1)
	v_sub_nc_u32_e32 v13, v1, v3
	v_cmp_ge_u32_e64 s6, v1, v3
	v_cndmask_b32_e64 v7, v7, v12, s6
	s_delay_alu instid0(VALU_DEP_3) | instskip(SKIP_1) | instid1(VALU_DEP_3)
	v_cndmask_b32_e64 v1, v1, v13, s6
	v_ashrrev_i32_e32 v12, 31, v0
	v_add_nc_u32_e32 v13, 1, v7
	s_delay_alu instid0(VALU_DEP_3) | instskip(NEXT) | instid1(VALU_DEP_3)
	v_cmp_ge_u32_e64 s6, v1, v3
	v_xor_b32_e32 v6, v12, v6
	s_delay_alu instid0(VALU_DEP_2) | instskip(NEXT) | instid1(VALU_DEP_1)
	v_cndmask_b32_e64 v1, v7, v13, s6
	v_xor_b32_e32 v1, v1, v6
	s_delay_alu instid0(VALU_DEP_1) | instskip(NEXT) | instid1(VALU_DEP_1)
	v_sub_nc_u32_e32 v1, v1, v6
	v_mul_lo_u32 v2, v1, v2
	s_delay_alu instid0(VALU_DEP_1) | instskip(NEXT) | instid1(VALU_DEP_1)
	v_sub_nc_u32_e32 v0, v0, v2
	v_mul_lo_u32 v0, v0, v11
	ds_store_2addr_b32 v0, v0, v1 offset0:2 offset1:4
.LBB19_338:                             ;   in Loop: Header=BB19_326 Depth=2
	s_and_not1_saveexec_b32 s6, s13
	s_cbranch_execz .LBB19_340
; %bb.339:                              ;   in Loop: Header=BB19_326 Depth=2
	s_and_not1_b32 s13, s20, exec_lo
	s_and_b32 s20, vcc_lo, exec_lo
	ds_store_b32 v0, v81 offset:8
	s_or_b32 s20, s13, s20
.LBB19_340:                             ;   in Loop: Header=BB19_326 Depth=2
	s_or_b32 exec_lo, exec_lo, s6
	s_delay_alu instid0(SALU_CYCLE_1)
	s_and_b32 s6, s20, exec_lo
.LBB19_341:                             ;   in Loop: Header=BB19_326 Depth=2
	s_or_b32 exec_lo, exec_lo, s8
	s_delay_alu instid0(SALU_CYCLE_1)
	s_and_b32 s13, s6, exec_lo
                                        ; implicit-def: $vgpr11
.LBB19_342:                             ;   in Loop: Header=BB19_326 Depth=2
	s_and_not1_saveexec_b32 s20, s7
	s_cbranch_execz .LBB19_354
; %bb.343:                              ;   in Loop: Header=BB19_326 Depth=2
	s_clause 0x3
	scratch_load_b128 v[0:3], off, s32 offset:32
	scratch_load_b32 v6, off, s32 offset:68
	scratch_load_b32 v14, off, s32 offset:60
	scratch_load_b64 v[19:20], off, s32 offset:16
	s_waitcnt vmcnt(3)
	v_ashrrev_i32_e32 v15, 31, v3
	v_sub_nc_u32_e32 v12, 0, v1
	s_waitcnt vmcnt(2)
	v_mul_lo_u32 v17, v6, v9
	s_delay_alu instid0(VALU_DEP_3) | instskip(NEXT) | instid1(VALU_DEP_3)
	v_add_nc_u32_e32 v7, v3, v15
	v_max_i32_e32 v18, v1, v12
	s_delay_alu instid0(VALU_DEP_2) | instskip(NEXT) | instid1(VALU_DEP_2)
	v_xor_b32_e32 v16, v7, v15
	v_cvt_f32_u32_e32 v13, v18
	s_delay_alu instid0(VALU_DEP_2) | instskip(NEXT) | instid1(VALU_DEP_2)
	v_cvt_f32_u32_e32 v7, v16
	v_rcp_iflag_f32_e32 v13, v13
	s_waitcnt vmcnt(1)
	v_add_nc_u32_e32 v12, v17, v14
	v_sub_nc_u32_e32 v23, 0, v16
	v_rcp_iflag_f32_e32 v7, v7
	s_waitcnt_depctr 0xfff
	v_mul_f32_e32 v13, 0x4f7ffffe, v13
	v_ctz_i32_b32_e32 v21, v12
	v_cmp_eq_u32_e32 vcc_lo, 0, v12
	v_add_nc_u32_e32 v6, v12, v6
	v_mul_f32_e32 v22, 0x4f7ffffe, v7
	v_cvt_u32_f32_e32 v24, v13
	v_cndmask_b32_e32 v7, v21, v2, vcc_lo
	s_delay_alu instid0(VALU_DEP_4) | instskip(NEXT) | instid1(VALU_DEP_4)
	v_cmp_ge_i32_e64 s6, v6, v1
	v_cvt_u32_f32_e32 v21, v22
	v_sub_nc_u32_e32 v22, 0, v18
	v_cmp_gt_i32_e64 s7, v6, v1
	v_lshlrev_b32_e64 v2, v7, -1
	s_delay_alu instid0(VALU_DEP_4) | instskip(NEXT) | instid1(VALU_DEP_4)
	v_mul_lo_u32 v23, v23, v21
	v_mul_lo_u32 v22, v22, v24
	s_delay_alu instid0(VALU_DEP_3) | instskip(NEXT) | instid1(VALU_DEP_1)
	v_add_nc_u32_e32 v13, v2, v12
	v_add3_u32 v25, v0, v1, v13
	s_delay_alu instid0(VALU_DEP_4) | instskip(SKIP_2) | instid1(VALU_DEP_4)
	v_mul_hi_u32 v23, v21, v23
	v_sub_nc_u32_e32 v0, 0, v9
	v_mul_hi_u32 v22, v24, v22
	v_sub_nc_u32_e32 v26, 0, v25
	s_delay_alu instid0(VALU_DEP_3) | instskip(SKIP_1) | instid1(VALU_DEP_3)
	v_max_i32_e32 v27, v9, v0
	v_add_nc_u32_e32 v0, v21, v23
	v_max_i32_e32 v21, v25, v26
	v_add_nc_u32_e32 v22, v24, v22
	s_delay_alu instid0(VALU_DEP_3) | instskip(NEXT) | instid1(VALU_DEP_2)
	v_mul_hi_u32 v23, v27, v0
	v_mul_hi_u32 v22, v21, v22
	s_delay_alu instid0(VALU_DEP_2) | instskip(SKIP_1) | instid1(VALU_DEP_3)
	v_mul_lo_u32 v24, v23, v16
	v_add_nc_u32_e32 v26, 1, v23
	v_mul_lo_u32 v22, v22, v18
	s_delay_alu instid0(VALU_DEP_3) | instskip(SKIP_1) | instid1(VALU_DEP_3)
	v_sub_nc_u32_e32 v24, v27, v24
	v_ashrrev_i32_e32 v27, 31, v9
	v_sub_nc_u32_e32 v21, v21, v22
	s_delay_alu instid0(VALU_DEP_3) | instskip(SKIP_2) | instid1(VALU_DEP_4)
	v_sub_nc_u32_e32 v22, v24, v16
	v_cmp_ge_u32_e32 vcc_lo, v24, v16
	v_cndmask_b32_e32 v23, v23, v26, vcc_lo
	v_sub_nc_u32_e32 v26, v21, v18
	s_delay_alu instid0(VALU_DEP_4) | instskip(SKIP_1) | instid1(VALU_DEP_3)
	v_cndmask_b32_e32 v22, v24, v22, vcc_lo
	v_cmp_ge_u32_e32 vcc_lo, v21, v18
	v_dual_cndmask_b32 v21, v21, v26 :: v_dual_add_nc_u32 v24, 1, v23
	s_delay_alu instid0(VALU_DEP_3) | instskip(SKIP_1) | instid1(VALU_DEP_3)
	v_cmp_ge_u32_e32 vcc_lo, v22, v16
	v_xor_b32_e32 v26, v27, v15
	v_cndmask_b32_e32 v22, v23, v24, vcc_lo
	s_delay_alu instid0(VALU_DEP_4) | instskip(SKIP_2) | instid1(VALU_DEP_4)
	v_sub_nc_u32_e32 v23, v21, v18
	v_cmp_ge_u32_e32 vcc_lo, v21, v18
	v_ashrrev_i32_e32 v24, 31, v25
	v_xor_b32_e32 v22, v22, v26
	s_delay_alu instid0(VALU_DEP_4) | instskip(SKIP_2) | instid1(VALU_DEP_4)
	v_cndmask_b32_e32 v18, v21, v23, vcc_lo
	v_cmp_eq_u32_e32 vcc_lo, 0, v7
	v_ctz_i32_b32_e32 v6, v13
	v_sub_nc_u32_e32 v23, v22, v26
	s_delay_alu instid0(VALU_DEP_4) | instskip(NEXT) | instid1(VALU_DEP_2)
	v_xor_b32_e32 v18, v18, v24
	v_mul_lo_u32 v21, v23, v3
	s_delay_alu instid0(VALU_DEP_2) | instskip(SKIP_1) | instid1(VALU_DEP_2)
	v_sub_nc_u32_e32 v22, v18, v24
	v_add_nc_u32_e32 v18, -1, v3
	v_ashrrev_i32_e32 v24, 31, v22
	s_delay_alu instid0(VALU_DEP_4)
	v_sub_nc_u32_e32 v26, v9, v21
	s_waitcnt vmcnt(0)
	v_mul_lo_u32 v25, v20, v22
	v_mad_u64_u32 v[20:21], null, v19, v22, v[4:5]
	v_mul_lo_u32 v19, v19, v24
	v_cmp_eq_u32_e64 s8, v26, v18
	v_mul_lo_u32 v22, v26, v11
	v_cndmask_b32_e64 v24, v23, 0, vcc_lo
	s_delay_alu instid0(VALU_DEP_3) | instskip(NEXT) | instid1(VALU_DEP_4)
	s_or_b32 s6, s8, s6
	v_add3_u32 v21, v25, v21, v19
	v_cndmask_b32_e64 v19, 0, 1, s6
	s_or_b32 s6, s8, s7
	s_delay_alu instid0(VALU_DEP_4)
	v_mov_b32_e32 v23, v22
	s_and_b32 s6, vcc_lo, s6
	s_mov_b32 s7, exec_lo
	v_cndmask_b32_e64 v25, 0, 1, s6
	ds_store_b64 v0, v[20:21] offset:48
	ds_store_b32 v0, v19 offset:24
	ds_store_2addr_b64 v0, v[6:7], v[22:23] offset1:1
	ds_store_b64 v0, v[24:25] offset:16
	v_cmpx_ne_u32_e32 0, v13
	s_xor_b32 s8, exec_lo, s7
	s_cbranch_execz .LBB19_349
; %bb.344:                              ;   in Loop: Header=BB19_326 Depth=2
	v_sub_nc_u32_e32 v7, 0, v14
	s_mov_b32 s21, exec_lo
	s_delay_alu instid0(VALU_DEP_1)
	v_cmpx_eq_u32_e64 v2, v7
	s_cbranch_execz .LBB19_348
; %bb.345:                              ;   in Loop: Header=BB19_326 Depth=2
	v_add_nc_u32_e32 v2, 1, v6
	s_delay_alu instid0(VALU_DEP_1) | instskip(NEXT) | instid1(VALU_DEP_1)
	v_ashrrev_i32_e32 v7, v2, v17
	v_sub_nc_u32_e32 v2, 0, v7
	s_delay_alu instid0(VALU_DEP_1) | instskip(NEXT) | instid1(VALU_DEP_1)
	v_max_i32_e32 v2, v7, v2
	v_mul_hi_u32 v0, v2, v0
	s_delay_alu instid0(VALU_DEP_1) | instskip(NEXT) | instid1(VALU_DEP_1)
	v_mul_lo_u32 v14, v0, v16
	v_sub_nc_u32_e32 v2, v2, v14
	v_add_nc_u32_e32 v14, 1, v0
	s_delay_alu instid0(VALU_DEP_2) | instskip(SKIP_1) | instid1(VALU_DEP_1)
	v_sub_nc_u32_e32 v17, v2, v16
	v_cmp_ge_u32_e64 s6, v2, v16
	v_cndmask_b32_e64 v0, v0, v14, s6
	s_delay_alu instid0(VALU_DEP_3) | instskip(SKIP_1) | instid1(VALU_DEP_3)
	v_cndmask_b32_e64 v2, v2, v17, s6
	v_ashrrev_i32_e32 v14, 31, v7
	v_add_nc_u32_e32 v17, 1, v0
	s_delay_alu instid0(VALU_DEP_3) | instskip(NEXT) | instid1(VALU_DEP_3)
	v_cmp_ge_u32_e64 s6, v2, v16
	v_xor_b32_e32 v14, v14, v15
	s_delay_alu instid0(VALU_DEP_2) | instskip(NEXT) | instid1(VALU_DEP_1)
	v_cndmask_b32_e64 v0, v0, v17, s6
	v_xor_b32_e32 v0, v0, v14
	s_delay_alu instid0(VALU_DEP_1) | instskip(NEXT) | instid1(VALU_DEP_1)
	v_sub_nc_u32_e32 v2, v0, v14
	v_mul_lo_u32 v0, v2, v3
	v_mov_b32_e32 v3, 0
	s_delay_alu instid0(VALU_DEP_2) | instskip(NEXT) | instid1(VALU_DEP_1)
	v_sub_nc_u32_e32 v0, v7, v0
	v_mul_lo_u32 v11, v0, v11
	ds_store_b32 v0, v11 offset:8
	s_and_saveexec_b32 s22, vcc_lo
; %bb.346:                              ;   in Loop: Header=BB19_326 Depth=2
	v_lshlrev_b32_e32 v2, 1, v7
	v_cmp_eq_u32_e64 s6, v0, v18
	s_delay_alu instid0(VALU_DEP_2) | instskip(NEXT) | instid1(VALU_DEP_1)
	v_add_lshl_u32 v2, v2, 3, v6
	v_cmp_ge_i32_e64 s7, v2, v1
	v_mov_b32_e32 v2, 0
	s_delay_alu instid0(VALU_DEP_2) | instskip(NEXT) | instid1(SALU_CYCLE_1)
	s_or_b32 s6, s6, s7
	v_cndmask_b32_e64 v3, 0, 1, s6
; %bb.347:                              ;   in Loop: Header=BB19_326 Depth=2
	s_or_b32 exec_lo, exec_lo, s22
	ds_store_b64 v0, v[2:3] offset:16
.LBB19_348:                             ;   in Loop: Header=BB19_326 Depth=2
	s_or_b32 exec_lo, exec_lo, s21
.LBB19_349:                             ;   in Loop: Header=BB19_326 Depth=2
	s_and_not1_saveexec_b32 s6, s8
	s_cbranch_execz .LBB19_351
; %bb.350:                              ;   in Loop: Header=BB19_326 Depth=2
	ds_store_2addr_b32 v0, v81, v32 offset0:2 offset1:5
.LBB19_351:                             ;   in Loop: Header=BB19_326 Depth=2
	s_or_b32 exec_lo, exec_lo, s6
	v_cmp_ge_i32_e64 s7, v12, v1
	v_cmp_lt_i32_e64 s6, v13, v1
	s_delay_alu instid0(VALU_DEP_1) | instskip(NEXT) | instid1(SALU_CYCLE_1)
	s_and_b32 s6, s7, s6
	s_and_b32 s8, vcc_lo, s6
	s_delay_alu instid0(SALU_CYCLE_1)
	s_and_saveexec_b32 s6, s8
	s_cbranch_execz .LBB19_353
; %bb.352:                              ;   in Loop: Header=BB19_326 Depth=2
	s_and_not1_b32 s7, s7, exec_lo
	ds_store_2addr_b32 v0, v81, v81 offset0:1 offset1:3
	ds_store_b32 v0, v32 offset:24
.LBB19_353:                             ;   in Loop: Header=BB19_326 Depth=2
	s_or_b32 exec_lo, exec_lo, s6
	s_delay_alu instid0(SALU_CYCLE_1) | instskip(SKIP_1) | instid1(SALU_CYCLE_1)
	s_and_not1_b32 s6, s13, exec_lo
	s_and_b32 s7, s7, exec_lo
	s_or_b32 s13, s6, s7
.LBB19_354:                             ;   in Loop: Header=BB19_326 Depth=2
	s_or_b32 exec_lo, exec_lo, s20
	s_delay_alu instid0(SALU_CYCLE_1)
	s_and_b32 s6, s13, exec_lo
                                        ; implicit-def: $vgpr11
.LBB19_355:                             ;   in Loop: Header=BB19_326 Depth=2
	s_and_not1_saveexec_b32 s7, s12
	s_cbranch_execz .LBB19_361
; %bb.356:                              ;   in Loop: Header=BB19_326 Depth=2
	s_mov_b32 s12, 0
	s_mov_b32 s8, exec_lo
	v_cmpx_eq_u32_e32 0, v8
	s_cbranch_execz .LBB19_360
; %bb.357:                              ;   in Loop: Header=BB19_326 Depth=2
	s_clause 0x4
	scratch_load_b64 v[0:1], off, s32 offset:32
	scratch_load_b32 v15, off, s32 offset:44
	scratch_load_b32 v7, off, s32 offset:60
	;; [unrolled: 1-line block ×3, first 2 shown]
	scratch_load_b64 v[12:13], off, s32 offset:16
	v_mov_b32_e32 v33, v32
	s_mov_b32 s12, exec_lo
	s_waitcnt vmcnt(4)
	v_sub_nc_u32_e32 v2, 0, v1
	s_waitcnt vmcnt(3)
	v_sub_nc_u32_e32 v3, 0, v15
	s_delay_alu instid0(VALU_DEP_2) | instskip(NEXT) | instid1(VALU_DEP_2)
	v_max_i32_e32 v14, v1, v2
	v_max_i32_e32 v16, v15, v3
	s_delay_alu instid0(VALU_DEP_2) | instskip(NEXT) | instid1(VALU_DEP_2)
	v_cvt_f32_u32_e32 v2, v14
	v_cvt_f32_u32_e32 v3, v16
	v_sub_nc_u32_e32 v17, 0, v14
	s_delay_alu instid0(VALU_DEP_3) | instskip(NEXT) | instid1(VALU_DEP_2)
	v_rcp_iflag_f32_e32 v2, v2
	v_rcp_iflag_f32_e32 v18, v3
	s_waitcnt_depctr 0xfff
	v_mul_f32_e32 v2, 0x4f7ffffe, v2
	s_delay_alu instid0(VALU_DEP_1) | instskip(SKIP_3) | instid1(VALU_DEP_3)
	v_cvt_u32_f32_e32 v19, v2
	s_waitcnt vmcnt(1)
	v_mad_u64_u32 v[2:3], null, v6, v9, v[7:8]
	v_mul_f32_e32 v7, 0x4f7ffffe, v18
	v_mul_lo_u32 v3, v17, v19
	v_sub_nc_u32_e32 v17, 0, v16
	s_delay_alu instid0(VALU_DEP_3) | instskip(SKIP_1) | instid1(VALU_DEP_2)
	v_cvt_u32_f32_e32 v7, v7
	v_add_nc_u32_e32 v0, v0, v2
	v_mul_lo_u32 v17, v17, v7
	v_mul_hi_u32 v3, v19, v3
	s_delay_alu instid0(VALU_DEP_3) | instskip(NEXT) | instid1(VALU_DEP_1)
	v_sub_nc_u32_e32 v18, 0, v0
	v_max_i32_e32 v18, v0, v18
	s_delay_alu instid0(VALU_DEP_4) | instskip(NEXT) | instid1(VALU_DEP_4)
	v_mul_hi_u32 v17, v7, v17
	v_add_nc_u32_e32 v3, v19, v3
	v_sub_nc_u32_e32 v19, 0, v9
	s_delay_alu instid0(VALU_DEP_2) | instskip(NEXT) | instid1(VALU_DEP_2)
	v_mul_hi_u32 v3, v18, v3
	v_max_i32_e32 v19, v9, v19
	v_add_nc_u32_e32 v7, v7, v17
	s_delay_alu instid0(VALU_DEP_1) | instskip(NEXT) | instid1(VALU_DEP_4)
	v_mul_hi_u32 v7, v19, v7
	v_mul_lo_u32 v3, v3, v14
	s_delay_alu instid0(VALU_DEP_2) | instskip(NEXT) | instid1(VALU_DEP_2)
	v_mul_lo_u32 v7, v7, v16
	v_sub_nc_u32_e32 v3, v18, v3
	s_delay_alu instid0(VALU_DEP_1) | instskip(SKIP_1) | instid1(VALU_DEP_4)
	v_sub_nc_u32_e32 v17, v3, v14
	v_cmp_ge_u32_e32 vcc_lo, v3, v14
	v_sub_nc_u32_e32 v7, v19, v7
	s_delay_alu instid0(VALU_DEP_3) | instskip(SKIP_1) | instid1(VALU_DEP_2)
	v_cndmask_b32_e32 v3, v3, v17, vcc_lo
	v_ashrrev_i32_e32 v0, 31, v0
	v_sub_nc_u32_e32 v17, v3, v14
	v_cmp_ge_u32_e32 vcc_lo, v3, v14
	v_sub_nc_u32_e32 v14, v7, v16
	s_delay_alu instid0(VALU_DEP_3) | instskip(SKIP_2) | instid1(VALU_DEP_3)
	v_cndmask_b32_e32 v3, v3, v17, vcc_lo
	v_cmp_ge_u32_e32 vcc_lo, v7, v16
	v_ashrrev_i32_e32 v17, 31, v9
	v_xor_b32_e32 v3, v3, v0
	v_cndmask_b32_e32 v7, v7, v14, vcc_lo
	s_delay_alu instid0(VALU_DEP_2) | instskip(NEXT) | instid1(VALU_DEP_2)
	v_sub_nc_u32_e32 v0, v3, v0
	v_sub_nc_u32_e32 v3, v7, v16
	v_cmp_ge_u32_e32 vcc_lo, v7, v16
	s_delay_alu instid0(VALU_DEP_3) | instskip(NEXT) | instid1(VALU_DEP_3)
	v_ashrrev_i32_e32 v18, 31, v0
	v_cndmask_b32_e32 v3, v7, v3, vcc_lo
	s_waitcnt vmcnt(0)
	v_mul_lo_u32 v7, v13, v0
	v_mad_u64_u32 v[13:14], null, v12, v0, v[4:5]
	v_mul_lo_u32 v0, v12, v18
	v_xor_b32_e32 v3, v3, v17
	v_mov_b32_e32 v12, v81
	s_delay_alu instid0(VALU_DEP_2) | instskip(NEXT) | instid1(VALU_DEP_4)
	v_sub_nc_u32_e32 v3, v3, v17
	v_add3_u32 v14, v7, v14, v0
	v_add_nc_u32_e32 v7, -1, v15
	s_delay_alu instid0(VALU_DEP_3)
	v_mul_lo_u32 v11, v3, v11
	ds_store_2addr_b64 v0, v[32:33], v[13:14] offset0:5 offset1:6
	v_dual_mov_b32 v0, 1 :: v_dual_mov_b32 v33, v81
	ds_store_2addr_b64 v0, v[32:33], v[11:12] offset1:1
	ds_store_b32 v0, v32 offset:16
	v_cmpx_ne_u32_e64 v3, v7
; %bb.358:                              ;   in Loop: Header=BB19_326 Depth=2
	v_add_nc_u32_e32 v0, v2, v6
	s_delay_alu instid0(VALU_DEP_1)
	v_cmp_ge_i32_e32 vcc_lo, v0, v1
	v_cndmask_b32_e64 v0, 0, 1, vcc_lo
; %bb.359:                              ;   in Loop: Header=BB19_326 Depth=2
	s_or_b32 exec_lo, exec_lo, s12
	v_cmp_ge_i32_e32 vcc_lo, v2, v1
	ds_store_2addr_b32 v0, v0, v32 offset0:5 offset1:6
	s_and_b32 s12, vcc_lo, exec_lo
.LBB19_360:                             ;   in Loop: Header=BB19_326 Depth=2
	s_or_b32 exec_lo, exec_lo, s8
	s_delay_alu instid0(SALU_CYCLE_1) | instskip(SKIP_1) | instid1(SALU_CYCLE_1)
	s_and_not1_b32 s6, s6, exec_lo
	s_and_b32 s8, s12, exec_lo
	s_or_b32 s6, s6, s8
.LBB19_361:                             ;   in Loop: Header=BB19_326 Depth=2
	s_or_b32 exec_lo, exec_lo, s7
	s_delay_alu instid0(SALU_CYCLE_1)
	s_or_not1_b32 s7, s6, exec_lo
.LBB19_362:                             ;   in Loop: Header=BB19_326 Depth=2
	s_or_b32 exec_lo, exec_lo, s11
	scratch_load_b32 v0, off, s32 offset:52
	v_add_nc_u32_e32 v1, 1, v9
                                        ; implicit-def: $sgpr11
	s_mov_b32 s6, exec_lo
	scratch_store_b32 off, v1, s32 offset:64
	s_waitcnt vmcnt(0)
	v_max_i32_e32 v2, v10, v0
	s_delay_alu instid0(VALU_DEP_1)
	v_cmpx_le_i32_e64 v2, v1
	s_xor_b32 s8, exec_lo, s6
	s_cbranch_execz .LBB19_414
; %bb.363:                              ;   in Loop: Header=BB19_326 Depth=2
	s_mov_b32 s6, exec_lo
                                        ; implicit-def: $vgpr2
	v_cmpx_lt_i32_e32 1, v8
	s_xor_b32 s6, exec_lo, s6
	s_cbranch_execz .LBB19_367
; %bb.364:                              ;   in Loop: Header=BB19_326 Depth=2
	v_mov_b32_e32 v2, 1
	s_mov_b32 s11, exec_lo
	v_cmpx_eq_u32_e32 2, v8
	s_cbranch_execz .LBB19_366
; %bb.365:                              ;   in Loop: Header=BB19_326 Depth=2
	scratch_load_b32 v0, off, s32 offset:72
	s_waitcnt vmcnt(0)
	v_lshrrev_b32_e32 v1, 31, v0
	s_delay_alu instid0(VALU_DEP_1) | instskip(SKIP_1) | instid1(VALU_DEP_2)
	v_add_nc_u32_e32 v1, v0, v1
	v_add_nc_u32_e32 v0, 1, v0
	v_ashrrev_i32_e32 v1, 1, v1
	s_delay_alu instid0(VALU_DEP_2)
	v_cmp_gt_u32_e32 vcc_lo, 3, v0
	scratch_store_b32 off, v1, s32 offset:72
	v_cndmask_b32_e64 v2, 2, 1, vcc_lo
.LBB19_366:                             ;   in Loop: Header=BB19_326 Depth=2
	s_or_b32 exec_lo, exec_lo, s11
.LBB19_367:                             ;   in Loop: Header=BB19_326 Depth=2
	s_and_not1_saveexec_b32 s6, s6
	s_cbranch_execz .LBB19_371
; %bb.368:                              ;   in Loop: Header=BB19_326 Depth=2
	v_mov_b32_e32 v2, 1
	s_mov_b32 s11, exec_lo
	v_cmpx_eq_u32_e32 1, v8
	s_cbranch_execz .LBB19_370
; %bb.369:                              ;   in Loop: Header=BB19_326 Depth=2
	scratch_load_b32 v0, off, s32 offset:60
	s_waitcnt vmcnt(0)
	v_and_b32_e32 v0, 0x80000001, v0
	s_delay_alu instid0(VALU_DEP_1)
	v_cmp_ne_u32_e32 vcc_lo, 1, v0
	v_cndmask_b32_e64 v2, 0, 1, vcc_lo
.LBB19_370:                             ;   in Loop: Header=BB19_326 Depth=2
	s_or_b32 exec_lo, exec_lo, s11
.LBB19_371:                             ;   in Loop: Header=BB19_326 Depth=2
	s_delay_alu instid0(SALU_CYCLE_1)
	s_or_b32 exec_lo, exec_lo, s6
	v_cmp_eq_u32_e32 vcc_lo, 0, v8
	v_cmp_ne_u32_e64 s12, 0, v8
	s_mov_b32 s6, -1
	scratch_store_b32 off, v2, s32 offset:76
	s_and_saveexec_b32 s11, s12
	s_cbranch_execz .LBB19_381
; %bb.372:                              ;   in Loop: Header=BB19_326 Depth=2
	s_mov_b32 s20, 0
	s_mov_b32 s13, exec_lo
	v_cmpx_eq_u32_e32 1, v8
	s_cbranch_execz .LBB19_374
; %bb.373:                              ;   in Loop: Header=BB19_326 Depth=2
	scratch_load_b32 v0, off, s32 offset:60
	s_waitcnt vmcnt(0)
	v_and_b32_e32 v0, 1, v0
	s_delay_alu instid0(VALU_DEP_1) | instskip(NEXT) | instid1(VALU_DEP_1)
	v_cmp_eq_u32_e64 s6, 0, v0
	s_and_b32 s20, s6, exec_lo
.LBB19_374:                             ;   in Loop: Header=BB19_326 Depth=2
	s_or_b32 exec_lo, exec_lo, s13
	s_delay_alu instid0(SALU_CYCLE_1)
	s_or_not1_b32 s6, s20, exec_lo
	s_or_b32 exec_lo, exec_lo, s11
	s_and_saveexec_b32 s11, s6
	s_cbranch_execnz .LBB19_382
.LBB19_375:                             ;   in Loop: Header=BB19_326 Depth=2
	s_or_b32 exec_lo, exec_lo, s11
	s_mov_b32 s6, 0
	s_and_saveexec_b32 s11, vcc_lo
	s_cbranch_execz .LBB19_377
.LBB19_376:                             ;   in Loop: Header=BB19_326 Depth=2
	s_clause 0x1
	scratch_load_b32 v0, off, s32 offset:68
	scratch_load_b32 v1, off, s32 offset:60
	s_and_not1_b32 s12, s12, exec_lo
	s_mov_b32 s6, exec_lo
	s_waitcnt vmcnt(1)
	v_lshrrev_b32_e32 v3, 31, v0
	s_delay_alu instid0(VALU_DEP_1) | instskip(NEXT) | instid1(VALU_DEP_1)
	v_add_nc_u32_e32 v0, v0, v3
	v_ashrrev_i32_e32 v0, 1, v0
	s_waitcnt vmcnt(0)
	s_delay_alu instid0(VALU_DEP_1) | instskip(SKIP_1) | instid1(SALU_CYCLE_1)
	v_cmp_ne_u32_e32 vcc_lo, v1, v0
	s_and_b32 s13, vcc_lo, exec_lo
	s_or_b32 s12, s12, s13
.LBB19_377:                             ;   in Loop: Header=BB19_326 Depth=2
	s_or_b32 exec_lo, exec_lo, s11
                                        ; implicit-def: $sgpr11
	s_and_saveexec_b32 s13, s12
	s_delay_alu instid0(SALU_CYCLE_1)
	s_xor_b32 s12, exec_lo, s13
	s_cbranch_execz .LBB19_391
; %bb.378:                              ;   in Loop: Header=BB19_326 Depth=2
	scratch_load_b32 v0, off, s32 offset:56
	s_mov_b32 s11, exec_lo
	scratch_store_b32 off, v32, s32 offset:64
	s_waitcnt vmcnt(0)
	scratch_store_b32 off, v0, s32 offset:48
	v_cmpx_lt_u32_e32 1, v2
	s_cbranch_execz .LBB19_380
; %bb.379:                              ;   in Loop: Header=BB19_326 Depth=2
	scratch_load_b32 v1, off, s32 offset:72
	v_sub_nc_u32_e32 v7, 0, v0
	s_delay_alu instid0(VALU_DEP_1) | instskip(SKIP_2) | instid1(VALU_DEP_1)
	v_max_i32_e32 v7, v0, v7
	s_waitcnt vmcnt(0)
	v_lshlrev_b32_e32 v1, 1, v1
	v_sub_nc_u32_e32 v2, 0, v1
	v_xor_b32_e32 v0, v0, v1
	s_delay_alu instid0(VALU_DEP_2) | instskip(NEXT) | instid1(VALU_DEP_2)
	v_max_i32_e32 v2, v1, v2
	v_ashrrev_i32_e32 v0, 31, v0
	s_delay_alu instid0(VALU_DEP_2) | instskip(SKIP_1) | instid1(VALU_DEP_2)
	v_cvt_f32_u32_e32 v3, v2
	v_sub_nc_u32_e32 v6, 0, v2
	v_rcp_iflag_f32_e32 v3, v3
	s_waitcnt_depctr 0xfff
	v_mul_f32_e32 v3, 0x4f7ffffe, v3
	s_delay_alu instid0(VALU_DEP_1) | instskip(NEXT) | instid1(VALU_DEP_1)
	v_cvt_u32_f32_e32 v3, v3
	v_mul_lo_u32 v6, v6, v3
	s_delay_alu instid0(VALU_DEP_1) | instskip(NEXT) | instid1(VALU_DEP_1)
	v_mul_hi_u32 v6, v3, v6
	v_add_nc_u32_e32 v3, v3, v6
	s_delay_alu instid0(VALU_DEP_1) | instskip(NEXT) | instid1(VALU_DEP_1)
	v_mul_hi_u32 v3, v7, v3
	v_mul_lo_u32 v6, v3, v2
	s_delay_alu instid0(VALU_DEP_1) | instskip(SKIP_1) | instid1(VALU_DEP_2)
	v_sub_nc_u32_e32 v6, v7, v6
	v_add_nc_u32_e32 v7, 1, v3
	v_sub_nc_u32_e32 v8, v6, v2
	v_cmp_ge_u32_e32 vcc_lo, v6, v2
	s_delay_alu instid0(VALU_DEP_3) | instskip(NEXT) | instid1(VALU_DEP_1)
	v_cndmask_b32_e32 v3, v3, v7, vcc_lo
	v_dual_cndmask_b32 v1, v6, v8 :: v_dual_add_nc_u32 v6, 1, v3
	s_delay_alu instid0(VALU_DEP_1) | instskip(NEXT) | instid1(VALU_DEP_2)
	v_cmp_ge_u32_e32 vcc_lo, v1, v2
	v_cndmask_b32_e32 v1, v3, v6, vcc_lo
	s_delay_alu instid0(VALU_DEP_1) | instskip(NEXT) | instid1(VALU_DEP_1)
	v_xor_b32_e32 v1, v1, v0
	v_sub_nc_u32_e32 v0, v1, v0
	scratch_store_b32 off, v0, s32 offset:48
.LBB19_380:                             ;   in Loop: Header=BB19_326 Depth=2
	s_or_b32 exec_lo, exec_lo, s11
	s_mov_b32 s11, 0
	s_and_not1_b32 s6, s6, exec_lo
	s_or_b32 exec_lo, exec_lo, s12
	s_and_saveexec_b32 s12, s6
	s_cbranch_execz .LBB19_413
	s_branch .LBB19_392
.LBB19_381:                             ;   in Loop: Header=BB19_326 Depth=2
	s_or_b32 exec_lo, exec_lo, s11
	s_and_saveexec_b32 s11, s6
	s_cbranch_execz .LBB19_375
.LBB19_382:                             ;   in Loop: Header=BB19_326 Depth=2
	scratch_load_b64 v[0:1], off, s32 offset:80
	s_mov_b32 s13, exec_lo
	s_waitcnt vmcnt(0)
	v_cmpx_lt_i32_e32 0, v0
	s_cbranch_execz .LBB19_407
; %bb.383:                              ;   in Loop: Header=BB19_326 Depth=2
	s_mov_b32 s20, 0
	s_mov_b32 s21, s19
	;; [unrolled: 1-line block ×3, first 2 shown]
	s_branch .LBB19_387
.LBB19_384:                             ;   in Loop: Header=BB19_387 Depth=3
	s_or_b32 exec_lo, exec_lo, s26
	v_add_nc_u32_e32 v1, 1, v6
	scratch_store_b32 off, v1, s21
.LBB19_385:                             ;   in Loop: Header=BB19_387 Depth=3
	s_or_b32 exec_lo, exec_lo, s24
	v_mov_b32_e32 v1, v3
.LBB19_386:                             ;   in Loop: Header=BB19_387 Depth=3
	s_or_b32 exec_lo, exec_lo, s23
	s_add_i32 s22, s22, 1
	s_add_i32 s21, s21, 4
	v_cmp_eq_u32_e64 s6, s22, v0
	s_delay_alu instid0(VALU_DEP_1) | instskip(NEXT) | instid1(SALU_CYCLE_1)
	s_or_b32 s20, s6, s20
	s_and_not1_b32 exec_lo, exec_lo, s20
	s_cbranch_execz .LBB19_406
.LBB19_387:                             ;   Parent Loop BB19_4 Depth=1
                                        ;     Parent Loop BB19_326 Depth=2
                                        ; =>    This Inner Loop Header: Depth=3
	scratch_load_b32 v3, off, s21 offset:-128
	s_mov_b32 s23, exec_lo
	s_waitcnt vmcnt(0)
	v_add_nc_u32_e32 v3, -1, v3
	scratch_store_b32 off, v3, s21 offset:-128
	v_cmpx_eq_u32_e32 0, v3
	s_cbranch_execz .LBB19_386
; %bb.388:                              ;   in Loop: Header=BB19_387 Depth=3
	s_lshl_b32 s25, 1, s22
	s_mov_b32 s24, exec_lo
	v_dual_mov_b32 v7, s25 :: v_dual_and_b32 v6, s25, v1
	v_xor_b32_e32 v3, s25, v1
	scratch_store_b32 off, v3, s32 offset:84
	scratch_store_b32 off, v7, s21 offset:-128
	v_cmpx_ne_u32_e32 0, v6
	s_cbranch_execz .LBB19_385
; %bb.389:                              ;   in Loop: Header=BB19_387 Depth=3
	scratch_load_b32 v6, off, s21
	s_mov_b32 s26, exec_lo
	s_waitcnt vmcnt(0)
	v_ctz_i32_b32_e32 v7, v6
	v_cmp_eq_u32_e64 s6, 0, v6
	s_delay_alu instid0(VALU_DEP_1) | instskip(NEXT) | instid1(VALU_DEP_1)
	v_cndmask_b32_e64 v7, v7, v0, s6
	v_add3_u32 v7, s25, -1, v7
	scratch_store_b32 off, v7, s21 offset:-128
	v_cmpx_eq_u32_e32 0, v7
	s_cbranch_execz .LBB19_384
; %bb.390:                              ;   in Loop: Header=BB19_387 Depth=3
	v_mov_b32_e32 v3, v1
	v_mov_b32_e32 v7, s25
	scratch_store_b32 off, v1, s32 offset:84
	scratch_store_b32 off, v7, s21 offset:-128
	s_branch .LBB19_384
.LBB19_391:                             ;   in Loop: Header=BB19_326 Depth=2
	s_or_b32 exec_lo, exec_lo, s12
	s_and_saveexec_b32 s12, s6
	s_cbranch_execz .LBB19_413
.LBB19_392:                             ;   in Loop: Header=BB19_326 Depth=2
	s_clause 0x1
	scratch_load_b32 v0, off, s32 offset:24
	scratch_load_b64 v[2:3], off, s32 offset:8
	s_mov_b32 s6, exec_lo
                                        ; implicit-def: $sgpr13
	s_waitcnt vmcnt(1)
	v_ashrrev_i32_e32 v1, 31, v0
	v_add_co_u32 v4, vcc_lo, v4, v0
	s_delay_alu instid0(VALU_DEP_2)
	v_add_co_ci_u32_e32 v5, vcc_lo, v5, v1, vcc_lo
	scratch_store_b64 off, v[4:5], s32
	s_waitcnt vmcnt(0)
	v_cmpx_le_u64_e64 v[2:3], v[4:5]
	s_xor_b32 s6, exec_lo, s6
	s_cbranch_execz .LBB19_394
; %bb.393:                              ;   in Loop: Header=BB19_326 Depth=2
	v_mov_b32_e32 v0, 2
	s_mov_b32 s13, -1
                                        ; implicit-def: $vgpr2_vgpr3
                                        ; implicit-def: $vgpr4
	ds_store_b32 v0, v0 offset:32
                                        ; implicit-def: $vgpr0_vgpr1
.LBB19_394:                             ;   in Loop: Header=BB19_326 Depth=2
	s_and_not1_saveexec_b32 s20, s6
	s_cbranch_execz .LBB19_412
; %bb.395:                              ;   in Loop: Header=BB19_326 Depth=2
	s_clause 0x1
	scratch_load_b32 v6, off, s32 offset:56
	scratch_load_b32 v7, off, s32 offset:80
	v_sub_co_u32 v2, vcc_lo, v2, v4
	v_sub_co_ci_u32_e32 v3, vcc_lo, v3, v5, vcc_lo
	s_mov_b32 s21, exec_lo
	s_delay_alu instid0(VALU_DEP_1) | instskip(SKIP_4) | instid1(VALU_DEP_2)
	v_cmp_lt_i64_e32 vcc_lo, v[0:1], v[2:3]
	v_dual_cndmask_b32 v3, v2, v0 :: v_dual_mov_b32 v2, 0
	s_waitcnt vmcnt(1)
	v_lshrrev_b32_e32 v8, 31, v6
	v_add_nc_u32_e32 v4, -2, v6
	v_add_nc_u32_e32 v5, v6, v8
	s_delay_alu instid0(VALU_DEP_2) | instskip(NEXT) | instid1(VALU_DEP_2)
	v_cmp_gt_u32_e32 vcc_lo, -3, v4
	v_ashrrev_i32_e32 v0, 1, v5
	v_cndmask_b32_e64 v1, 1, 2, vcc_lo
	s_clause 0x2
	scratch_store_b32 off, v3, s32 offset:28
	scratch_store_b64 off, v[0:1], s32 offset:72
	scratch_store_b32 off, v32, s32 offset:84
	s_waitcnt vmcnt(0)
	v_cmpx_lt_i32_e32 0, v7
	s_cbranch_execz .LBB19_409
; %bb.396:                              ;   in Loop: Header=BB19_326 Depth=2
	v_mov_b32_e32 v1, v7
	s_mov_b32 s22, 0
	s_mov_b32 s23, s19
.LBB19_397:                             ;   Parent Loop BB19_4 Depth=1
                                        ;     Parent Loop BB19_326 Depth=2
                                        ; =>    This Inner Loop Header: Depth=3
	s_clause 0x1
	scratch_store_b32 off, v1, s23 offset:-128
	scratch_store_b32 off, v35, s23
	v_add_nc_u32_e32 v1, -1, v1
	s_add_i32 s23, s23, 4
	s_delay_alu instid0(VALU_DEP_1) | instskip(NEXT) | instid1(VALU_DEP_1)
	v_cmp_eq_u32_e64 s6, 0, v1
	s_or_b32 s22, s6, s22
	s_delay_alu instid0(SALU_CYCLE_1)
	s_and_not1_b32 exec_lo, exec_lo, s22
	s_cbranch_execnz .LBB19_397
; %bb.398:                              ;   in Loop: Header=BB19_326 Depth=2
	s_or_b32 exec_lo, exec_lo, s22
	v_mov_b32_e32 v2, 0
	s_mov_b32 s22, 0
	s_mov_b32 s23, s19
	;; [unrolled: 1-line block ×3, first 2 shown]
	s_branch .LBB19_402
.LBB19_399:                             ;   in Loop: Header=BB19_402 Depth=3
	s_or_b32 exec_lo, exec_lo, s28
	v_add_nc_u32_e32 v2, 1, v3
	scratch_store_b32 off, v2, s23
.LBB19_400:                             ;   in Loop: Header=BB19_402 Depth=3
	s_or_b32 exec_lo, exec_lo, s26
	v_mov_b32_e32 v2, v1
.LBB19_401:                             ;   in Loop: Header=BB19_402 Depth=3
	s_or_b32 exec_lo, exec_lo, s25
	s_add_i32 s24, s24, 1
	s_add_i32 s23, s23, 4
	v_cmp_eq_u32_e64 s6, s24, v7
	s_delay_alu instid0(VALU_DEP_1) | instskip(NEXT) | instid1(SALU_CYCLE_1)
	s_or_b32 s22, s6, s22
	s_and_not1_b32 exec_lo, exec_lo, s22
	s_cbranch_execz .LBB19_408
.LBB19_402:                             ;   Parent Loop BB19_4 Depth=1
                                        ;     Parent Loop BB19_326 Depth=2
                                        ; =>    This Inner Loop Header: Depth=3
	scratch_load_b32 v1, off, s23 offset:-128
	s_mov_b32 s25, exec_lo
	s_waitcnt vmcnt(0)
	v_add_nc_u32_e32 v1, -1, v1
	scratch_store_b32 off, v1, s23 offset:-128
	v_cmpx_eq_u32_e32 0, v1
	s_cbranch_execz .LBB19_401
; %bb.403:                              ;   in Loop: Header=BB19_402 Depth=3
	s_lshl_b32 s27, 1, s24
	s_mov_b32 s26, exec_lo
	v_dual_mov_b32 v4, s27 :: v_dual_and_b32 v3, s27, v2
	v_xor_b32_e32 v1, s27, v2
	scratch_store_b32 off, v1, s32 offset:84
	scratch_store_b32 off, v4, s23 offset:-128
	v_cmpx_ne_u32_e32 0, v3
	s_cbranch_execz .LBB19_400
; %bb.404:                              ;   in Loop: Header=BB19_402 Depth=3
	scratch_load_b32 v3, off, s23
	s_mov_b32 s28, exec_lo
	s_waitcnt vmcnt(0)
	v_ctz_i32_b32_e32 v4, v3
	v_cmp_eq_u32_e64 s6, 0, v3
	s_delay_alu instid0(VALU_DEP_1) | instskip(NEXT) | instid1(VALU_DEP_1)
	v_cndmask_b32_e64 v4, v4, v7, s6
	v_add3_u32 v4, s27, -1, v4
	scratch_store_b32 off, v4, s23 offset:-128
	v_cmpx_eq_u32_e32 0, v4
	s_cbranch_execz .LBB19_399
; %bb.405:                              ;   in Loop: Header=BB19_402 Depth=3
	v_dual_mov_b32 v4, s27 :: v_dual_mov_b32 v1, v2
	scratch_store_b32 off, v2, s32 offset:84
	scratch_store_b32 off, v4, s23 offset:-128
	s_branch .LBB19_399
.LBB19_406:                             ;   in Loop: Header=BB19_326 Depth=2
	s_or_b32 exec_lo, exec_lo, s20
.LBB19_407:                             ;   in Loop: Header=BB19_326 Depth=2
	s_delay_alu instid0(SALU_CYCLE_1)
	s_or_b32 exec_lo, exec_lo, s13
	scratch_store_b32 off, v1, s32 offset:60
	s_or_b32 exec_lo, exec_lo, s11
	s_mov_b32 s6, 0
	s_and_saveexec_b32 s11, vcc_lo
	s_cbranch_execz .LBB19_377
	s_branch .LBB19_376
.LBB19_408:                             ;   in Loop: Header=BB19_326 Depth=2
	s_or_b32 exec_lo, exec_lo, s22
.LBB19_409:                             ;   in Loop: Header=BB19_326 Depth=2
	s_delay_alu instid0(SALU_CYCLE_1)
	s_or_b32 exec_lo, exec_lo, s21
	v_mov_b32_e32 v3, v32
	scratch_store_b64 off, v[2:3], s32 offset:60
	s_and_saveexec_b32 s6, vcc_lo
	s_cbranch_execz .LBB19_411
; %bb.410:                              ;   in Loop: Header=BB19_326 Depth=2
	v_ashrrev_i32_e32 v1, 31, v0
	v_sub_nc_u32_e32 v4, 0, v6
	s_delay_alu instid0(VALU_DEP_2) | instskip(NEXT) | instid1(VALU_DEP_2)
	v_lshl_add_u32 v0, v0, 1, v1
	v_max_i32_e32 v4, v6, v4
	s_delay_alu instid0(VALU_DEP_2) | instskip(NEXT) | instid1(VALU_DEP_1)
	v_xor_b32_e32 v0, v0, v1
	v_cvt_f32_u32_e32 v2, v0
	v_sub_nc_u32_e32 v3, 0, v0
	s_delay_alu instid0(VALU_DEP_2) | instskip(SKIP_2) | instid1(VALU_DEP_1)
	v_rcp_iflag_f32_e32 v2, v2
	s_waitcnt_depctr 0xfff
	v_mul_f32_e32 v2, 0x4f7ffffe, v2
	v_cvt_u32_f32_e32 v2, v2
	s_delay_alu instid0(VALU_DEP_1) | instskip(NEXT) | instid1(VALU_DEP_1)
	v_mul_lo_u32 v3, v3, v2
	v_mul_hi_u32 v3, v2, v3
	s_delay_alu instid0(VALU_DEP_1) | instskip(NEXT) | instid1(VALU_DEP_1)
	v_add_nc_u32_e32 v2, v2, v3
	v_mul_hi_u32 v2, v4, v2
	s_delay_alu instid0(VALU_DEP_1) | instskip(NEXT) | instid1(VALU_DEP_1)
	v_mul_lo_u32 v3, v2, v0
	v_sub_nc_u32_e32 v3, v4, v3
	v_add_nc_u32_e32 v4, 1, v2
	s_delay_alu instid0(VALU_DEP_2) | instskip(SKIP_1) | instid1(VALU_DEP_2)
	v_sub_nc_u32_e32 v5, v3, v0
	v_cmp_ge_u32_e32 vcc_lo, v3, v0
	v_dual_cndmask_b32 v3, v3, v5 :: v_dual_cndmask_b32 v2, v2, v4
	v_ashrrev_i32_e32 v4, 31, v6
	s_delay_alu instid0(VALU_DEP_2) | instskip(NEXT) | instid1(VALU_DEP_3)
	v_cmp_ge_u32_e32 vcc_lo, v3, v0
	v_add_nc_u32_e32 v5, 1, v2
	s_delay_alu instid0(VALU_DEP_3) | instskip(NEXT) | instid1(VALU_DEP_2)
	v_xor_b32_e32 v1, v4, v1
	v_cndmask_b32_e32 v0, v2, v5, vcc_lo
	s_delay_alu instid0(VALU_DEP_1) | instskip(NEXT) | instid1(VALU_DEP_1)
	v_xor_b32_e32 v0, v0, v1
	v_sub_nc_u32_e32 v6, v0, v1
.LBB19_411:                             ;   in Loop: Header=BB19_326 Depth=2
	s_or_b32 exec_lo, exec_lo, s6
	s_delay_alu instid0(SALU_CYCLE_1)
	s_and_not1_b32 s13, s13, exec_lo
	scratch_store_b32 off, v6, s32 offset:48
.LBB19_412:                             ;   in Loop: Header=BB19_326 Depth=2
	s_or_b32 exec_lo, exec_lo, s20
	s_delay_alu instid0(SALU_CYCLE_1) | instskip(SKIP_1) | instid1(SALU_CYCLE_1)
	s_and_not1_b32 s6, s11, exec_lo
	s_and_b32 s11, s13, exec_lo
	s_or_b32 s11, s6, s11
.LBB19_413:                             ;   in Loop: Header=BB19_326 Depth=2
	s_or_b32 exec_lo, exec_lo, s12
	s_delay_alu instid0(SALU_CYCLE_1)
	s_and_b32 s11, s11, exec_lo
                                        ; implicit-def: $vgpr8
                                        ; implicit-def: $vgpr4_vgpr5
                                        ; implicit-def: $vgpr10
                                        ; implicit-def: $vgpr0
                                        ; implicit-def: $vgpr9
.LBB19_414:                             ;   in Loop: Header=BB19_326 Depth=2
	s_and_not1_saveexec_b32 s8, s8
	s_cbranch_execz .LBB19_420
; %bb.415:                              ;   in Loop: Header=BB19_326 Depth=2
	scratch_load_b32 v1, off, s32 offset:60
	v_cmp_eq_u32_e32 vcc_lo, 0, v8
	s_waitcnt vmcnt(0)
	v_cmp_eq_u32_e64 s6, 1, v1
	s_delay_alu instid0(VALU_DEP_1) | instskip(NEXT) | instid1(SALU_CYCLE_1)
	s_and_b32 s12, vcc_lo, s6
	s_and_saveexec_b32 s6, s12
	s_cbranch_execz .LBB19_419
; %bb.416:                              ;   in Loop: Header=BB19_326 Depth=2
	s_clause 0x1
	scratch_load_b32 v3, off, s32 offset:24
	scratch_load_b64 v[1:2], off, s32 offset:8
	s_waitcnt vmcnt(1)
	v_ashrrev_i32_e32 v6, 31, v3
	v_add_co_u32 v3, vcc_lo, v4, v3
	s_delay_alu instid0(VALU_DEP_2) | instskip(SKIP_1) | instid1(VALU_DEP_1)
	v_add_co_ci_u32_e32 v4, vcc_lo, v5, v6, vcc_lo
	s_waitcnt vmcnt(0)
	v_cmp_ge_u64_e32 vcc_lo, v[3:4], v[1:2]
	s_and_b32 exec_lo, exec_lo, vcc_lo
	s_cbranch_execz .LBB19_419
; %bb.417:                              ;   in Loop: Header=BB19_326 Depth=2
	v_sub_nc_u32_e32 v1, 0, v0
	v_add_nc_u32_e32 v3, -1, v10
	v_sub_nc_u32_e32 v4, 1, v10
	s_delay_alu instid0(VALU_DEP_3) | instskip(NEXT) | instid1(VALU_DEP_2)
	v_max_i32_e32 v0, v0, v1
	v_max_i32_e32 v4, v3, v4
	s_delay_alu instid0(VALU_DEP_2) | instskip(SKIP_1) | instid1(VALU_DEP_2)
	v_cvt_f32_u32_e32 v1, v0
	v_sub_nc_u32_e32 v2, 0, v0
	v_rcp_iflag_f32_e32 v1, v1
	s_waitcnt_depctr 0xfff
	v_mul_f32_e32 v1, 0x4f7ffffe, v1
	s_delay_alu instid0(VALU_DEP_1) | instskip(NEXT) | instid1(VALU_DEP_1)
	v_cvt_u32_f32_e32 v1, v1
	v_mul_lo_u32 v2, v2, v1
	s_delay_alu instid0(VALU_DEP_1) | instskip(NEXT) | instid1(VALU_DEP_1)
	v_mul_hi_u32 v2, v1, v2
	v_add_nc_u32_e32 v1, v1, v2
	s_delay_alu instid0(VALU_DEP_1) | instskip(NEXT) | instid1(VALU_DEP_1)
	v_mul_hi_u32 v1, v4, v1
	v_mul_lo_u32 v1, v1, v0
	s_delay_alu instid0(VALU_DEP_1) | instskip(SKIP_1) | instid1(VALU_DEP_2)
	v_sub_nc_u32_e32 v1, v4, v1
	v_ashrrev_i32_e32 v4, 31, v3
	v_sub_nc_u32_e32 v2, v1, v0
	v_cmp_ge_u32_e32 vcc_lo, v1, v0
	s_delay_alu instid0(VALU_DEP_2) | instskip(NEXT) | instid1(VALU_DEP_1)
	v_cndmask_b32_e32 v1, v1, v2, vcc_lo
	v_sub_nc_u32_e32 v2, v1, v0
	v_cmp_ge_u32_e32 vcc_lo, v1, v0
	s_delay_alu instid0(VALU_DEP_2) | instskip(NEXT) | instid1(VALU_DEP_1)
	v_cndmask_b32_e32 v0, v1, v2, vcc_lo
	v_xor_b32_e32 v0, v0, v4
	s_delay_alu instid0(VALU_DEP_1) | instskip(NEXT) | instid1(VALU_DEP_1)
	v_sub_nc_u32_e32 v0, v4, v0
	v_add_nc_u32_e32 v0, v3, v0
	s_delay_alu instid0(VALU_DEP_1)
	v_cmp_ge_i32_e32 vcc_lo, v9, v0
	s_and_b32 exec_lo, exec_lo, vcc_lo
	s_cbranch_execz .LBB19_419
; %bb.418:                              ;   in Loop: Header=BB19_326 Depth=2
	ds_store_b32 v0, v35 offset:32
.LBB19_419:                             ;   in Loop: Header=BB19_326 Depth=2
	s_or_b32 exec_lo, exec_lo, s6
	s_delay_alu instid0(SALU_CYCLE_1)
	s_and_not1_b32 s11, s11, exec_lo
.LBB19_420:                             ;   in Loop: Header=BB19_326 Depth=2
	s_or_b32 exec_lo, exec_lo, s8
	v_cndmask_b32_e64 v0, 1, 3, s7
	s_add_i32 s10, s10, 1
	s_and_b32 s6, exec_lo, s11
	s_delay_alu instid0(SALU_CYCLE_1)
	s_or_b32 s9, s6, s9
	ds_store_b32 v0, v0 offset:36
	s_and_not1_b32 exec_lo, exec_lo, s9
	s_cbranch_execnz .LBB19_326
; %bb.421:                              ;   in Loop: Header=BB19_4 Depth=1
	s_or_b32 exec_lo, exec_lo, s9
.LBB19_422:                             ;   in Loop: Header=BB19_4 Depth=1
	s_delay_alu instid0(SALU_CYCLE_1)
	s_or_b32 exec_lo, exec_lo, s16
	s_cbranch_execnz .LBB19_433
; %bb.423:                              ;   in Loop: Header=BB19_4 Depth=1
	ds_load_b32 v0, v0
	s_add_i32 s18, s18, 1
	s_waitcnt lgkmcnt(0)
	v_cmp_lt_i32_e32 vcc_lo, s18, v0
	s_cbranch_vccnz .LBB19_4
.LBB19_424:
	v_readlane_b32 s30, v40, 1
	v_readlane_b32 s31, v40, 2
	;; [unrolled: 1-line block ×3, first 2 shown]
	s_or_saveexec_b32 s0, -1
	scratch_load_b32 v40, off, s32 offset:344 ; 4-byte Folded Reload
	s_mov_b32 exec_lo, s0
	s_waitcnt vmcnt(0)
	s_setpc_b64 s[30:31]
.LBB19_425:
	s_trap 2
	s_sendmsg_rtn_b32 s0, sendmsg(MSG_RTN_GET_DOORBELL)
	s_mov_b32 ttmp2, m0
	s_waitcnt lgkmcnt(0)
	s_and_b32 s0, s0, 0x3ff
	s_delay_alu instid0(SALU_CYCLE_1) | instskip(NEXT) | instid1(SALU_CYCLE_1)
	s_bitset1_b32 s0, 10
	s_mov_b32 m0, s0
	s_sendmsg sendmsg(MSG_INTERRUPT)
	s_mov_b32 m0, ttmp2
.LBB19_426:                             ; =>This Inner Loop Header: Depth=1
	s_sethalt 5
	s_branch .LBB19_426
.LBB19_427:
	s_trap 2
	s_sendmsg_rtn_b32 s0, sendmsg(MSG_RTN_GET_DOORBELL)
	s_mov_b32 ttmp2, m0
	s_waitcnt lgkmcnt(0)
	s_and_b32 s0, s0, 0x3ff
	s_delay_alu instid0(SALU_CYCLE_1) | instskip(NEXT) | instid1(SALU_CYCLE_1)
	s_bitset1_b32 s0, 10
	s_mov_b32 m0, s0
	s_sendmsg sendmsg(MSG_INTERRUPT)
	s_mov_b32 m0, ttmp2
.LBB19_428:                             ; =>This Inner Loop Header: Depth=1
	s_sethalt 5
	s_branch .LBB19_428
.LBB19_429:
	s_trap 2
	s_sendmsg_rtn_b32 s0, sendmsg(MSG_RTN_GET_DOORBELL)
	s_mov_b32 ttmp2, m0
	s_waitcnt lgkmcnt(0)
	s_and_b32 s0, s0, 0x3ff
	s_delay_alu instid0(SALU_CYCLE_1) | instskip(NEXT) | instid1(SALU_CYCLE_1)
	s_bitset1_b32 s0, 10
	s_mov_b32 m0, s0
	s_sendmsg sendmsg(MSG_INTERRUPT)
	s_mov_b32 m0, ttmp2
.LBB19_430:                             ; =>This Inner Loop Header: Depth=1
	s_sethalt 5
	s_branch .LBB19_430
.LBB19_431:
	s_trap 2
	s_sendmsg_rtn_b32 s0, sendmsg(MSG_RTN_GET_DOORBELL)
	s_mov_b32 ttmp2, m0
	s_waitcnt lgkmcnt(0)
	s_and_b32 s0, s0, 0x3ff
	s_delay_alu instid0(SALU_CYCLE_1) | instskip(NEXT) | instid1(SALU_CYCLE_1)
	s_bitset1_b32 s0, 10
	s_mov_b32 m0, s0
	s_sendmsg sendmsg(MSG_INTERRUPT)
	s_mov_b32 m0, ttmp2
.LBB19_432:                             ; =>This Inner Loop Header: Depth=1
	s_sethalt 5
	s_branch .LBB19_432
.LBB19_433:
	s_trap 2
	s_sendmsg_rtn_b32 s0, sendmsg(MSG_RTN_GET_DOORBELL)
	s_mov_b32 ttmp2, m0
	s_waitcnt lgkmcnt(0)
	s_and_b32 s0, s0, 0x3ff
	s_delay_alu instid0(SALU_CYCLE_1) | instskip(NEXT) | instid1(SALU_CYCLE_1)
	s_bitset1_b32 s0, 10
	s_mov_b32 m0, s0
	s_sendmsg sendmsg(MSG_INTERRUPT)
	s_mov_b32 m0, ttmp2
.LBB19_434:                             ; =>This Inner Loop Header: Depth=1
	s_sethalt 5
	s_branch .LBB19_434
.LBB19_435:
	s_trap 2
	s_sendmsg_rtn_b32 s0, sendmsg(MSG_RTN_GET_DOORBELL)
	s_mov_b32 ttmp2, m0
	s_waitcnt lgkmcnt(0)
	s_and_b32 s0, s0, 0x3ff
	s_delay_alu instid0(SALU_CYCLE_1) | instskip(NEXT) | instid1(SALU_CYCLE_1)
	s_bitset1_b32 s0, 10
	s_mov_b32 m0, s0
	s_sendmsg sendmsg(MSG_INTERRUPT)
	s_mov_b32 m0, ttmp2
.LBB19_436:                             ; =>This Inner Loop Header: Depth=1
	s_sethalt 5
	s_branch .LBB19_436
.LBB19_437:
	s_trap 2
	s_sendmsg_rtn_b32 s0, sendmsg(MSG_RTN_GET_DOORBELL)
	s_mov_b32 ttmp2, m0
	s_waitcnt lgkmcnt(0)
	s_and_b32 s0, s0, 0x3ff
	s_delay_alu instid0(SALU_CYCLE_1) | instskip(NEXT) | instid1(SALU_CYCLE_1)
	s_bitset1_b32 s0, 10
	s_mov_b32 m0, s0
	s_sendmsg sendmsg(MSG_INTERRUPT)
	s_mov_b32 m0, ttmp2
.LBB19_438:                             ; =>This Inner Loop Header: Depth=1
	s_sethalt 5
	s_branch .LBB19_438
.LBB19_439:
	s_trap 2
	s_sendmsg_rtn_b32 s0, sendmsg(MSG_RTN_GET_DOORBELL)
	s_mov_b32 ttmp2, m0
	s_waitcnt lgkmcnt(0)
	s_and_b32 s0, s0, 0x3ff
	s_delay_alu instid0(SALU_CYCLE_1) | instskip(NEXT) | instid1(SALU_CYCLE_1)
	s_bitset1_b32 s0, 10
	s_mov_b32 m0, s0
	s_sendmsg sendmsg(MSG_INTERRUPT)
	s_mov_b32 m0, ttmp2
.LBB19_440:                             ; =>This Inner Loop Header: Depth=1
	s_sethalt 5
	s_branch .LBB19_440
.LBB19_441:
	s_trap 2
	s_sendmsg_rtn_b32 s0, sendmsg(MSG_RTN_GET_DOORBELL)
	s_mov_b32 ttmp2, m0
	s_waitcnt lgkmcnt(0)
	s_and_b32 s0, s0, 0x3ff
	s_delay_alu instid0(SALU_CYCLE_1) | instskip(NEXT) | instid1(SALU_CYCLE_1)
	s_bitset1_b32 s0, 10
	s_mov_b32 m0, s0
	s_sendmsg sendmsg(MSG_INTERRUPT)
	s_mov_b32 m0, ttmp2
.LBB19_442:                             ; =>This Inner Loop Header: Depth=1
	s_sethalt 5
	s_branch .LBB19_442
.LBB19_443:
	s_trap 2
	s_sendmsg_rtn_b32 s0, sendmsg(MSG_RTN_GET_DOORBELL)
	s_mov_b32 ttmp2, m0
	s_waitcnt lgkmcnt(0)
	s_and_b32 s0, s0, 0x3ff
	s_delay_alu instid0(SALU_CYCLE_1) | instskip(NEXT) | instid1(SALU_CYCLE_1)
	s_bitset1_b32 s0, 10
	s_mov_b32 m0, s0
	s_sendmsg sendmsg(MSG_INTERRUPT)
	s_mov_b32 m0, ttmp2
.LBB19_444:                             ; =>This Inner Loop Header: Depth=1
	s_sethalt 5
	s_branch .LBB19_444
.LBB19_445:
	s_trap 2
	s_sendmsg_rtn_b32 s0, sendmsg(MSG_RTN_GET_DOORBELL)
	s_mov_b32 ttmp2, m0
	s_waitcnt lgkmcnt(0)
	s_and_b32 s0, s0, 0x3ff
	s_delay_alu instid0(SALU_CYCLE_1) | instskip(NEXT) | instid1(SALU_CYCLE_1)
	s_bitset1_b32 s0, 10
	s_mov_b32 m0, s0
	s_sendmsg sendmsg(MSG_INTERRUPT)
	s_mov_b32 m0, ttmp2
.LBB19_446:                             ; =>This Inner Loop Header: Depth=1
	s_sethalt 5
	s_branch .LBB19_446
.LBB19_447:
	s_trap 2
	s_sendmsg_rtn_b32 s0, sendmsg(MSG_RTN_GET_DOORBELL)
	s_mov_b32 ttmp2, m0
	s_waitcnt lgkmcnt(0)
	s_and_b32 s0, s0, 0x3ff
	s_delay_alu instid0(SALU_CYCLE_1) | instskip(NEXT) | instid1(SALU_CYCLE_1)
	s_bitset1_b32 s0, 10
	s_mov_b32 m0, s0
	s_sendmsg sendmsg(MSG_INTERRUPT)
	s_mov_b32 m0, ttmp2
.LBB19_448:                             ; =>This Inner Loop Header: Depth=1
	s_sethalt 5
	s_branch .LBB19_448
.LBB19_449:
	s_trap 2
	s_sendmsg_rtn_b32 s0, sendmsg(MSG_RTN_GET_DOORBELL)
	s_mov_b32 ttmp2, m0
	s_waitcnt lgkmcnt(0)
	s_and_b32 s0, s0, 0x3ff
	s_delay_alu instid0(SALU_CYCLE_1) | instskip(NEXT) | instid1(SALU_CYCLE_1)
	s_bitset1_b32 s0, 10
	s_mov_b32 m0, s0
	s_sendmsg sendmsg(MSG_INTERRUPT)
	s_mov_b32 m0, ttmp2
.LBB19_450:                             ; =>This Inner Loop Header: Depth=1
	s_sethalt 5
	s_branch .LBB19_450
.LBB19_451:
	s_trap 2
	s_sendmsg_rtn_b32 s0, sendmsg(MSG_RTN_GET_DOORBELL)
	s_mov_b32 ttmp2, m0
	s_waitcnt lgkmcnt(0)
	s_and_b32 s0, s0, 0x3ff
	s_delay_alu instid0(SALU_CYCLE_1) | instskip(NEXT) | instid1(SALU_CYCLE_1)
	s_bitset1_b32 s0, 10
	s_mov_b32 m0, s0
	s_sendmsg sendmsg(MSG_INTERRUPT)
	s_mov_b32 m0, ttmp2
.LBB19_452:                             ; =>This Inner Loop Header: Depth=1
	s_sethalt 5
	s_branch .LBB19_452
.LBB19_453:
	s_trap 2
	s_sendmsg_rtn_b32 s0, sendmsg(MSG_RTN_GET_DOORBELL)
	s_mov_b32 ttmp2, m0
	s_waitcnt lgkmcnt(0)
	s_and_b32 s0, s0, 0x3ff
	s_delay_alu instid0(SALU_CYCLE_1) | instskip(NEXT) | instid1(SALU_CYCLE_1)
	s_bitset1_b32 s0, 10
	s_mov_b32 m0, s0
	s_sendmsg sendmsg(MSG_INTERRUPT)
	s_mov_b32 m0, ttmp2
.LBB19_454:                             ; =>This Inner Loop Header: Depth=1
	s_sethalt 5
	s_branch .LBB19_454
.LBB19_455:
	s_trap 2
	s_sendmsg_rtn_b32 s0, sendmsg(MSG_RTN_GET_DOORBELL)
	s_mov_b32 ttmp2, m0
	s_waitcnt lgkmcnt(0)
	s_and_b32 s0, s0, 0x3ff
	s_delay_alu instid0(SALU_CYCLE_1) | instskip(NEXT) | instid1(SALU_CYCLE_1)
	s_bitset1_b32 s0, 10
	s_mov_b32 m0, s0
	s_sendmsg sendmsg(MSG_INTERRUPT)
	s_mov_b32 m0, ttmp2
.LBB19_456:                             ; =>This Inner Loop Header: Depth=1
	s_sethalt 5
	s_branch .LBB19_456
.LBB19_457:
	s_trap 2
	s_sendmsg_rtn_b32 s0, sendmsg(MSG_RTN_GET_DOORBELL)
	s_mov_b32 ttmp2, m0
	s_waitcnt lgkmcnt(0)
	s_and_b32 s0, s0, 0x3ff
	s_delay_alu instid0(SALU_CYCLE_1) | instskip(NEXT) | instid1(SALU_CYCLE_1)
	s_bitset1_b32 s0, 10
	s_mov_b32 m0, s0
	s_sendmsg sendmsg(MSG_INTERRUPT)
	s_mov_b32 m0, ttmp2
.LBB19_458:                             ; =>This Inner Loop Header: Depth=1
	s_sethalt 5
	s_branch .LBB19_458
.LBB19_459:
	s_trap 2
	s_sendmsg_rtn_b32 s0, sendmsg(MSG_RTN_GET_DOORBELL)
	s_mov_b32 ttmp2, m0
	s_waitcnt lgkmcnt(0)
	s_and_b32 s0, s0, 0x3ff
	s_delay_alu instid0(SALU_CYCLE_1) | instskip(NEXT) | instid1(SALU_CYCLE_1)
	s_bitset1_b32 s0, 10
	s_mov_b32 m0, s0
	s_sendmsg sendmsg(MSG_INTERRUPT)
	s_mov_b32 m0, ttmp2
.LBB19_460:                             ; =>This Inner Loop Header: Depth=1
	s_sethalt 5
	s_branch .LBB19_460
.LBB19_461:
	s_trap 2
	s_sendmsg_rtn_b32 s0, sendmsg(MSG_RTN_GET_DOORBELL)
	s_mov_b32 ttmp2, m0
	s_waitcnt lgkmcnt(0)
	s_and_b32 s0, s0, 0x3ff
	s_delay_alu instid0(SALU_CYCLE_1) | instskip(NEXT) | instid1(SALU_CYCLE_1)
	s_bitset1_b32 s0, 10
	s_mov_b32 m0, s0
	s_sendmsg sendmsg(MSG_INTERRUPT)
	s_mov_b32 m0, ttmp2
.LBB19_462:                             ; =>This Inner Loop Header: Depth=1
	s_sethalt 5
	s_branch .LBB19_462
.LBB19_463:
	s_trap 2
	s_sendmsg_rtn_b32 s0, sendmsg(MSG_RTN_GET_DOORBELL)
	s_mov_b32 ttmp2, m0
	s_waitcnt lgkmcnt(0)
	s_and_b32 s0, s0, 0x3ff
	s_delay_alu instid0(SALU_CYCLE_1) | instskip(NEXT) | instid1(SALU_CYCLE_1)
	s_bitset1_b32 s0, 10
	s_mov_b32 m0, s0
	s_sendmsg sendmsg(MSG_INTERRUPT)
	s_mov_b32 m0, ttmp2
.LBB19_464:                             ; =>This Inner Loop Header: Depth=1
	s_sethalt 5
	s_branch .LBB19_464
.LBB19_465:
	s_trap 2
	s_sendmsg_rtn_b32 s0, sendmsg(MSG_RTN_GET_DOORBELL)
	s_mov_b32 ttmp2, m0
	s_waitcnt lgkmcnt(0)
	s_and_b32 s0, s0, 0x3ff
	s_delay_alu instid0(SALU_CYCLE_1) | instskip(NEXT) | instid1(SALU_CYCLE_1)
	s_bitset1_b32 s0, 10
	s_mov_b32 m0, s0
	s_sendmsg sendmsg(MSG_INTERRUPT)
	s_mov_b32 m0, ttmp2
.LBB19_466:                             ; =>This Inner Loop Header: Depth=1
	s_sethalt 5
	s_branch .LBB19_466
.LBB19_467:
	s_trap 2
	s_sendmsg_rtn_b32 s0, sendmsg(MSG_RTN_GET_DOORBELL)
	s_mov_b32 ttmp2, m0
	s_waitcnt lgkmcnt(0)
	s_and_b32 s0, s0, 0x3ff
	s_delay_alu instid0(SALU_CYCLE_1) | instskip(NEXT) | instid1(SALU_CYCLE_1)
	s_bitset1_b32 s0, 10
	s_mov_b32 m0, s0
	s_sendmsg sendmsg(MSG_INTERRUPT)
	s_mov_b32 m0, ttmp2
.LBB19_468:                             ; =>This Inner Loop Header: Depth=1
	s_sethalt 5
	s_branch .LBB19_468
.LBB19_469:
	s_trap 2
	s_sendmsg_rtn_b32 s0, sendmsg(MSG_RTN_GET_DOORBELL)
	s_mov_b32 ttmp2, m0
	s_waitcnt lgkmcnt(0)
	s_and_b32 s0, s0, 0x3ff
	s_delay_alu instid0(SALU_CYCLE_1) | instskip(NEXT) | instid1(SALU_CYCLE_1)
	s_bitset1_b32 s0, 10
	s_mov_b32 m0, s0
	s_sendmsg sendmsg(MSG_INTERRUPT)
	s_mov_b32 m0, ttmp2
.LBB19_470:                             ; =>This Inner Loop Header: Depth=1
	s_sethalt 5
	s_branch .LBB19_470
.LBB19_471:
	s_trap 2
	s_sendmsg_rtn_b32 s0, sendmsg(MSG_RTN_GET_DOORBELL)
	s_mov_b32 ttmp2, m0
	s_waitcnt lgkmcnt(0)
	s_and_b32 s0, s0, 0x3ff
	s_delay_alu instid0(SALU_CYCLE_1) | instskip(NEXT) | instid1(SALU_CYCLE_1)
	s_bitset1_b32 s0, 10
	s_mov_b32 m0, s0
	s_sendmsg sendmsg(MSG_INTERRUPT)
	s_mov_b32 m0, ttmp2
.LBB19_472:                             ; =>This Inner Loop Header: Depth=1
	s_sethalt 5
	s_branch .LBB19_472
.LBB19_473:
	s_trap 2
	s_sendmsg_rtn_b32 s0, sendmsg(MSG_RTN_GET_DOORBELL)
	s_mov_b32 ttmp2, m0
	s_waitcnt lgkmcnt(0)
	s_and_b32 s0, s0, 0x3ff
	s_delay_alu instid0(SALU_CYCLE_1) | instskip(NEXT) | instid1(SALU_CYCLE_1)
	s_bitset1_b32 s0, 10
	s_mov_b32 m0, s0
	s_sendmsg sendmsg(MSG_INTERRUPT)
	s_mov_b32 m0, ttmp2
.LBB19_474:                             ; =>This Inner Loop Header: Depth=1
	s_sethalt 5
	s_branch .LBB19_474
.LBB19_475:
	s_trap 2
	s_sendmsg_rtn_b32 s0, sendmsg(MSG_RTN_GET_DOORBELL)
	s_mov_b32 ttmp2, m0
	s_waitcnt lgkmcnt(0)
	s_and_b32 s0, s0, 0x3ff
	s_delay_alu instid0(SALU_CYCLE_1) | instskip(NEXT) | instid1(SALU_CYCLE_1)
	s_bitset1_b32 s0, 10
	s_mov_b32 m0, s0
	s_sendmsg sendmsg(MSG_INTERRUPT)
	s_mov_b32 m0, ttmp2
.LBB19_476:                             ; =>This Inner Loop Header: Depth=1
	s_sethalt 5
	s_branch .LBB19_476
.LBB19_477:
	s_trap 2
	s_sendmsg_rtn_b32 s0, sendmsg(MSG_RTN_GET_DOORBELL)
	s_mov_b32 ttmp2, m0
	s_waitcnt lgkmcnt(0)
	s_and_b32 s0, s0, 0x3ff
	s_delay_alu instid0(SALU_CYCLE_1) | instskip(NEXT) | instid1(SALU_CYCLE_1)
	s_bitset1_b32 s0, 10
	s_mov_b32 m0, s0
	s_sendmsg sendmsg(MSG_INTERRUPT)
	s_mov_b32 m0, ttmp2
.LBB19_478:                             ; =>This Inner Loop Header: Depth=1
	s_sethalt 5
	s_branch .LBB19_478
.LBB19_479:
	s_trap 2
	s_sendmsg_rtn_b32 s0, sendmsg(MSG_RTN_GET_DOORBELL)
	s_mov_b32 ttmp2, m0
	s_waitcnt lgkmcnt(0)
	s_and_b32 s0, s0, 0x3ff
	s_delay_alu instid0(SALU_CYCLE_1) | instskip(NEXT) | instid1(SALU_CYCLE_1)
	s_bitset1_b32 s0, 10
	s_mov_b32 m0, s0
	s_sendmsg sendmsg(MSG_INTERRUPT)
	s_mov_b32 m0, ttmp2
.LBB19_480:                             ; =>This Inner Loop Header: Depth=1
	s_sethalt 5
	s_branch .LBB19_480
.LBB19_481:
	s_trap 2
	s_sendmsg_rtn_b32 s0, sendmsg(MSG_RTN_GET_DOORBELL)
	s_mov_b32 ttmp2, m0
	s_waitcnt lgkmcnt(0)
	s_and_b32 s0, s0, 0x3ff
	s_delay_alu instid0(SALU_CYCLE_1) | instskip(NEXT) | instid1(SALU_CYCLE_1)
	s_bitset1_b32 s0, 10
	s_mov_b32 m0, s0
	s_sendmsg sendmsg(MSG_INTERRUPT)
	s_mov_b32 m0, ttmp2
.LBB19_482:                             ; =>This Inner Loop Header: Depth=1
	s_sethalt 5
	s_branch .LBB19_482
.LBB19_483:
	s_trap 2
	s_sendmsg_rtn_b32 s0, sendmsg(MSG_RTN_GET_DOORBELL)
	s_mov_b32 ttmp2, m0
	s_waitcnt lgkmcnt(0)
	s_and_b32 s0, s0, 0x3ff
	s_delay_alu instid0(SALU_CYCLE_1) | instskip(NEXT) | instid1(SALU_CYCLE_1)
	s_bitset1_b32 s0, 10
	s_mov_b32 m0, s0
	s_sendmsg sendmsg(MSG_INTERRUPT)
	s_mov_b32 m0, ttmp2
.LBB19_484:                             ; =>This Inner Loop Header: Depth=1
	s_sethalt 5
	s_branch .LBB19_484
.LBB19_485:
	s_trap 2
	s_sendmsg_rtn_b32 s0, sendmsg(MSG_RTN_GET_DOORBELL)
	s_mov_b32 ttmp2, m0
	s_waitcnt lgkmcnt(0)
	s_and_b32 s0, s0, 0x3ff
	s_delay_alu instid0(SALU_CYCLE_1) | instskip(NEXT) | instid1(SALU_CYCLE_1)
	s_bitset1_b32 s0, 10
	s_mov_b32 m0, s0
	s_sendmsg sendmsg(MSG_INTERRUPT)
	s_mov_b32 m0, ttmp2
.LBB19_486:                             ; =>This Inner Loop Header: Depth=1
	s_sethalt 5
	s_branch .LBB19_486
.LBB19_487:
	s_trap 2
	s_sendmsg_rtn_b32 s0, sendmsg(MSG_RTN_GET_DOORBELL)
	s_mov_b32 ttmp2, m0
	s_waitcnt lgkmcnt(0)
	s_and_b32 s0, s0, 0x3ff
	s_delay_alu instid0(SALU_CYCLE_1) | instskip(NEXT) | instid1(SALU_CYCLE_1)
	s_bitset1_b32 s0, 10
	s_mov_b32 m0, s0
	s_sendmsg sendmsg(MSG_INTERRUPT)
	s_mov_b32 m0, ttmp2
.LBB19_488:                             ; =>This Inner Loop Header: Depth=1
	s_sethalt 5
	s_branch .LBB19_488
.LBB19_489:
	s_trap 2
	s_sendmsg_rtn_b32 s0, sendmsg(MSG_RTN_GET_DOORBELL)
	s_mov_b32 ttmp2, m0
	s_waitcnt lgkmcnt(0)
	s_and_b32 s0, s0, 0x3ff
	s_delay_alu instid0(SALU_CYCLE_1) | instskip(NEXT) | instid1(SALU_CYCLE_1)
	s_bitset1_b32 s0, 10
	s_mov_b32 m0, s0
	s_sendmsg sendmsg(MSG_INTERRUPT)
	s_mov_b32 m0, ttmp2
.LBB19_490:                             ; =>This Inner Loop Header: Depth=1
	s_sethalt 5
	s_branch .LBB19_490
.LBB19_491:
	s_trap 2
	s_sendmsg_rtn_b32 s0, sendmsg(MSG_RTN_GET_DOORBELL)
	s_mov_b32 ttmp2, m0
	s_waitcnt lgkmcnt(0)
	s_and_b32 s0, s0, 0x3ff
	s_delay_alu instid0(SALU_CYCLE_1) | instskip(NEXT) | instid1(SALU_CYCLE_1)
	s_bitset1_b32 s0, 10
	s_mov_b32 m0, s0
	s_sendmsg sendmsg(MSG_INTERRUPT)
	s_mov_b32 m0, ttmp2
.LBB19_492:                             ; =>This Inner Loop Header: Depth=1
	s_sethalt 5
	s_branch .LBB19_492
.LBB19_493:
	s_trap 2
	s_sendmsg_rtn_b32 s0, sendmsg(MSG_RTN_GET_DOORBELL)
	s_mov_b32 ttmp2, m0
	s_waitcnt lgkmcnt(0)
	s_and_b32 s0, s0, 0x3ff
	s_delay_alu instid0(SALU_CYCLE_1) | instskip(NEXT) | instid1(SALU_CYCLE_1)
	s_bitset1_b32 s0, 10
	s_mov_b32 m0, s0
	s_sendmsg sendmsg(MSG_INTERRUPT)
	s_mov_b32 m0, ttmp2
.LBB19_494:                             ; =>This Inner Loop Header: Depth=1
	s_sethalt 5
	s_branch .LBB19_494
.LBB19_495:
	s_trap 2
	s_sendmsg_rtn_b32 s0, sendmsg(MSG_RTN_GET_DOORBELL)
	s_mov_b32 ttmp2, m0
	s_waitcnt lgkmcnt(0)
	s_and_b32 s0, s0, 0x3ff
	s_delay_alu instid0(SALU_CYCLE_1) | instskip(NEXT) | instid1(SALU_CYCLE_1)
	s_bitset1_b32 s0, 10
	s_mov_b32 m0, s0
	s_sendmsg sendmsg(MSG_INTERRUPT)
	s_mov_b32 m0, ttmp2
.LBB19_496:                             ; =>This Inner Loop Header: Depth=1
	s_sethalt 5
	s_branch .LBB19_496
.LBB19_497:
	s_trap 2
	s_sendmsg_rtn_b32 s0, sendmsg(MSG_RTN_GET_DOORBELL)
	s_mov_b32 ttmp2, m0
	s_waitcnt lgkmcnt(0)
	s_and_b32 s0, s0, 0x3ff
	s_delay_alu instid0(SALU_CYCLE_1) | instskip(NEXT) | instid1(SALU_CYCLE_1)
	s_bitset1_b32 s0, 10
	s_mov_b32 m0, s0
	s_sendmsg sendmsg(MSG_INTERRUPT)
	s_mov_b32 m0, ttmp2
.LBB19_498:                             ; =>This Inner Loop Header: Depth=1
	s_sethalt 5
	s_branch .LBB19_498
.LBB19_499:
	s_trap 2
	s_sendmsg_rtn_b32 s0, sendmsg(MSG_RTN_GET_DOORBELL)
	s_mov_b32 ttmp2, m0
	s_waitcnt lgkmcnt(0)
	s_and_b32 s0, s0, 0x3ff
	s_delay_alu instid0(SALU_CYCLE_1) | instskip(NEXT) | instid1(SALU_CYCLE_1)
	s_bitset1_b32 s0, 10
	s_mov_b32 m0, s0
	s_sendmsg sendmsg(MSG_INTERRUPT)
	s_mov_b32 m0, ttmp2
.LBB19_500:                             ; =>This Inner Loop Header: Depth=1
	s_sethalt 5
	s_branch .LBB19_500
.LBB19_501:
	s_trap 2
	s_sendmsg_rtn_b32 s0, sendmsg(MSG_RTN_GET_DOORBELL)
	s_mov_b32 ttmp2, m0
	s_waitcnt lgkmcnt(0)
	s_and_b32 s0, s0, 0x3ff
	s_delay_alu instid0(SALU_CYCLE_1) | instskip(NEXT) | instid1(SALU_CYCLE_1)
	s_bitset1_b32 s0, 10
	s_mov_b32 m0, s0
	s_sendmsg sendmsg(MSG_INTERRUPT)
	s_mov_b32 m0, ttmp2
.LBB19_502:                             ; =>This Inner Loop Header: Depth=1
	s_sethalt 5
	s_branch .LBB19_502
.LBB19_503:
	s_trap 2
	s_sendmsg_rtn_b32 s0, sendmsg(MSG_RTN_GET_DOORBELL)
	s_mov_b32 ttmp2, m0
	s_waitcnt lgkmcnt(0)
	s_and_b32 s0, s0, 0x3ff
	s_delay_alu instid0(SALU_CYCLE_1) | instskip(NEXT) | instid1(SALU_CYCLE_1)
	s_bitset1_b32 s0, 10
	s_mov_b32 m0, s0
	s_sendmsg sendmsg(MSG_INTERRUPT)
	s_mov_b32 m0, ttmp2
.LBB19_504:                             ; =>This Inner Loop Header: Depth=1
	s_sethalt 5
	s_branch .LBB19_504
.LBB19_505:
	s_trap 2
	s_sendmsg_rtn_b32 s0, sendmsg(MSG_RTN_GET_DOORBELL)
	s_mov_b32 ttmp2, m0
	s_waitcnt lgkmcnt(0)
	s_and_b32 s0, s0, 0x3ff
	s_delay_alu instid0(SALU_CYCLE_1) | instskip(NEXT) | instid1(SALU_CYCLE_1)
	s_bitset1_b32 s0, 10
	s_mov_b32 m0, s0
	s_sendmsg sendmsg(MSG_INTERRUPT)
	s_mov_b32 m0, ttmp2
.LBB19_506:                             ; =>This Inner Loop Header: Depth=1
	s_sethalt 5
	s_branch .LBB19_506
.LBB19_507:
	s_trap 2
	s_sendmsg_rtn_b32 s0, sendmsg(MSG_RTN_GET_DOORBELL)
	s_mov_b32 ttmp2, m0
	s_waitcnt lgkmcnt(0)
	s_and_b32 s0, s0, 0x3ff
	s_delay_alu instid0(SALU_CYCLE_1) | instskip(NEXT) | instid1(SALU_CYCLE_1)
	s_bitset1_b32 s0, 10
	s_mov_b32 m0, s0
	s_sendmsg sendmsg(MSG_INTERRUPT)
	s_mov_b32 m0, ttmp2
.LBB19_508:                             ; =>This Inner Loop Header: Depth=1
	s_sethalt 5
	s_branch .LBB19_508
.LBB19_509:
	s_trap 2
	s_sendmsg_rtn_b32 s0, sendmsg(MSG_RTN_GET_DOORBELL)
	s_mov_b32 ttmp2, m0
	s_waitcnt lgkmcnt(0)
	s_and_b32 s0, s0, 0x3ff
	s_delay_alu instid0(SALU_CYCLE_1) | instskip(NEXT) | instid1(SALU_CYCLE_1)
	s_bitset1_b32 s0, 10
	s_mov_b32 m0, s0
	s_sendmsg sendmsg(MSG_INTERRUPT)
	s_mov_b32 m0, ttmp2
.LBB19_510:                             ; =>This Inner Loop Header: Depth=1
	s_sethalt 5
	s_branch .LBB19_510
.LBB19_511:
	s_trap 2
	s_sendmsg_rtn_b32 s0, sendmsg(MSG_RTN_GET_DOORBELL)
	s_mov_b32 ttmp2, m0
	s_waitcnt lgkmcnt(0)
	s_and_b32 s0, s0, 0x3ff
	s_delay_alu instid0(SALU_CYCLE_1) | instskip(NEXT) | instid1(SALU_CYCLE_1)
	s_bitset1_b32 s0, 10
	s_mov_b32 m0, s0
	s_sendmsg sendmsg(MSG_INTERRUPT)
	s_mov_b32 m0, ttmp2
.LBB19_512:                             ; =>This Inner Loop Header: Depth=1
	s_sethalt 5
	s_branch .LBB19_512
.LBB19_513:
	s_trap 2
	s_sendmsg_rtn_b32 s0, sendmsg(MSG_RTN_GET_DOORBELL)
	s_mov_b32 ttmp2, m0
	s_waitcnt lgkmcnt(0)
	s_and_b32 s0, s0, 0x3ff
	s_delay_alu instid0(SALU_CYCLE_1) | instskip(NEXT) | instid1(SALU_CYCLE_1)
	s_bitset1_b32 s0, 10
	s_mov_b32 m0, s0
	s_sendmsg sendmsg(MSG_INTERRUPT)
	s_mov_b32 m0, ttmp2
.LBB19_514:                             ; =>This Inner Loop Header: Depth=1
	s_sethalt 5
	s_branch .LBB19_514
.LBB19_515:
	s_trap 2
	s_sendmsg_rtn_b32 s0, sendmsg(MSG_RTN_GET_DOORBELL)
	s_mov_b32 ttmp2, m0
	s_waitcnt lgkmcnt(0)
	s_and_b32 s0, s0, 0x3ff
	s_delay_alu instid0(SALU_CYCLE_1) | instskip(NEXT) | instid1(SALU_CYCLE_1)
	s_bitset1_b32 s0, 10
	s_mov_b32 m0, s0
	s_sendmsg sendmsg(MSG_INTERRUPT)
	s_mov_b32 m0, ttmp2
.LBB19_516:                             ; =>This Inner Loop Header: Depth=1
	s_sethalt 5
	s_branch .LBB19_516
.LBB19_517:
	s_trap 2
	s_sendmsg_rtn_b32 s0, sendmsg(MSG_RTN_GET_DOORBELL)
	s_mov_b32 ttmp2, m0
	s_waitcnt lgkmcnt(0)
	s_and_b32 s0, s0, 0x3ff
	s_delay_alu instid0(SALU_CYCLE_1) | instskip(NEXT) | instid1(SALU_CYCLE_1)
	s_bitset1_b32 s0, 10
	s_mov_b32 m0, s0
	s_sendmsg sendmsg(MSG_INTERRUPT)
	s_mov_b32 m0, ttmp2
.LBB19_518:                             ; =>This Inner Loop Header: Depth=1
	s_sethalt 5
	s_branch .LBB19_518
.LBB19_519:
	s_trap 2
	s_sendmsg_rtn_b32 s0, sendmsg(MSG_RTN_GET_DOORBELL)
	s_mov_b32 ttmp2, m0
	s_waitcnt lgkmcnt(0)
	s_and_b32 s0, s0, 0x3ff
	s_delay_alu instid0(SALU_CYCLE_1) | instskip(NEXT) | instid1(SALU_CYCLE_1)
	s_bitset1_b32 s0, 10
	s_mov_b32 m0, s0
	s_sendmsg sendmsg(MSG_INTERRUPT)
	s_mov_b32 m0, ttmp2
.LBB19_520:                             ; =>This Inner Loop Header: Depth=1
	s_sethalt 5
	s_branch .LBB19_520
.LBB19_521:
	s_trap 2
	s_sendmsg_rtn_b32 s0, sendmsg(MSG_RTN_GET_DOORBELL)
	s_mov_b32 ttmp2, m0
	s_waitcnt lgkmcnt(0)
	s_and_b32 s0, s0, 0x3ff
	s_delay_alu instid0(SALU_CYCLE_1) | instskip(NEXT) | instid1(SALU_CYCLE_1)
	s_bitset1_b32 s0, 10
	s_mov_b32 m0, s0
	s_sendmsg sendmsg(MSG_INTERRUPT)
	s_mov_b32 m0, ttmp2
.LBB19_522:                             ; =>This Inner Loop Header: Depth=1
	s_sethalt 5
	s_branch .LBB19_522
.LBB19_523:
	s_trap 2
	s_sendmsg_rtn_b32 s0, sendmsg(MSG_RTN_GET_DOORBELL)
	s_mov_b32 ttmp2, m0
	s_waitcnt lgkmcnt(0)
	s_and_b32 s0, s0, 0x3ff
	s_delay_alu instid0(SALU_CYCLE_1) | instskip(NEXT) | instid1(SALU_CYCLE_1)
	s_bitset1_b32 s0, 10
	s_mov_b32 m0, s0
	s_sendmsg sendmsg(MSG_INTERRUPT)
	s_mov_b32 m0, ttmp2
.LBB19_524:                             ; =>This Inner Loop Header: Depth=1
	s_sethalt 5
	s_branch .LBB19_524
.LBB19_525:
	s_trap 2
	s_sendmsg_rtn_b32 s0, sendmsg(MSG_RTN_GET_DOORBELL)
	s_mov_b32 ttmp2, m0
	s_waitcnt lgkmcnt(0)
	s_and_b32 s0, s0, 0x3ff
	s_delay_alu instid0(SALU_CYCLE_1) | instskip(NEXT) | instid1(SALU_CYCLE_1)
	s_bitset1_b32 s0, 10
	s_mov_b32 m0, s0
	s_sendmsg sendmsg(MSG_INTERRUPT)
	s_mov_b32 m0, ttmp2
.LBB19_526:                             ; =>This Inner Loop Header: Depth=1
	s_sethalt 5
	s_branch .LBB19_526
.LBB19_527:
	s_trap 2
	s_sendmsg_rtn_b32 s0, sendmsg(MSG_RTN_GET_DOORBELL)
	s_mov_b32 ttmp2, m0
	s_waitcnt lgkmcnt(0)
	s_and_b32 s0, s0, 0x3ff
	s_delay_alu instid0(SALU_CYCLE_1) | instskip(NEXT) | instid1(SALU_CYCLE_1)
	s_bitset1_b32 s0, 10
	s_mov_b32 m0, s0
	s_sendmsg sendmsg(MSG_INTERRUPT)
	s_mov_b32 m0, ttmp2
.LBB19_528:                             ; =>This Inner Loop Header: Depth=1
	s_sethalt 5
	s_branch .LBB19_528
.LBB19_529:
	s_trap 2
	s_sendmsg_rtn_b32 s0, sendmsg(MSG_RTN_GET_DOORBELL)
	s_mov_b32 ttmp2, m0
	s_waitcnt lgkmcnt(0)
	s_and_b32 s0, s0, 0x3ff
	s_delay_alu instid0(SALU_CYCLE_1) | instskip(NEXT) | instid1(SALU_CYCLE_1)
	s_bitset1_b32 s0, 10
	s_mov_b32 m0, s0
	s_sendmsg sendmsg(MSG_INTERRUPT)
	s_mov_b32 m0, ttmp2
.LBB19_530:                             ; =>This Inner Loop Header: Depth=1
	s_sethalt 5
	s_branch .LBB19_530
.LBB19_531:
	s_trap 2
	s_sendmsg_rtn_b32 s0, sendmsg(MSG_RTN_GET_DOORBELL)
	s_mov_b32 ttmp2, m0
	s_waitcnt lgkmcnt(0)
	s_and_b32 s0, s0, 0x3ff
	s_delay_alu instid0(SALU_CYCLE_1) | instskip(NEXT) | instid1(SALU_CYCLE_1)
	s_bitset1_b32 s0, 10
	s_mov_b32 m0, s0
	s_sendmsg sendmsg(MSG_INTERRUPT)
	s_mov_b32 m0, ttmp2
.LBB19_532:                             ; =>This Inner Loop Header: Depth=1
	s_sethalt 5
	s_branch .LBB19_532
.LBB19_533:
	s_trap 2
	s_sendmsg_rtn_b32 s0, sendmsg(MSG_RTN_GET_DOORBELL)
	s_mov_b32 ttmp2, m0
	s_waitcnt lgkmcnt(0)
	s_and_b32 s0, s0, 0x3ff
	s_delay_alu instid0(SALU_CYCLE_1) | instskip(NEXT) | instid1(SALU_CYCLE_1)
	s_bitset1_b32 s0, 10
	s_mov_b32 m0, s0
	s_sendmsg sendmsg(MSG_INTERRUPT)
	s_mov_b32 m0, ttmp2
.LBB19_534:                             ; =>This Inner Loop Header: Depth=1
	s_sethalt 5
	s_branch .LBB19_534
.LBB19_535:
	s_trap 2
	s_sendmsg_rtn_b32 s0, sendmsg(MSG_RTN_GET_DOORBELL)
	s_mov_b32 ttmp2, m0
	s_waitcnt lgkmcnt(0)
	s_and_b32 s0, s0, 0x3ff
	s_delay_alu instid0(SALU_CYCLE_1) | instskip(NEXT) | instid1(SALU_CYCLE_1)
	s_bitset1_b32 s0, 10
	s_mov_b32 m0, s0
	s_sendmsg sendmsg(MSG_INTERRUPT)
	s_mov_b32 m0, ttmp2
.LBB19_536:                             ; =>This Inner Loop Header: Depth=1
	s_sethalt 5
	s_branch .LBB19_536
.LBB19_537:
	s_trap 2
	s_sendmsg_rtn_b32 s0, sendmsg(MSG_RTN_GET_DOORBELL)
	s_mov_b32 ttmp2, m0
	s_waitcnt lgkmcnt(0)
	s_and_b32 s0, s0, 0x3ff
	s_delay_alu instid0(SALU_CYCLE_1) | instskip(NEXT) | instid1(SALU_CYCLE_1)
	s_bitset1_b32 s0, 10
	s_mov_b32 m0, s0
	s_sendmsg sendmsg(MSG_INTERRUPT)
	s_mov_b32 m0, ttmp2
.LBB19_538:                             ; =>This Inner Loop Header: Depth=1
	s_sethalt 5
	s_branch .LBB19_538
.LBB19_539:
	s_trap 2
	s_sendmsg_rtn_b32 s0, sendmsg(MSG_RTN_GET_DOORBELL)
	s_mov_b32 ttmp2, m0
	s_waitcnt lgkmcnt(0)
	s_and_b32 s0, s0, 0x3ff
	s_delay_alu instid0(SALU_CYCLE_1) | instskip(NEXT) | instid1(SALU_CYCLE_1)
	s_bitset1_b32 s0, 10
	s_mov_b32 m0, s0
	s_sendmsg sendmsg(MSG_INTERRUPT)
	s_mov_b32 m0, ttmp2
.LBB19_540:                             ; =>This Inner Loop Header: Depth=1
	s_sethalt 5
	s_branch .LBB19_540
.LBB19_541:
	s_trap 2
	s_sendmsg_rtn_b32 s0, sendmsg(MSG_RTN_GET_DOORBELL)
	s_mov_b32 ttmp2, m0
	s_waitcnt lgkmcnt(0)
	s_and_b32 s0, s0, 0x3ff
	s_delay_alu instid0(SALU_CYCLE_1) | instskip(NEXT) | instid1(SALU_CYCLE_1)
	s_bitset1_b32 s0, 10
	s_mov_b32 m0, s0
	s_sendmsg sendmsg(MSG_INTERRUPT)
	s_mov_b32 m0, ttmp2
.LBB19_542:                             ; =>This Inner Loop Header: Depth=1
	s_sethalt 5
	s_branch .LBB19_542
.LBB19_543:
	s_trap 2
	s_sendmsg_rtn_b32 s0, sendmsg(MSG_RTN_GET_DOORBELL)
	s_mov_b32 ttmp2, m0
	s_waitcnt lgkmcnt(0)
	s_and_b32 s0, s0, 0x3ff
	s_delay_alu instid0(SALU_CYCLE_1) | instskip(NEXT) | instid1(SALU_CYCLE_1)
	s_bitset1_b32 s0, 10
	s_mov_b32 m0, s0
	s_sendmsg sendmsg(MSG_INTERRUPT)
	s_mov_b32 m0, ttmp2
.LBB19_544:                             ; =>This Inner Loop Header: Depth=1
	s_sethalt 5
	s_branch .LBB19_544
.LBB19_545:
	s_trap 2
	s_sendmsg_rtn_b32 s0, sendmsg(MSG_RTN_GET_DOORBELL)
	s_mov_b32 ttmp2, m0
	s_waitcnt lgkmcnt(0)
	s_and_b32 s0, s0, 0x3ff
	s_delay_alu instid0(SALU_CYCLE_1) | instskip(NEXT) | instid1(SALU_CYCLE_1)
	s_bitset1_b32 s0, 10
	s_mov_b32 m0, s0
	s_sendmsg sendmsg(MSG_INTERRUPT)
	s_mov_b32 m0, ttmp2
.LBB19_546:                             ; =>This Inner Loop Header: Depth=1
	s_sethalt 5
	s_branch .LBB19_546
.Lfunc_end19:
	.size	_Z45ncclDevFunc_AllGather_PAT_SIMPLE_Sum_i8_0_0_4v, .Lfunc_end19-_Z45ncclDevFunc_AllGather_PAT_SIMPLE_Sum_i8_0_0_4v
                                        ; -- End function
	.section	.AMDGPU.csdata,"",@progbits
; Function info:
; codeLenInByte = 20112
; NumSgprs: 37
; NumVgprs: 151
; ScratchSize: 352
; MemoryBound: 0
	.text
	.p2alignl 7, 3214868480
	.fill 96, 4, 3214868480
	.type	__const.__assert_fail.fmt,@object ; @__const.__assert_fail.fmt
	.section	.rodata.str1.16,"aMS",@progbits,1
	.p2align	4, 0x0
__const.__assert_fail.fmt:
	.asciz	"%s:%u: %s: Device-side assertion `%s' failed.\n"
	.size	__const.__assert_fail.fmt, 47

	.type	.str.2,@object                  ; @.str.2
	.section	.rodata.str1.1,"aMS",@progbits,1
.str.2:
	.asciz	"2*(nrecv+nsend) <= nthreads"
	.size	.str.2, 28

	.type	.str.3,@object                  ; @.str.3
.str.3:
	.asciz	"/root/src/amdgpu-assembly/repos/ROCm__rccl/hipify/src/device/prims_simple.h"
	.size	.str.3, 76

	.type	__const.Primitives.roles,@object ; @__const.Primitives.roles
	.section	.rodata,"a",@progbits
	.p2align	4, 0x0
__const.Primitives.roles:
	.long	4                               ; 0x4
	.long	32                              ; 0x20
	.long	8                               ; 0x8
	.long	16                              ; 0x10
	.long	3                               ; 0x3
	.size	__const.Primitives.roles, 20

	.type	__PRETTY_FUNCTION__._ZN10PrimitivesIa7FuncSumIaE12FanSymmetricILi1EELi0E11ProtoSimpleILi2ELi2ELi0ELi1ELi0ELi0EELi0ELb0ELi0ELi0ELi0EEC2EiiPKiS8_PKvPvmhhhP15ncclDevWorkCollP14ncclDevWorkP2pii,@object ; @__PRETTY_FUNCTION__._ZN10PrimitivesIa7FuncSumIaE12FanSymmetricILi1EELi0E11ProtoSimpleILi2ELi2ELi0ELi1ELi0ELi0EELi0ELb0ELi0ELi0ELi0EEC2EiiPKiS8_PKvPvmhhhP15ncclDevWorkCollP14ncclDevWorkP2pii
	.section	.rodata.str1.1,"aMS",@progbits,1
__PRETTY_FUNCTION__._ZN10PrimitivesIa7FuncSumIaE12FanSymmetricILi1EELi0E11ProtoSimpleILi2ELi2ELi0ELi1ELi0ELi0EELi0ELb0ELi0ELi0ELi0EEC2EiiPKiS8_PKvPvmhhhP15ncclDevWorkCollP14ncclDevWorkP2pii:
	.asciz	"Primitives<signed char, FuncSum<signed char>, FanSymmetric<1>, 0, ProtoSimple<2, 2, 0, 1>, 0>::Primitives(int, int, const int *, const int *, const void *, void *, uint64_t, uint8_t, uint8_t, uint8_t, struct ncclDevWorkColl *, struct ncclDevWorkP2p *, int, int) [T = signed char, RedOp = FuncSum<signed char>, Fan = FanSymmetric<1>, Direct = 0, Proto = ProtoSimple<2, 2, 0, 1>, P2p = 0, isNetOffload = false, Metadata = 0, Pipeline = 0, useAcc = 0]"
	.size	__PRETTY_FUNCTION__._ZN10PrimitivesIa7FuncSumIaE12FanSymmetricILi1EELi0E11ProtoSimpleILi2ELi2ELi0ELi1ELi0ELi0EELi0ELb0ELi0ELi0ELi0EEC2EiiPKiS8_PKvPvmhhhP15ncclDevWorkCollP14ncclDevWorkP2pii, 449

	.type	__const.Primitives.roles.6,@object ; @__const.Primitives.roles.6
	.section	.rodata,"a",@progbits
	.p2align	4, 0x0
__const.Primitives.roles.6:
	.long	4                               ; 0x4
	.long	32                              ; 0x20
	.long	8                               ; 0x8
	.long	16                              ; 0x10
	.long	3                               ; 0x3
	.size	__const.Primitives.roles.6, 20

	.type	__PRETTY_FUNCTION__._ZN10PrimitivesIa7FuncSumIaE12FanSymmetricILi1EELi0E11ProtoSimpleILi2ELi2ELi0ELi2ELi0ELi0EELi0ELb0ELi0ELi0ELi0EEC2EiiPKiS8_PKvPvmhhhP15ncclDevWorkCollP14ncclDevWorkP2pii,@object ; @__PRETTY_FUNCTION__._ZN10PrimitivesIa7FuncSumIaE12FanSymmetricILi1EELi0E11ProtoSimpleILi2ELi2ELi0ELi2ELi0ELi0EELi0ELb0ELi0ELi0ELi0EEC2EiiPKiS8_PKvPvmhhhP15ncclDevWorkCollP14ncclDevWorkP2pii
	.section	.rodata.str1.1,"aMS",@progbits,1
__PRETTY_FUNCTION__._ZN10PrimitivesIa7FuncSumIaE12FanSymmetricILi1EELi0E11ProtoSimpleILi2ELi2ELi0ELi2ELi0ELi0EELi0ELb0ELi0ELi0ELi0EEC2EiiPKiS8_PKvPvmhhhP15ncclDevWorkCollP14ncclDevWorkP2pii:
	.asciz	"Primitives<signed char, FuncSum<signed char>, FanSymmetric<1>, 0, ProtoSimple<2, 2, 0, 2>, 0>::Primitives(int, int, const int *, const int *, const void *, void *, uint64_t, uint8_t, uint8_t, uint8_t, struct ncclDevWorkColl *, struct ncclDevWorkP2p *, int, int) [T = signed char, RedOp = FuncSum<signed char>, Fan = FanSymmetric<1>, Direct = 0, Proto = ProtoSimple<2, 2, 0, 2>, P2p = 0, isNetOffload = false, Metadata = 0, Pipeline = 0, useAcc = 0]"
	.size	__PRETTY_FUNCTION__._ZN10PrimitivesIa7FuncSumIaE12FanSymmetricILi1EELi0E11ProtoSimpleILi2ELi2ELi0ELi2ELi0ELi0EELi0ELb0ELi0ELi0ELi0EEC2EiiPKiS8_PKvPvmhhhP15ncclDevWorkCollP14ncclDevWorkP2pii, 449

	.type	__const.Primitives.roles.8,@object ; @__const.Primitives.roles.8
	.section	.rodata,"a",@progbits
	.p2align	4, 0x0
__const.Primitives.roles.8:
	.long	4                               ; 0x4
	.long	32                              ; 0x20
	.long	8                               ; 0x8
	.long	16                              ; 0x10
	.long	3                               ; 0x3
	.size	__const.Primitives.roles.8, 20

	.type	__PRETTY_FUNCTION__._ZN10PrimitivesIa7FuncSumIaE12FanSymmetricILi1EELi0E11ProtoSimpleILi2ELi2ELi0ELi4ELi0ELi0EELi0ELb0ELi0ELi0ELi0EEC2EiiPKiS8_PKvPvmhhhP15ncclDevWorkCollP14ncclDevWorkP2pii,@object ; @__PRETTY_FUNCTION__._ZN10PrimitivesIa7FuncSumIaE12FanSymmetricILi1EELi0E11ProtoSimpleILi2ELi2ELi0ELi4ELi0ELi0EELi0ELb0ELi0ELi0ELi0EEC2EiiPKiS8_PKvPvmhhhP15ncclDevWorkCollP14ncclDevWorkP2pii
	.section	.rodata.str1.1,"aMS",@progbits,1
__PRETTY_FUNCTION__._ZN10PrimitivesIa7FuncSumIaE12FanSymmetricILi1EELi0E11ProtoSimpleILi2ELi2ELi0ELi4ELi0ELi0EELi0ELb0ELi0ELi0ELi0EEC2EiiPKiS8_PKvPvmhhhP15ncclDevWorkCollP14ncclDevWorkP2pii:
	.asciz	"Primitives<signed char, FuncSum<signed char>, FanSymmetric<1>, 0, ProtoSimple<2, 2, 0, 4>, 0>::Primitives(int, int, const int *, const int *, const void *, void *, uint64_t, uint8_t, uint8_t, uint8_t, struct ncclDevWorkColl *, struct ncclDevWorkP2p *, int, int) [T = signed char, RedOp = FuncSum<signed char>, Fan = FanSymmetric<1>, Direct = 0, Proto = ProtoSimple<2, 2, 0, 4>, P2p = 0, isNetOffload = false, Metadata = 0, Pipeline = 0, useAcc = 0]"
	.size	__PRETTY_FUNCTION__._ZN10PrimitivesIa7FuncSumIaE12FanSymmetricILi1EELi0E11ProtoSimpleILi2ELi2ELi0ELi4ELi0ELi0EELi0ELb0ELi0ELi0ELi0EEC2EiiPKiS8_PKvPvmhhhP15ncclDevWorkCollP14ncclDevWorkP2pii, 449

	.type	__hip_cuid_865c7889a74c1b29,@object ; @__hip_cuid_865c7889a74c1b29
	.section	.bss,"aw",@nobits
	.globl	__hip_cuid_865c7889a74c1b29
__hip_cuid_865c7889a74c1b29:
	.byte	0                               ; 0x0
	.size	__hip_cuid_865c7889a74c1b29, 1

	.ident	"AMD clang version 19.0.0git (https://github.com/RadeonOpenCompute/llvm-project roc-6.4.0 25133 c7fe45cf4b819c5991fe208aaa96edf142730f1d)"
	.section	".note.GNU-stack","",@progbits
	.addrsig
	.addrsig_sym _Z42ncclDevFunc_AllGather_RING_LL_Sum_i8_0_0_1v
	.addrsig_sym _Z46ncclDevFunc_AllGather_RING_SIMPLE_Sum_i8_0_0_1v
	.addrsig_sym _Z41ncclDevFunc_AllGather_PAT_LL_Sum_i8_0_0_1v
	.addrsig_sym _Z45ncclDevFunc_AllGather_PAT_SIMPLE_Sum_i8_0_0_1v
	.addrsig_sym _Z42ncclDevFunc_AllGather_RING_LL_Sum_i8_0_0_2v
	.addrsig_sym _Z46ncclDevFunc_AllGather_RING_SIMPLE_Sum_i8_0_0_2v
	.addrsig_sym _Z41ncclDevFunc_AllGather_PAT_LL_Sum_i8_0_0_2v
	.addrsig_sym _Z45ncclDevFunc_AllGather_PAT_SIMPLE_Sum_i8_0_0_2v
	.addrsig_sym _Z42ncclDevFunc_AllGather_RING_LL_Sum_i8_0_0_4v
	.addrsig_sym _Z46ncclDevFunc_AllGather_RING_SIMPLE_Sum_i8_0_0_4v
	.addrsig_sym _Z41ncclDevFunc_AllGather_PAT_LL_Sum_i8_0_0_4v
	.addrsig_sym _Z45ncclDevFunc_AllGather_PAT_SIMPLE_Sum_i8_0_0_4v
	.addrsig_sym ncclShmem
	.addrsig_sym ncclShmemPerWarp
	.addrsig_sym __hip_cuid_865c7889a74c1b29
	.amdgpu_metadata
---
amdhsa.kernels:  []
amdhsa.target:   amdgcn-amd-amdhsa--gfx1100
amdhsa.version:
  - 1
  - 2
...

	.end_amdgpu_metadata
